;; amdgpu-corpus repo=ROCm/rocSOLVER kind=compiled arch=gfx950 opt=O3
	.amdgcn_target "amdgcn-amd-amdhsa--gfx950"
	.amdhsa_code_object_version 6
	.section	.text._ZN9rocsolver6v33100L18trti2_kernel_smallILi1EdPdEEv13rocblas_fill_17rocblas_diagonal_T1_iil,"axG",@progbits,_ZN9rocsolver6v33100L18trti2_kernel_smallILi1EdPdEEv13rocblas_fill_17rocblas_diagonal_T1_iil,comdat
	.globl	_ZN9rocsolver6v33100L18trti2_kernel_smallILi1EdPdEEv13rocblas_fill_17rocblas_diagonal_T1_iil ; -- Begin function _ZN9rocsolver6v33100L18trti2_kernel_smallILi1EdPdEEv13rocblas_fill_17rocblas_diagonal_T1_iil
	.p2align	8
	.type	_ZN9rocsolver6v33100L18trti2_kernel_smallILi1EdPdEEv13rocblas_fill_17rocblas_diagonal_T1_iil,@function
_ZN9rocsolver6v33100L18trti2_kernel_smallILi1EdPdEEv13rocblas_fill_17rocblas_diagonal_T1_iil: ; @_ZN9rocsolver6v33100L18trti2_kernel_smallILi1EdPdEEv13rocblas_fill_17rocblas_diagonal_T1_iil
; %bb.0:
	v_cmp_eq_u32_e32 vcc, 0, v0
	s_and_saveexec_b64 s[4:5], vcc
	s_cbranch_execz .LBB0_2
; %bb.1:
	s_load_dword s4, s[0:1], 0x10
	s_load_dwordx2 s[6:7], s[0:1], 0x18
	s_load_dwordx2 s[8:9], s[0:1], 0x8
	s_ashr_i32 s3, s2, 31
	v_mov_b32_e32 v8, 0
	s_waitcnt lgkmcnt(0)
	s_ashr_i32 s5, s4, 31
	s_mul_hi_u32 s10, s6, s2
	s_mul_i32 s3, s6, s3
	s_add_i32 s3, s10, s3
	s_mul_i32 s7, s7, s2
	s_add_i32 s3, s3, s7
	s_mul_i32 s2, s6, s2
	s_lshl_b64 s[2:3], s[2:3], 3
	s_add_u32 s6, s8, s2
	s_addc_u32 s7, s9, s3
	s_lshl_b64 s[2:3], s[4:5], 3
	s_add_u32 s2, s6, s2
	s_addc_u32 s3, s7, s3
	s_load_dwordx2 s[4:5], s[2:3], 0x0
	s_load_dword s6, s[0:1], 0x4
	s_waitcnt lgkmcnt(0)
	v_div_scale_f64 v[0:1], s[0:1], s[4:5], s[4:5], 1.0
	v_rcp_f64_e32 v[2:3], v[0:1]
	s_cmpk_eq_i32 s6, 0x84
	v_fma_f64 v[4:5], -v[0:1], v[2:3], 1.0
	v_fmac_f64_e32 v[2:3], v[2:3], v[4:5]
	v_fma_f64 v[4:5], -v[0:1], v[2:3], 1.0
	v_fmac_f64_e32 v[2:3], v[2:3], v[4:5]
	v_div_scale_f64 v[4:5], vcc, 1.0, s[4:5], 1.0
	v_mul_f64 v[6:7], v[4:5], v[2:3]
	v_fma_f64 v[0:1], -v[0:1], v[6:7], v[4:5]
	s_nop 1
	v_div_fmas_f64 v[0:1], v[0:1], v[2:3], v[6:7]
	v_div_fixup_f64 v[0:1], v[0:1], s[4:5], 1.0
	v_mov_b32_e32 v2, s5
	s_cselect_b64 vcc, -1, 0
	v_cndmask_b32_e32 v1, v1, v2, vcc
	v_mov_b32_e32 v2, s4
	v_cndmask_b32_e32 v0, v0, v2, vcc
	global_store_dwordx2 v8, v[0:1], s[2:3]
.LBB0_2:
	s_endpgm
	.section	.rodata,"a",@progbits
	.p2align	6, 0x0
	.amdhsa_kernel _ZN9rocsolver6v33100L18trti2_kernel_smallILi1EdPdEEv13rocblas_fill_17rocblas_diagonal_T1_iil
		.amdhsa_group_segment_fixed_size 0
		.amdhsa_private_segment_fixed_size 0
		.amdhsa_kernarg_size 32
		.amdhsa_user_sgpr_count 2
		.amdhsa_user_sgpr_dispatch_ptr 0
		.amdhsa_user_sgpr_queue_ptr 0
		.amdhsa_user_sgpr_kernarg_segment_ptr 1
		.amdhsa_user_sgpr_dispatch_id 0
		.amdhsa_user_sgpr_kernarg_preload_length 0
		.amdhsa_user_sgpr_kernarg_preload_offset 0
		.amdhsa_user_sgpr_private_segment_size 0
		.amdhsa_uses_dynamic_stack 0
		.amdhsa_enable_private_segment 0
		.amdhsa_system_sgpr_workgroup_id_x 1
		.amdhsa_system_sgpr_workgroup_id_y 0
		.amdhsa_system_sgpr_workgroup_id_z 0
		.amdhsa_system_sgpr_workgroup_info 0
		.amdhsa_system_vgpr_workitem_id 0
		.amdhsa_next_free_vgpr 9
		.amdhsa_next_free_sgpr 11
		.amdhsa_accum_offset 12
		.amdhsa_reserve_vcc 1
		.amdhsa_float_round_mode_32 0
		.amdhsa_float_round_mode_16_64 0
		.amdhsa_float_denorm_mode_32 3
		.amdhsa_float_denorm_mode_16_64 3
		.amdhsa_dx10_clamp 1
		.amdhsa_ieee_mode 1
		.amdhsa_fp16_overflow 0
		.amdhsa_tg_split 0
		.amdhsa_exception_fp_ieee_invalid_op 0
		.amdhsa_exception_fp_denorm_src 0
		.amdhsa_exception_fp_ieee_div_zero 0
		.amdhsa_exception_fp_ieee_overflow 0
		.amdhsa_exception_fp_ieee_underflow 0
		.amdhsa_exception_fp_ieee_inexact 0
		.amdhsa_exception_int_div_zero 0
	.end_amdhsa_kernel
	.section	.text._ZN9rocsolver6v33100L18trti2_kernel_smallILi1EdPdEEv13rocblas_fill_17rocblas_diagonal_T1_iil,"axG",@progbits,_ZN9rocsolver6v33100L18trti2_kernel_smallILi1EdPdEEv13rocblas_fill_17rocblas_diagonal_T1_iil,comdat
.Lfunc_end0:
	.size	_ZN9rocsolver6v33100L18trti2_kernel_smallILi1EdPdEEv13rocblas_fill_17rocblas_diagonal_T1_iil, .Lfunc_end0-_ZN9rocsolver6v33100L18trti2_kernel_smallILi1EdPdEEv13rocblas_fill_17rocblas_diagonal_T1_iil
                                        ; -- End function
	.set _ZN9rocsolver6v33100L18trti2_kernel_smallILi1EdPdEEv13rocblas_fill_17rocblas_diagonal_T1_iil.num_vgpr, 9
	.set _ZN9rocsolver6v33100L18trti2_kernel_smallILi1EdPdEEv13rocblas_fill_17rocblas_diagonal_T1_iil.num_agpr, 0
	.set _ZN9rocsolver6v33100L18trti2_kernel_smallILi1EdPdEEv13rocblas_fill_17rocblas_diagonal_T1_iil.numbered_sgpr, 11
	.set _ZN9rocsolver6v33100L18trti2_kernel_smallILi1EdPdEEv13rocblas_fill_17rocblas_diagonal_T1_iil.num_named_barrier, 0
	.set _ZN9rocsolver6v33100L18trti2_kernel_smallILi1EdPdEEv13rocblas_fill_17rocblas_diagonal_T1_iil.private_seg_size, 0
	.set _ZN9rocsolver6v33100L18trti2_kernel_smallILi1EdPdEEv13rocblas_fill_17rocblas_diagonal_T1_iil.uses_vcc, 1
	.set _ZN9rocsolver6v33100L18trti2_kernel_smallILi1EdPdEEv13rocblas_fill_17rocblas_diagonal_T1_iil.uses_flat_scratch, 0
	.set _ZN9rocsolver6v33100L18trti2_kernel_smallILi1EdPdEEv13rocblas_fill_17rocblas_diagonal_T1_iil.has_dyn_sized_stack, 0
	.set _ZN9rocsolver6v33100L18trti2_kernel_smallILi1EdPdEEv13rocblas_fill_17rocblas_diagonal_T1_iil.has_recursion, 0
	.set _ZN9rocsolver6v33100L18trti2_kernel_smallILi1EdPdEEv13rocblas_fill_17rocblas_diagonal_T1_iil.has_indirect_call, 0
	.section	.AMDGPU.csdata,"",@progbits
; Kernel info:
; codeLenInByte = 236
; TotalNumSgprs: 17
; NumVgprs: 9
; NumAgprs: 0
; TotalNumVgprs: 9
; ScratchSize: 0
; MemoryBound: 0
; FloatMode: 240
; IeeeMode: 1
; LDSByteSize: 0 bytes/workgroup (compile time only)
; SGPRBlocks: 2
; VGPRBlocks: 1
; NumSGPRsForWavesPerEU: 17
; NumVGPRsForWavesPerEU: 9
; AccumOffset: 12
; Occupancy: 8
; WaveLimiterHint : 0
; COMPUTE_PGM_RSRC2:SCRATCH_EN: 0
; COMPUTE_PGM_RSRC2:USER_SGPR: 2
; COMPUTE_PGM_RSRC2:TRAP_HANDLER: 0
; COMPUTE_PGM_RSRC2:TGID_X_EN: 1
; COMPUTE_PGM_RSRC2:TGID_Y_EN: 0
; COMPUTE_PGM_RSRC2:TGID_Z_EN: 0
; COMPUTE_PGM_RSRC2:TIDIG_COMP_CNT: 0
; COMPUTE_PGM_RSRC3_GFX90A:ACCUM_OFFSET: 2
; COMPUTE_PGM_RSRC3_GFX90A:TG_SPLIT: 0
	.section	.text._ZN9rocsolver6v33100L18trti2_kernel_smallILi2EdPdEEv13rocblas_fill_17rocblas_diagonal_T1_iil,"axG",@progbits,_ZN9rocsolver6v33100L18trti2_kernel_smallILi2EdPdEEv13rocblas_fill_17rocblas_diagonal_T1_iil,comdat
	.globl	_ZN9rocsolver6v33100L18trti2_kernel_smallILi2EdPdEEv13rocblas_fill_17rocblas_diagonal_T1_iil ; -- Begin function _ZN9rocsolver6v33100L18trti2_kernel_smallILi2EdPdEEv13rocblas_fill_17rocblas_diagonal_T1_iil
	.p2align	8
	.type	_ZN9rocsolver6v33100L18trti2_kernel_smallILi2EdPdEEv13rocblas_fill_17rocblas_diagonal_T1_iil,@function
_ZN9rocsolver6v33100L18trti2_kernel_smallILi2EdPdEEv13rocblas_fill_17rocblas_diagonal_T1_iil: ; @_ZN9rocsolver6v33100L18trti2_kernel_smallILi2EdPdEEv13rocblas_fill_17rocblas_diagonal_T1_iil
; %bb.0:
	v_cmp_gt_u32_e32 vcc, 2, v0
	s_and_saveexec_b64 s[4:5], vcc
	s_cbranch_execz .LBB1_20
; %bb.1:
	s_load_dwordx8 s[4:11], s[0:1], 0x0
	s_ashr_i32 s3, s2, 31
	v_mov_b32_e32 v11, 0
	v_lshlrev_b32_e32 v10, 3, v0
	v_mov_b64_e32 v[12:13], -1.0
	s_waitcnt lgkmcnt(0)
	s_ashr_i32 s1, s8, 31
	s_mov_b32 s0, s8
	s_mul_hi_u32 s8, s10, s2
	s_mul_i32 s3, s10, s3
	s_add_i32 s3, s8, s3
	s_mul_i32 s8, s11, s2
	s_add_i32 s3, s3, s8
	s_mul_i32 s2, s10, s2
	s_lshl_b64 s[2:3], s[2:3], 3
	s_add_u32 s2, s6, s2
	s_addc_u32 s3, s7, s3
	s_lshl_b64 s[0:1], s[0:1], 3
	s_add_u32 s0, s2, s0
	s_addc_u32 s1, s3, s1
	v_lshl_add_u64 v[6:7], s[0:1], 0, v[10:11]
	s_ashr_i32 s3, s9, 31
	s_mov_b32 s2, s9
	v_lshl_add_u64 v[8:9], s[2:3], 3, v[6:7]
	global_load_dwordx2 v[2:3], v10, s[0:1]
	global_load_dwordx2 v[4:5], v[8:9], off
	s_cmpk_lg_i32 s5, 0x84
	s_cselect_b64 s[2:3], -1, 0
	s_cmpk_eq_i32 s5, 0x84
	s_cbranch_scc1 .LBB1_3
; %bb.2:
	v_cmp_eq_u32_e64 s[0:1], 1, v0
	s_waitcnt vmcnt(0)
	s_nop 0
	v_cndmask_b32_e64 v13, v3, v5, s[0:1]
	v_cndmask_b32_e64 v12, v2, v4, s[0:1]
	v_div_scale_f64 v[14:15], s[6:7], v[12:13], v[12:13], 1.0
	v_rcp_f64_e32 v[16:17], v[14:15]
	s_nop 0
	v_fma_f64 v[18:19], -v[14:15], v[16:17], 1.0
	v_fmac_f64_e32 v[16:17], v[16:17], v[18:19]
	v_fma_f64 v[18:19], -v[14:15], v[16:17], 1.0
	v_fmac_f64_e32 v[16:17], v[16:17], v[18:19]
	v_div_scale_f64 v[18:19], vcc, 1.0, v[12:13], 1.0
	v_mul_f64 v[20:21], v[18:19], v[16:17]
	v_fma_f64 v[14:15], -v[14:15], v[20:21], v[18:19]
	s_nop 1
	v_div_fmas_f64 v[14:15], v[14:15], v[16:17], v[20:21]
	v_div_fixup_f64 v[12:13], v[14:15], v[12:13], 1.0
	v_cmp_eq_u32_e32 vcc, 0, v0
	v_cndmask_b32_e64 v5, v5, v13, s[0:1]
	v_cndmask_b32_e64 v4, v4, v12, s[0:1]
	v_cndmask_b32_e32 v3, v3, v13, vcc
	v_cndmask_b32_e32 v2, v2, v12, vcc
	v_xor_b32_e32 v13, 0x80000000, v13
.LBB1_3:
	ds_write_b64 v10, v[12:13]
	s_cmpk_eq_i32 s4, 0x79
	v_add_u32_e32 v12, 16, v10
	s_cbranch_scc1 .LBB1_7
; %bb.4:
	s_waitcnt vmcnt(0)
	v_mov_b64_e32 v[16:17], v[4:5]
	v_cmp_eq_u32_e32 vcc, 1, v0
	v_mov_b64_e32 v[14:15], v[2:3]
	ds_write_b64 v12, v[2:3]
	s_waitcnt lgkmcnt(0)
	; wave barrier
	s_and_saveexec_b64 s[0:1], vcc
	s_cbranch_execz .LBB1_11
; %bb.5:
	s_and_b64 vcc, exec, s[2:3]
	s_cbranch_vccz .LBB1_8
; %bb.6:
	ds_read_b64 v[10:11], v12
	v_cmp_eq_u32_e32 vcc, 1, v0
	s_nop 1
	v_cndmask_b32_e32 v15, v3, v5, vcc
	v_cndmask_b32_e32 v14, v2, v4, vcc
	s_waitcnt lgkmcnt(0)
	v_mul_f64 v[10:11], v[14:15], v[10:11]
	s_cbranch_execz .LBB1_9
	s_branch .LBB1_10
.LBB1_7:
                                        ; implicit-def: $vgpr14_vgpr15_vgpr16_vgpr17
	s_branch .LBB1_12
.LBB1_8:
                                        ; implicit-def: $vgpr10_vgpr11
.LBB1_9:
	ds_read_b64 v[10:11], v12
.LBB1_10:
	v_mov_b32_e32 v1, 0
	ds_read_b64 v[18:19], v1
	v_mov_b64_e32 v[16:17], v[4:5]
	v_mov_b64_e32 v[14:15], v[2:3]
	s_waitcnt lgkmcnt(0)
	v_mul_f64 v[10:11], v[10:11], v[18:19]
	v_mov_b32_e32 v14, v10
	v_mov_b32_e32 v15, v11
.LBB1_11:
	s_or_b64 exec, exec, s[0:1]
	s_cbranch_execnz .LBB1_19
.LBB1_12:
	v_cmp_eq_u32_e32 vcc, 0, v0
	s_waitcnt vmcnt(0)
	ds_write_b64 v12, v[4:5]
	s_waitcnt lgkmcnt(0)
	; wave barrier
	s_and_saveexec_b64 s[0:1], vcc
	s_cbranch_execz .LBB1_18
; %bb.13:
	s_and_b64 vcc, exec, s[2:3]
	s_cbranch_vccz .LBB1_15
; %bb.14:
	ds_read_b64 v[10:11], v12
	v_cmp_eq_u32_e32 vcc, 1, v0
	s_nop 1
	v_cndmask_b32_e32 v1, v3, v5, vcc
	v_cndmask_b32_e32 v0, v2, v4, vcc
	s_waitcnt lgkmcnt(0)
	v_mul_f64 v[0:1], v[0:1], v[10:11]
	s_cbranch_execz .LBB1_16
	s_branch .LBB1_17
.LBB1_15:
                                        ; implicit-def: $vgpr0_vgpr1
.LBB1_16:
	ds_read_b64 v[0:1], v12
.LBB1_17:
	v_mov_b32_e32 v4, 0
	ds_read_b64 v[4:5], v4 offset:8
	s_waitcnt lgkmcnt(0)
	v_mul_f64 v[4:5], v[0:1], v[4:5]
.LBB1_18:
	s_or_b64 exec, exec, s[0:1]
	v_mov_b64_e32 v[16:17], v[4:5]
	v_mov_b64_e32 v[14:15], v[2:3]
.LBB1_19:
	global_store_dwordx2 v[6:7], v[14:15], off
	global_store_dwordx2 v[8:9], v[16:17], off
.LBB1_20:
	s_endpgm
	.section	.rodata,"a",@progbits
	.p2align	6, 0x0
	.amdhsa_kernel _ZN9rocsolver6v33100L18trti2_kernel_smallILi2EdPdEEv13rocblas_fill_17rocblas_diagonal_T1_iil
		.amdhsa_group_segment_fixed_size 32
		.amdhsa_private_segment_fixed_size 0
		.amdhsa_kernarg_size 32
		.amdhsa_user_sgpr_count 2
		.amdhsa_user_sgpr_dispatch_ptr 0
		.amdhsa_user_sgpr_queue_ptr 0
		.amdhsa_user_sgpr_kernarg_segment_ptr 1
		.amdhsa_user_sgpr_dispatch_id 0
		.amdhsa_user_sgpr_kernarg_preload_length 0
		.amdhsa_user_sgpr_kernarg_preload_offset 0
		.amdhsa_user_sgpr_private_segment_size 0
		.amdhsa_uses_dynamic_stack 0
		.amdhsa_enable_private_segment 0
		.amdhsa_system_sgpr_workgroup_id_x 1
		.amdhsa_system_sgpr_workgroup_id_y 0
		.amdhsa_system_sgpr_workgroup_id_z 0
		.amdhsa_system_sgpr_workgroup_info 0
		.amdhsa_system_vgpr_workitem_id 0
		.amdhsa_next_free_vgpr 22
		.amdhsa_next_free_sgpr 12
		.amdhsa_accum_offset 24
		.amdhsa_reserve_vcc 1
		.amdhsa_float_round_mode_32 0
		.amdhsa_float_round_mode_16_64 0
		.amdhsa_float_denorm_mode_32 3
		.amdhsa_float_denorm_mode_16_64 3
		.amdhsa_dx10_clamp 1
		.amdhsa_ieee_mode 1
		.amdhsa_fp16_overflow 0
		.amdhsa_tg_split 0
		.amdhsa_exception_fp_ieee_invalid_op 0
		.amdhsa_exception_fp_denorm_src 0
		.amdhsa_exception_fp_ieee_div_zero 0
		.amdhsa_exception_fp_ieee_overflow 0
		.amdhsa_exception_fp_ieee_underflow 0
		.amdhsa_exception_fp_ieee_inexact 0
		.amdhsa_exception_int_div_zero 0
	.end_amdhsa_kernel
	.section	.text._ZN9rocsolver6v33100L18trti2_kernel_smallILi2EdPdEEv13rocblas_fill_17rocblas_diagonal_T1_iil,"axG",@progbits,_ZN9rocsolver6v33100L18trti2_kernel_smallILi2EdPdEEv13rocblas_fill_17rocblas_diagonal_T1_iil,comdat
.Lfunc_end1:
	.size	_ZN9rocsolver6v33100L18trti2_kernel_smallILi2EdPdEEv13rocblas_fill_17rocblas_diagonal_T1_iil, .Lfunc_end1-_ZN9rocsolver6v33100L18trti2_kernel_smallILi2EdPdEEv13rocblas_fill_17rocblas_diagonal_T1_iil
                                        ; -- End function
	.set _ZN9rocsolver6v33100L18trti2_kernel_smallILi2EdPdEEv13rocblas_fill_17rocblas_diagonal_T1_iil.num_vgpr, 22
	.set _ZN9rocsolver6v33100L18trti2_kernel_smallILi2EdPdEEv13rocblas_fill_17rocblas_diagonal_T1_iil.num_agpr, 0
	.set _ZN9rocsolver6v33100L18trti2_kernel_smallILi2EdPdEEv13rocblas_fill_17rocblas_diagonal_T1_iil.numbered_sgpr, 12
	.set _ZN9rocsolver6v33100L18trti2_kernel_smallILi2EdPdEEv13rocblas_fill_17rocblas_diagonal_T1_iil.num_named_barrier, 0
	.set _ZN9rocsolver6v33100L18trti2_kernel_smallILi2EdPdEEv13rocblas_fill_17rocblas_diagonal_T1_iil.private_seg_size, 0
	.set _ZN9rocsolver6v33100L18trti2_kernel_smallILi2EdPdEEv13rocblas_fill_17rocblas_diagonal_T1_iil.uses_vcc, 1
	.set _ZN9rocsolver6v33100L18trti2_kernel_smallILi2EdPdEEv13rocblas_fill_17rocblas_diagonal_T1_iil.uses_flat_scratch, 0
	.set _ZN9rocsolver6v33100L18trti2_kernel_smallILi2EdPdEEv13rocblas_fill_17rocblas_diagonal_T1_iil.has_dyn_sized_stack, 0
	.set _ZN9rocsolver6v33100L18trti2_kernel_smallILi2EdPdEEv13rocblas_fill_17rocblas_diagonal_T1_iil.has_recursion, 0
	.set _ZN9rocsolver6v33100L18trti2_kernel_smallILi2EdPdEEv13rocblas_fill_17rocblas_diagonal_T1_iil.has_indirect_call, 0
	.section	.AMDGPU.csdata,"",@progbits
; Kernel info:
; codeLenInByte = 616
; TotalNumSgprs: 18
; NumVgprs: 22
; NumAgprs: 0
; TotalNumVgprs: 22
; ScratchSize: 0
; MemoryBound: 0
; FloatMode: 240
; IeeeMode: 1
; LDSByteSize: 32 bytes/workgroup (compile time only)
; SGPRBlocks: 2
; VGPRBlocks: 2
; NumSGPRsForWavesPerEU: 18
; NumVGPRsForWavesPerEU: 22
; AccumOffset: 24
; Occupancy: 8
; WaveLimiterHint : 0
; COMPUTE_PGM_RSRC2:SCRATCH_EN: 0
; COMPUTE_PGM_RSRC2:USER_SGPR: 2
; COMPUTE_PGM_RSRC2:TRAP_HANDLER: 0
; COMPUTE_PGM_RSRC2:TGID_X_EN: 1
; COMPUTE_PGM_RSRC2:TGID_Y_EN: 0
; COMPUTE_PGM_RSRC2:TGID_Z_EN: 0
; COMPUTE_PGM_RSRC2:TIDIG_COMP_CNT: 0
; COMPUTE_PGM_RSRC3_GFX90A:ACCUM_OFFSET: 5
; COMPUTE_PGM_RSRC3_GFX90A:TG_SPLIT: 0
	.section	.text._ZN9rocsolver6v33100L18trti2_kernel_smallILi3EdPdEEv13rocblas_fill_17rocblas_diagonal_T1_iil,"axG",@progbits,_ZN9rocsolver6v33100L18trti2_kernel_smallILi3EdPdEEv13rocblas_fill_17rocblas_diagonal_T1_iil,comdat
	.globl	_ZN9rocsolver6v33100L18trti2_kernel_smallILi3EdPdEEv13rocblas_fill_17rocblas_diagonal_T1_iil ; -- Begin function _ZN9rocsolver6v33100L18trti2_kernel_smallILi3EdPdEEv13rocblas_fill_17rocblas_diagonal_T1_iil
	.p2align	8
	.type	_ZN9rocsolver6v33100L18trti2_kernel_smallILi3EdPdEEv13rocblas_fill_17rocblas_diagonal_T1_iil,@function
_ZN9rocsolver6v33100L18trti2_kernel_smallILi3EdPdEEv13rocblas_fill_17rocblas_diagonal_T1_iil: ; @_ZN9rocsolver6v33100L18trti2_kernel_smallILi3EdPdEEv13rocblas_fill_17rocblas_diagonal_T1_iil
; %bb.0:
	v_cmp_gt_u32_e32 vcc, 3, v0
	s_and_saveexec_b64 s[4:5], vcc
	s_cbranch_execz .LBB2_32
; %bb.1:
	s_load_dwordx8 s[4:11], s[0:1], 0x0
	s_ashr_i32 s3, s2, 31
	v_mov_b32_e32 v9, 0
	v_lshlrev_b32_e32 v8, 3, v0
	v_mov_b64_e32 v[10:11], -1.0
	s_waitcnt lgkmcnt(0)
	s_ashr_i32 s1, s8, 31
	s_mov_b32 s0, s8
	s_mul_hi_u32 s8, s10, s2
	s_mul_i32 s3, s10, s3
	s_add_i32 s3, s8, s3
	s_mul_i32 s8, s11, s2
	s_add_i32 s3, s3, s8
	s_mul_i32 s2, s10, s2
	s_lshl_b64 s[2:3], s[2:3], 3
	s_add_u32 s2, s6, s2
	s_addc_u32 s3, s7, s3
	s_lshl_b64 s[0:1], s[0:1], 3
	s_add_u32 s0, s2, s0
	s_addc_u32 s1, s3, s1
	v_lshl_add_u64 v[14:15], s[0:1], 0, v[8:9]
	s_ashr_i32 s3, s9, 31
	s_mov_b32 s2, s9
	v_lshl_add_u64 v[16:17], s[2:3], 3, v[14:15]
	s_add_i32 s2, s9, s9
	v_add_u32_e32 v2, s2, v0
	v_ashrrev_i32_e32 v3, 31, v2
	v_lshl_add_u64 v[18:19], v[2:3], 3, s[0:1]
	global_load_dwordx2 v[2:3], v8, s[0:1]
	global_load_dwordx2 v[4:5], v[16:17], off
	global_load_dwordx2 v[6:7], v[18:19], off
	s_cmpk_lg_i32 s5, 0x84
	s_cselect_b64 s[6:7], -1, 0
	s_cmpk_eq_i32 s5, 0x84
	s_cbranch_scc1 .LBB2_3
; %bb.2:
	v_cmp_eq_u32_e64 s[0:1], 1, v0
	v_cmp_eq_u32_e64 s[2:3], 2, v0
	s_waitcnt vmcnt(1)
	v_cndmask_b32_e64 v1, v3, v5, s[0:1]
	s_waitcnt vmcnt(0)
	v_cndmask_b32_e64 v11, v1, v7, s[2:3]
	v_cndmask_b32_e64 v1, v2, v4, s[0:1]
	;; [unrolled: 1-line block ×3, first 2 shown]
	v_div_scale_f64 v[12:13], s[8:9], v[10:11], v[10:11], 1.0
	v_rcp_f64_e32 v[20:21], v[12:13]
	s_nop 0
	v_fma_f64 v[22:23], -v[12:13], v[20:21], 1.0
	v_fmac_f64_e32 v[20:21], v[20:21], v[22:23]
	v_fma_f64 v[22:23], -v[12:13], v[20:21], 1.0
	v_fmac_f64_e32 v[20:21], v[20:21], v[22:23]
	v_div_scale_f64 v[22:23], vcc, 1.0, v[10:11], 1.0
	v_mul_f64 v[24:25], v[22:23], v[20:21]
	v_fma_f64 v[12:13], -v[12:13], v[24:25], v[22:23]
	s_nop 1
	v_div_fmas_f64 v[12:13], v[12:13], v[20:21], v[24:25]
	v_div_fixup_f64 v[10:11], v[12:13], v[10:11], 1.0
	v_cmp_eq_u32_e32 vcc, 0, v0
	v_cndmask_b32_e64 v7, v7, v11, s[2:3]
	v_cndmask_b32_e64 v6, v6, v10, s[2:3]
	;; [unrolled: 1-line block ×4, first 2 shown]
	v_cndmask_b32_e32 v3, v3, v11, vcc
	v_cndmask_b32_e32 v2, v2, v10, vcc
	v_xor_b32_e32 v11, 0x80000000, v11
.LBB2_3:
	s_cmpk_eq_i32 s4, 0x79
	v_add_u32_e32 v22, 32, v8
	s_waitcnt vmcnt(1)
	ds_write2_b64 v8, v[10:11], v[4:5] offset1:4
	s_waitcnt lgkmcnt(0)
	s_cbranch_scc1 .LBB2_7
; %bb.4:
	s_waitcnt vmcnt(0)
	v_mov_b64_e32 v[12:13], v[6:7]
	v_cmp_eq_u32_e64 s[0:1], 2, v0
	v_mov_b64_e32 v[10:11], v[4:5]
	v_mov_b64_e32 v[8:9], v[2:3]
	; wave barrier
	s_and_saveexec_b64 s[4:5], s[0:1]
	s_cbranch_execz .LBB2_11
; %bb.5:
	s_and_b64 vcc, exec, s[6:7]
	s_cbranch_vccz .LBB2_8
; %bb.6:
	ds_read_b64 v[8:9], v22
	v_cmp_eq_u32_e32 vcc, 1, v0
	v_cmp_eq_u32_e64 s[2:3], 2, v0
	s_nop 0
	v_cndmask_b32_e32 v1, v3, v5, vcc
	v_cndmask_b32_e64 v11, v1, v7, s[2:3]
	v_cndmask_b32_e32 v1, v2, v4, vcc
	v_cndmask_b32_e64 v10, v1, v6, s[2:3]
	s_waitcnt lgkmcnt(0)
	v_mul_f64 v[20:21], v[10:11], v[8:9]
	s_cbranch_execz .LBB2_9
	s_branch .LBB2_10
.LBB2_7:
                                        ; implicit-def: $vgpr8_vgpr9_vgpr10_vgpr11_vgpr12_vgpr13
	s_cbranch_execnz .LBB2_18
	s_branch .LBB2_31
.LBB2_8:
                                        ; implicit-def: $vgpr20_vgpr21
.LBB2_9:
	ds_read_b64 v[20:21], v22
.LBB2_10:
	v_mov_b32_e32 v1, 0
	ds_read_b64 v[24:25], v1 offset:8
	v_mov_b64_e32 v[12:13], v[6:7]
	v_mov_b64_e32 v[10:11], v[4:5]
	;; [unrolled: 1-line block ×3, first 2 shown]
	s_waitcnt lgkmcnt(0)
	v_mul_f64 v[10:11], v[20:21], v[24:25]
.LBB2_11:
	s_or_b64 exec, exec, s[4:5]
	v_cmp_ne_u32_e32 vcc, 0, v0
	ds_write_b64 v22, v[8:9]
	s_waitcnt lgkmcnt(0)
	; wave barrier
	s_and_saveexec_b64 s[4:5], vcc
	s_cbranch_execz .LBB2_17
; %bb.12:
	s_andn2_b64 vcc, exec, s[6:7]
	s_cbranch_vccnz .LBB2_14
; %bb.13:
	ds_read_b64 v[20:21], v22
	v_cmp_eq_u32_e32 vcc, 1, v0
	v_cmp_eq_u32_e64 s[2:3], 2, v0
	s_nop 0
	v_cndmask_b32_e32 v1, v9, v11, vcc
	v_cndmask_b32_e64 v9, v1, v13, s[2:3]
	v_cndmask_b32_e32 v1, v8, v10, vcc
	v_cndmask_b32_e64 v8, v1, v12, s[2:3]
	s_waitcnt lgkmcnt(0)
	v_mul_f64 v[8:9], v[8:9], v[20:21]
	s_cbranch_execz .LBB2_15
	s_branch .LBB2_16
.LBB2_14:
                                        ; implicit-def: $vgpr8_vgpr9
.LBB2_15:
	ds_read_b64 v[8:9], v22
.LBB2_16:
	v_mov_b32_e32 v1, 0
	ds_read2_b64 v[24:27], v1 offset1:5
	s_waitcnt lgkmcnt(0)
	v_fma_f64 v[20:21], v[10:11], v[26:27], v[8:9]
	v_cndmask_b32_e64 v9, v9, v21, s[0:1]
	v_cndmask_b32_e64 v8, v8, v20, s[0:1]
	v_mul_f64 v[8:9], v[8:9], v[24:25]
.LBB2_17:
	s_or_b64 exec, exec, s[4:5]
	s_branch .LBB2_31
.LBB2_18:
	v_cmp_eq_u32_e64 s[0:1], 0, v0
	; wave barrier
	s_and_saveexec_b64 s[4:5], s[0:1]
	s_cbranch_execz .LBB2_24
; %bb.19:
	s_and_b64 vcc, exec, s[6:7]
	s_cbranch_vccz .LBB2_21
; %bb.20:
	ds_read_b64 v[8:9], v22
	v_cmp_eq_u32_e32 vcc, 1, v0
	v_cmp_eq_u32_e64 s[2:3], 2, v0
	s_nop 0
	v_cndmask_b32_e32 v1, v3, v5, vcc
	s_waitcnt vmcnt(0)
	v_cndmask_b32_e64 v5, v1, v7, s[2:3]
	v_cndmask_b32_e32 v1, v2, v4, vcc
	v_cndmask_b32_e64 v4, v1, v6, s[2:3]
	s_waitcnt lgkmcnt(0)
	v_mul_f64 v[4:5], v[4:5], v[8:9]
	s_cbranch_execz .LBB2_22
	s_branch .LBB2_23
.LBB2_21:
                                        ; implicit-def: $vgpr4_vgpr5
.LBB2_22:
	ds_read_b64 v[4:5], v22
.LBB2_23:
	v_mov_b32_e32 v1, 0
	ds_read_b64 v[8:9], v1 offset:8
	s_waitcnt lgkmcnt(0)
	v_mul_f64 v[4:5], v[4:5], v[8:9]
.LBB2_24:
	s_or_b64 exec, exec, s[4:5]
	v_cmp_ne_u32_e32 vcc, 2, v0
	s_waitcnt vmcnt(0)
	ds_write_b64 v22, v[6:7]
	s_waitcnt lgkmcnt(0)
	; wave barrier
	s_and_saveexec_b64 s[4:5], vcc
	s_cbranch_execz .LBB2_30
; %bb.25:
	s_andn2_b64 vcc, exec, s[6:7]
	s_cbranch_vccnz .LBB2_27
; %bb.26:
	ds_read_b64 v[8:9], v22
	v_cmp_eq_u32_e32 vcc, 1, v0
	v_cmp_eq_u32_e64 s[2:3], 2, v0
	s_nop 0
	v_cndmask_b32_e32 v1, v3, v5, vcc
	v_cndmask_b32_e32 v0, v2, v4, vcc
	v_cndmask_b32_e64 v1, v1, v7, s[2:3]
	v_cndmask_b32_e64 v0, v0, v6, s[2:3]
	s_waitcnt lgkmcnt(0)
	v_mul_f64 v[0:1], v[0:1], v[8:9]
	s_cbranch_execz .LBB2_28
	s_branch .LBB2_29
.LBB2_27:
                                        ; implicit-def: $vgpr0_vgpr1
.LBB2_28:
	ds_read_b64 v[0:1], v22
.LBB2_29:
	v_mov_b32_e32 v6, 0
	ds_read2_b64 v[6:9], v6 offset0:2 offset1:5
	s_waitcnt lgkmcnt(0)
	v_fma_f64 v[8:9], v[4:5], v[8:9], v[0:1]
	v_cndmask_b32_e64 v1, v1, v9, s[0:1]
	v_cndmask_b32_e64 v0, v0, v8, s[0:1]
	v_mul_f64 v[6:7], v[0:1], v[6:7]
.LBB2_30:
	s_or_b64 exec, exec, s[4:5]
	v_mov_b64_e32 v[12:13], v[6:7]
	v_mov_b64_e32 v[10:11], v[4:5]
	;; [unrolled: 1-line block ×3, first 2 shown]
.LBB2_31:
	global_store_dwordx2 v[14:15], v[8:9], off
	global_store_dwordx2 v[16:17], v[10:11], off
	;; [unrolled: 1-line block ×3, first 2 shown]
.LBB2_32:
	s_endpgm
	.section	.rodata,"a",@progbits
	.p2align	6, 0x0
	.amdhsa_kernel _ZN9rocsolver6v33100L18trti2_kernel_smallILi3EdPdEEv13rocblas_fill_17rocblas_diagonal_T1_iil
		.amdhsa_group_segment_fixed_size 56
		.amdhsa_private_segment_fixed_size 0
		.amdhsa_kernarg_size 32
		.amdhsa_user_sgpr_count 2
		.amdhsa_user_sgpr_dispatch_ptr 0
		.amdhsa_user_sgpr_queue_ptr 0
		.amdhsa_user_sgpr_kernarg_segment_ptr 1
		.amdhsa_user_sgpr_dispatch_id 0
		.amdhsa_user_sgpr_kernarg_preload_length 0
		.amdhsa_user_sgpr_kernarg_preload_offset 0
		.amdhsa_user_sgpr_private_segment_size 0
		.amdhsa_uses_dynamic_stack 0
		.amdhsa_enable_private_segment 0
		.amdhsa_system_sgpr_workgroup_id_x 1
		.amdhsa_system_sgpr_workgroup_id_y 0
		.amdhsa_system_sgpr_workgroup_id_z 0
		.amdhsa_system_sgpr_workgroup_info 0
		.amdhsa_system_vgpr_workitem_id 0
		.amdhsa_next_free_vgpr 28
		.amdhsa_next_free_sgpr 12
		.amdhsa_accum_offset 28
		.amdhsa_reserve_vcc 1
		.amdhsa_float_round_mode_32 0
		.amdhsa_float_round_mode_16_64 0
		.amdhsa_float_denorm_mode_32 3
		.amdhsa_float_denorm_mode_16_64 3
		.amdhsa_dx10_clamp 1
		.amdhsa_ieee_mode 1
		.amdhsa_fp16_overflow 0
		.amdhsa_tg_split 0
		.amdhsa_exception_fp_ieee_invalid_op 0
		.amdhsa_exception_fp_denorm_src 0
		.amdhsa_exception_fp_ieee_div_zero 0
		.amdhsa_exception_fp_ieee_overflow 0
		.amdhsa_exception_fp_ieee_underflow 0
		.amdhsa_exception_fp_ieee_inexact 0
		.amdhsa_exception_int_div_zero 0
	.end_amdhsa_kernel
	.section	.text._ZN9rocsolver6v33100L18trti2_kernel_smallILi3EdPdEEv13rocblas_fill_17rocblas_diagonal_T1_iil,"axG",@progbits,_ZN9rocsolver6v33100L18trti2_kernel_smallILi3EdPdEEv13rocblas_fill_17rocblas_diagonal_T1_iil,comdat
.Lfunc_end2:
	.size	_ZN9rocsolver6v33100L18trti2_kernel_smallILi3EdPdEEv13rocblas_fill_17rocblas_diagonal_T1_iil, .Lfunc_end2-_ZN9rocsolver6v33100L18trti2_kernel_smallILi3EdPdEEv13rocblas_fill_17rocblas_diagonal_T1_iil
                                        ; -- End function
	.set _ZN9rocsolver6v33100L18trti2_kernel_smallILi3EdPdEEv13rocblas_fill_17rocblas_diagonal_T1_iil.num_vgpr, 28
	.set _ZN9rocsolver6v33100L18trti2_kernel_smallILi3EdPdEEv13rocblas_fill_17rocblas_diagonal_T1_iil.num_agpr, 0
	.set _ZN9rocsolver6v33100L18trti2_kernel_smallILi3EdPdEEv13rocblas_fill_17rocblas_diagonal_T1_iil.numbered_sgpr, 12
	.set _ZN9rocsolver6v33100L18trti2_kernel_smallILi3EdPdEEv13rocblas_fill_17rocblas_diagonal_T1_iil.num_named_barrier, 0
	.set _ZN9rocsolver6v33100L18trti2_kernel_smallILi3EdPdEEv13rocblas_fill_17rocblas_diagonal_T1_iil.private_seg_size, 0
	.set _ZN9rocsolver6v33100L18trti2_kernel_smallILi3EdPdEEv13rocblas_fill_17rocblas_diagonal_T1_iil.uses_vcc, 1
	.set _ZN9rocsolver6v33100L18trti2_kernel_smallILi3EdPdEEv13rocblas_fill_17rocblas_diagonal_T1_iil.uses_flat_scratch, 0
	.set _ZN9rocsolver6v33100L18trti2_kernel_smallILi3EdPdEEv13rocblas_fill_17rocblas_diagonal_T1_iil.has_dyn_sized_stack, 0
	.set _ZN9rocsolver6v33100L18trti2_kernel_smallILi3EdPdEEv13rocblas_fill_17rocblas_diagonal_T1_iil.has_recursion, 0
	.set _ZN9rocsolver6v33100L18trti2_kernel_smallILi3EdPdEEv13rocblas_fill_17rocblas_diagonal_T1_iil.has_indirect_call, 0
	.section	.AMDGPU.csdata,"",@progbits
; Kernel info:
; codeLenInByte = 1064
; TotalNumSgprs: 18
; NumVgprs: 28
; NumAgprs: 0
; TotalNumVgprs: 28
; ScratchSize: 0
; MemoryBound: 0
; FloatMode: 240
; IeeeMode: 1
; LDSByteSize: 56 bytes/workgroup (compile time only)
; SGPRBlocks: 2
; VGPRBlocks: 3
; NumSGPRsForWavesPerEU: 18
; NumVGPRsForWavesPerEU: 28
; AccumOffset: 28
; Occupancy: 8
; WaveLimiterHint : 0
; COMPUTE_PGM_RSRC2:SCRATCH_EN: 0
; COMPUTE_PGM_RSRC2:USER_SGPR: 2
; COMPUTE_PGM_RSRC2:TRAP_HANDLER: 0
; COMPUTE_PGM_RSRC2:TGID_X_EN: 1
; COMPUTE_PGM_RSRC2:TGID_Y_EN: 0
; COMPUTE_PGM_RSRC2:TGID_Z_EN: 0
; COMPUTE_PGM_RSRC2:TIDIG_COMP_CNT: 0
; COMPUTE_PGM_RSRC3_GFX90A:ACCUM_OFFSET: 6
; COMPUTE_PGM_RSRC3_GFX90A:TG_SPLIT: 0
	.section	.text._ZN9rocsolver6v33100L18trti2_kernel_smallILi4EdPdEEv13rocblas_fill_17rocblas_diagonal_T1_iil,"axG",@progbits,_ZN9rocsolver6v33100L18trti2_kernel_smallILi4EdPdEEv13rocblas_fill_17rocblas_diagonal_T1_iil,comdat
	.globl	_ZN9rocsolver6v33100L18trti2_kernel_smallILi4EdPdEEv13rocblas_fill_17rocblas_diagonal_T1_iil ; -- Begin function _ZN9rocsolver6v33100L18trti2_kernel_smallILi4EdPdEEv13rocblas_fill_17rocblas_diagonal_T1_iil
	.p2align	8
	.type	_ZN9rocsolver6v33100L18trti2_kernel_smallILi4EdPdEEv13rocblas_fill_17rocblas_diagonal_T1_iil,@function
_ZN9rocsolver6v33100L18trti2_kernel_smallILi4EdPdEEv13rocblas_fill_17rocblas_diagonal_T1_iil: ; @_ZN9rocsolver6v33100L18trti2_kernel_smallILi4EdPdEEv13rocblas_fill_17rocblas_diagonal_T1_iil
; %bb.0:
	v_cmp_gt_u32_e32 vcc, 4, v0
	s_and_saveexec_b64 s[4:5], vcc
	s_cbranch_execz .LBB3_56
; %bb.1:
	s_load_dwordx8 s[8:15], s[0:1], 0x0
	s_ashr_i32 s3, s2, 31
	v_mov_b32_e32 v11, 0
	v_lshlrev_b32_e32 v10, 3, v0
	v_mov_b64_e32 v[12:13], -1.0
	s_waitcnt lgkmcnt(0)
	s_mul_hi_u32 s4, s14, s2
	s_mul_i32 s3, s14, s3
	s_add_i32 s3, s4, s3
	s_mul_i32 s4, s15, s2
	s_add_i32 s3, s3, s4
	s_mul_i32 s2, s14, s2
	s_ashr_i32 s1, s12, 31
	s_lshl_b64 s[2:3], s[2:3], 3
	s_mov_b32 s0, s12
	s_add_u32 s2, s10, s2
	s_addc_u32 s3, s11, s3
	s_lshl_b64 s[0:1], s[0:1], 3
	s_add_u32 s0, s2, s0
	s_addc_u32 s1, s3, s1
	v_lshl_add_u64 v[18:19], s[0:1], 0, v[10:11]
	s_ashr_i32 s3, s13, 31
	s_mov_b32 s2, s13
	v_lshl_add_u64 v[20:21], s[2:3], 3, v[18:19]
	s_add_i32 s2, s13, s13
	v_add_u32_e32 v2, s2, v0
	v_ashrrev_i32_e32 v3, 31, v2
	v_lshl_add_u64 v[22:23], v[2:3], 3, s[0:1]
	v_add_u32_e32 v2, s13, v2
	v_ashrrev_i32_e32 v3, 31, v2
	v_lshl_add_u64 v[24:25], v[2:3], 3, s[0:1]
	global_load_dwordx2 v[2:3], v10, s[0:1]
	global_load_dwordx2 v[4:5], v[20:21], off
	global_load_dwordx2 v[6:7], v[22:23], off
	;; [unrolled: 1-line block ×3, first 2 shown]
	s_cmpk_lg_i32 s9, 0x84
	s_cselect_b64 s[10:11], -1, 0
	s_cmpk_eq_i32 s9, 0x84
	s_cbranch_scc1 .LBB3_3
; %bb.2:
	v_cmp_eq_u32_e64 s[0:1], 1, v0
	v_cmp_eq_u32_e64 s[2:3], 2, v0
	;; [unrolled: 1-line block ×3, first 2 shown]
	s_waitcnt vmcnt(2)
	v_cndmask_b32_e64 v1, v3, v5, s[0:1]
	s_waitcnt vmcnt(1)
	v_cndmask_b32_e64 v1, v1, v7, s[2:3]
	;; [unrolled: 2-line block ×3, first 2 shown]
	v_cndmask_b32_e64 v1, v2, v4, s[0:1]
	v_cndmask_b32_e64 v1, v1, v6, s[2:3]
	v_cndmask_b32_e64 v12, v1, v8, s[4:5]
	v_div_scale_f64 v[14:15], s[6:7], v[12:13], v[12:13], 1.0
	v_rcp_f64_e32 v[16:17], v[14:15]
	s_nop 0
	v_fma_f64 v[26:27], -v[14:15], v[16:17], 1.0
	v_fmac_f64_e32 v[16:17], v[16:17], v[26:27]
	v_fma_f64 v[26:27], -v[14:15], v[16:17], 1.0
	v_fmac_f64_e32 v[16:17], v[16:17], v[26:27]
	v_div_scale_f64 v[26:27], vcc, 1.0, v[12:13], 1.0
	v_mul_f64 v[28:29], v[26:27], v[16:17]
	v_fma_f64 v[14:15], -v[14:15], v[28:29], v[26:27]
	s_nop 1
	v_div_fmas_f64 v[14:15], v[14:15], v[16:17], v[28:29]
	v_div_fixup_f64 v[12:13], v[14:15], v[12:13], 1.0
	v_cmp_eq_u32_e32 vcc, 0, v0
	v_cndmask_b32_e64 v9, v9, v13, s[4:5]
	v_cndmask_b32_e64 v8, v8, v12, s[4:5]
	;; [unrolled: 1-line block ×6, first 2 shown]
	v_cndmask_b32_e32 v3, v3, v13, vcc
	v_cndmask_b32_e32 v2, v2, v12, vcc
	v_xor_b32_e32 v13, 0x80000000, v13
.LBB3_3:
	s_cmpk_eq_i32 s8, 0x79
	v_add_u32_e32 v1, 32, v10
	ds_write_b64 v10, v[12:13]
	s_cbranch_scc1 .LBB3_7
; %bb.4:
	s_waitcnt vmcnt(0)
	v_mov_b64_e32 v[16:17], v[8:9]
	v_cmp_eq_u32_e64 s[2:3], 3, v0
	v_mov_b64_e32 v[14:15], v[6:7]
	v_mov_b64_e32 v[12:13], v[4:5]
	;; [unrolled: 1-line block ×3, first 2 shown]
	ds_write_b64 v1, v[6:7]
	s_waitcnt lgkmcnt(0)
	; wave barrier
	s_and_saveexec_b64 s[6:7], s[2:3]
	s_cbranch_execz .LBB3_11
; %bb.5:
	s_and_b64 vcc, exec, s[10:11]
	s_cbranch_vccz .LBB3_8
; %bb.6:
	v_cmp_eq_u32_e32 vcc, 1, v0
	v_cmp_eq_u32_e64 s[0:1], 2, v0
	v_cmp_eq_u32_e64 s[4:5], 3, v0
	v_cndmask_b32_e32 v10, v3, v5, vcc
	v_cndmask_b32_e64 v12, v10, v7, s[0:1]
	ds_read_b64 v[10:11], v1
	v_cndmask_b32_e64 v13, v12, v9, s[4:5]
	v_cndmask_b32_e32 v12, v2, v4, vcc
	v_cndmask_b32_e64 v12, v12, v6, s[0:1]
	v_cndmask_b32_e64 v12, v12, v8, s[4:5]
	s_waitcnt lgkmcnt(0)
	v_mul_f64 v[26:27], v[12:13], v[10:11]
	s_cbranch_execz .LBB3_9
	s_branch .LBB3_10
.LBB3_7:
                                        ; implicit-def: $vgpr10_vgpr11_vgpr12_vgpr13_vgpr14_vgpr15_vgpr16_vgpr17
	s_cbranch_execnz .LBB3_34
	s_branch .LBB3_55
.LBB3_8:
                                        ; implicit-def: $vgpr26_vgpr27
.LBB3_9:
	ds_read_b64 v[26:27], v1
.LBB3_10:
	v_mov_b32_e32 v10, 0
	ds_read_b64 v[28:29], v10 offset:16
	v_mov_b64_e32 v[16:17], v[8:9]
	v_mov_b64_e32 v[14:15], v[6:7]
	;; [unrolled: 1-line block ×4, first 2 shown]
	s_waitcnt lgkmcnt(0)
	v_mul_f64 v[14:15], v[26:27], v[28:29]
.LBB3_11:
	s_or_b64 exec, exec, s[6:7]
	v_cmp_lt_u32_e64 s[0:1], 1, v0
	ds_write_b64 v1, v[12:13]
	s_waitcnt lgkmcnt(0)
	; wave barrier
	s_and_saveexec_b64 s[8:9], s[0:1]
	s_cbranch_execz .LBB3_17
; %bb.12:
	s_andn2_b64 vcc, exec, s[10:11]
	s_cbranch_vccnz .LBB3_14
; %bb.13:
	ds_read_b64 v[26:27], v1
	v_cmp_eq_u32_e32 vcc, 1, v0
	v_cmp_eq_u32_e64 s[4:5], 2, v0
	v_cmp_eq_u32_e64 s[6:7], 3, v0
	v_cndmask_b32_e32 v13, v11, v13, vcc
	v_cndmask_b32_e32 v12, v10, v12, vcc
	v_cndmask_b32_e64 v13, v13, v15, s[4:5]
	v_cndmask_b32_e64 v12, v12, v14, s[4:5]
	;; [unrolled: 1-line block ×4, first 2 shown]
	s_waitcnt lgkmcnt(0)
	v_mul_f64 v[12:13], v[12:13], v[26:27]
	s_cbranch_execz .LBB3_15
	s_branch .LBB3_16
.LBB3_14:
                                        ; implicit-def: $vgpr12_vgpr13
.LBB3_15:
	ds_read_b64 v[12:13], v1
.LBB3_16:
	v_mov_b32_e32 v26, 0
	ds_read2_b64 v[26:29], v26 offset0:1 offset1:6
	s_waitcnt lgkmcnt(0)
	v_fma_f64 v[28:29], v[14:15], v[28:29], v[12:13]
	v_cndmask_b32_e64 v13, v13, v29, s[2:3]
	v_cndmask_b32_e64 v12, v12, v28, s[2:3]
	v_mul_f64 v[12:13], v[12:13], v[26:27]
.LBB3_17:
	s_or_b64 exec, exec, s[8:9]
	v_cmp_ne_u32_e32 vcc, 0, v0
	ds_write_b64 v1, v[10:11]
	s_waitcnt lgkmcnt(0)
	; wave barrier
	s_and_saveexec_b64 s[6:7], vcc
	s_cbranch_execz .LBB3_33
; %bb.18:
	s_andn2_b64 vcc, exec, s[10:11]
	s_cbranch_vccnz .LBB3_20
; %bb.19:
	v_cmp_eq_u32_e32 vcc, 1, v0
	v_cmp_eq_u32_e64 s[2:3], 2, v0
	v_cmp_eq_u32_e64 s[4:5], 3, v0
	v_cndmask_b32_e32 v26, v11, v13, vcc
	v_cndmask_b32_e64 v28, v26, v15, s[2:3]
	ds_read_b64 v[26:27], v1
	v_cndmask_b32_e64 v29, v28, v17, s[4:5]
	v_cndmask_b32_e32 v28, v10, v12, vcc
	v_cndmask_b32_e64 v28, v28, v14, s[2:3]
	v_cndmask_b32_e64 v28, v28, v16, s[4:5]
	s_waitcnt lgkmcnt(0)
	v_mul_f64 v[26:27], v[28:29], v[26:27]
	s_cbranch_execz .LBB3_21
	s_branch .LBB3_22
.LBB3_20:
                                        ; implicit-def: $vgpr26_vgpr27
.LBB3_21:
	ds_read_b64 v[26:27], v1
.LBB3_22:
	s_and_saveexec_b64 s[4:5], s[0:1]
	s_cbranch_execz .LBB3_32
; %bb.23:
	v_add_u32_e32 v28, -2, v0
	v_add_u32_e32 v29, -1, v0
	v_cmp_lt_u32_e32 vcc, 6, v28
	v_mov_b32_e32 v30, 1
	s_and_saveexec_b64 s[2:3], vcc
	s_cbranch_execz .LBB3_27
; %bb.24:
	v_and_b32_e32 v28, -8, v29
	v_sub_u32_e32 v28, 0, v28
	s_mov_b64 s[8:9], 8
	s_mov_b32 s14, 40
	s_mov_b64 s[12:13], 0
.LBB3_25:                               ; =>This Inner Loop Header: Depth=1
	s_add_i32 s15, s8, -7
	s_cmp_eq_u32 s15, 1
	s_cselect_b64 vcc, -1, 0
	s_cmp_eq_u32 s15, 2
	v_cndmask_b32_e32 v46, v11, v13, vcc
	s_cselect_b64 s[0:1], -1, 0
	s_cmp_eq_u32 s15, 3
	v_mov_b32_e32 v42, s14
	v_cndmask_b32_e64 v46, v46, v15, s[0:1]
	v_cndmask_b32_e32 v48, v10, v12, vcc
	s_cselect_b64 vcc, -1, 0
	s_add_i32 s15, s8, -6
	ds_read2_b64 v[30:33], v42 offset1:1
	ds_read2_b64 v[34:37], v42 offset0:2 offset1:3
	ds_read2_b64 v[38:41], v42 offset0:4 offset1:5
	;; [unrolled: 1-line block ×3, first 2 shown]
	v_cndmask_b32_e32 v47, v46, v17, vcc
	v_cndmask_b32_e64 v46, v48, v14, s[0:1]
	s_cmp_eq_u32 s15, 1
	v_cndmask_b32_e32 v46, v46, v16, vcc
	s_cselect_b64 vcc, -1, 0
	s_cmp_eq_u32 s15, 2
	s_waitcnt lgkmcnt(3)
	v_fmac_f64_e32 v[26:27], v[46:47], v[30:31]
	v_cndmask_b32_e32 v30, v11, v13, vcc
	s_cselect_b64 s[0:1], -1, 0
	s_cmp_eq_u32 s15, 3
	v_cndmask_b32_e64 v30, v30, v15, s[0:1]
	v_cndmask_b32_e32 v46, v10, v12, vcc
	s_cselect_b64 vcc, -1, 0
	s_add_i32 s15, s8, -5
	v_cndmask_b32_e32 v31, v30, v17, vcc
	v_cndmask_b32_e64 v30, v46, v14, s[0:1]
	s_cmp_eq_u32 s15, 1
	v_cndmask_b32_e32 v30, v30, v16, vcc
	s_cselect_b64 vcc, -1, 0
	s_cmp_eq_u32 s15, 2
	v_fmac_f64_e32 v[26:27], v[30:31], v[32:33]
	v_cndmask_b32_e32 v30, v11, v13, vcc
	s_cselect_b64 s[0:1], -1, 0
	s_cmp_eq_u32 s15, 3
	v_cndmask_b32_e64 v30, v30, v15, s[0:1]
	v_cndmask_b32_e32 v32, v10, v12, vcc
	s_cselect_b64 vcc, -1, 0
	s_add_i32 s15, s8, -4
	v_cndmask_b32_e32 v31, v30, v17, vcc
	v_cndmask_b32_e64 v30, v32, v14, s[0:1]
	s_cmp_eq_u32 s15, 1
	v_cndmask_b32_e32 v30, v30, v16, vcc
	s_cselect_b64 vcc, -1, 0
	s_cmp_eq_u32 s15, 2
	s_waitcnt lgkmcnt(2)
	v_fmac_f64_e32 v[26:27], v[30:31], v[34:35]
	v_cndmask_b32_e32 v30, v11, v13, vcc
	s_cselect_b64 s[0:1], -1, 0
	s_cmp_eq_u32 s15, 3
	v_cndmask_b32_e64 v30, v30, v15, s[0:1]
	v_cndmask_b32_e32 v32, v10, v12, vcc
	s_cselect_b64 vcc, -1, 0
	s_add_i32 s15, s8, -3
	v_cndmask_b32_e32 v31, v30, v17, vcc
	v_cndmask_b32_e64 v30, v32, v14, s[0:1]
	s_cmp_eq_u32 s15, 1
	v_cndmask_b32_e32 v30, v30, v16, vcc
	s_cselect_b64 vcc, -1, 0
	s_cmp_eq_u32 s15, 2
	v_fmac_f64_e32 v[26:27], v[30:31], v[36:37]
	v_cndmask_b32_e32 v30, v11, v13, vcc
	s_cselect_b64 s[0:1], -1, 0
	s_cmp_eq_u32 s15, 3
	v_cndmask_b32_e64 v30, v30, v15, s[0:1]
	v_cndmask_b32_e32 v32, v10, v12, vcc
	s_cselect_b64 vcc, -1, 0
	s_add_i32 s15, s8, -2
	v_cndmask_b32_e32 v31, v30, v17, vcc
	v_cndmask_b32_e64 v30, v32, v14, s[0:1]
	s_cmp_eq_u32 s15, 1
	v_cndmask_b32_e32 v30, v30, v16, vcc
	s_cselect_b64 vcc, -1, 0
	s_cmp_eq_u32 s15, 2
	s_waitcnt lgkmcnt(1)
	v_fmac_f64_e32 v[26:27], v[30:31], v[38:39]
	v_cndmask_b32_e32 v30, v11, v13, vcc
	s_cselect_b64 s[0:1], -1, 0
	s_cmp_eq_u32 s15, 3
	v_cndmask_b32_e64 v30, v30, v15, s[0:1]
	v_cndmask_b32_e32 v32, v10, v12, vcc
	s_cselect_b64 vcc, -1, 0
	s_add_i32 s15, s8, -1
	v_cndmask_b32_e32 v31, v30, v17, vcc
	v_cndmask_b32_e64 v30, v32, v14, s[0:1]
	s_cmp_eq_u32 s15, 1
	v_cndmask_b32_e32 v30, v30, v16, vcc
	s_cselect_b64 vcc, -1, 0
	s_cmp_eq_u32 s15, 2
	v_fmac_f64_e32 v[26:27], v[30:31], v[40:41]
	v_cndmask_b32_e32 v30, v11, v13, vcc
	s_cselect_b64 s[0:1], -1, 0
	s_cmp_eq_u32 s15, 3
	v_cndmask_b32_e64 v30, v30, v15, s[0:1]
	v_cndmask_b32_e32 v32, v10, v12, vcc
	s_cselect_b64 vcc, -1, 0
	v_cndmask_b32_e32 v31, v30, v17, vcc
	v_cndmask_b32_e64 v30, v32, v14, s[0:1]
	s_cmp_eq_u32 s8, 1
	v_cndmask_b32_e32 v30, v30, v16, vcc
	s_cselect_b64 vcc, -1, 0
	s_cmp_eq_u32 s8, 2
	v_cndmask_b32_e32 v32, v11, v13, vcc
	s_cselect_b64 s[0:1], -1, 0
	s_cmp_eq_u32 s8, 3
	s_waitcnt lgkmcnt(0)
	v_fmac_f64_e32 v[26:27], v[30:31], v[42:43]
	v_cndmask_b32_e64 v30, v32, v15, s[0:1]
	v_cndmask_b32_e32 v32, v10, v12, vcc
	s_cselect_b64 vcc, -1, 0
	s_add_u32 s8, s8, 8
	v_cndmask_b32_e32 v31, v30, v17, vcc
	v_cndmask_b32_e64 v30, v32, v14, s[0:1]
	v_add_u32_e32 v32, s8, v28
	v_cndmask_b32_e32 v30, v30, v16, vcc
	s_addc_u32 s9, s9, 0
	s_add_i32 s14, s14, 64
	s_add_i32 s0, s8, -7
	v_cmp_eq_u32_e32 vcc, 8, v32
	v_fmac_f64_e32 v[26:27], v[30:31], v[44:45]
	s_or_b64 s[12:13], vcc, s[12:13]
	v_mov_b32_e32 v30, s0
	s_andn2_b64 exec, exec, s[12:13]
	s_cbranch_execnz .LBB3_25
; %bb.26:
	s_or_b64 exec, exec, s[12:13]
.LBB3_27:
	s_or_b64 exec, exec, s[2:3]
	v_and_b32_e32 v28, 7, v29
	v_cmp_ne_u32_e32 vcc, 0, v28
	s_and_saveexec_b64 s[8:9], vcc
	s_cbranch_execz .LBB3_31
; %bb.28:
	v_lshl_add_u32 v29, v30, 3, 32
	v_mov_b32_e32 v31, 0
	s_mov_b64 s[12:13], 0
.LBB3_29:                               ; =>This Inner Loop Header: Depth=1
	v_cmp_eq_u32_e32 vcc, 1, v30
	ds_read_b64 v[32:33], v29
	v_cmp_eq_u32_e64 s[0:1], 2, v30
	v_cndmask_b32_e32 v34, v11, v13, vcc
	v_cmp_eq_u32_e64 s[2:3], 3, v30
	v_cndmask_b32_e64 v34, v34, v15, s[0:1]
	v_cndmask_b32_e32 v36, v10, v12, vcc
	v_add_u32_e32 v28, -1, v28
	v_cndmask_b32_e64 v35, v34, v17, s[2:3]
	v_cndmask_b32_e64 v34, v36, v14, s[0:1]
	v_cmp_eq_u32_e32 vcc, 0, v28
	v_cndmask_b32_e64 v34, v34, v16, s[2:3]
	v_add_u32_e32 v29, 8, v29
	v_lshl_add_u64 v[30:31], v[30:31], 0, 1
	s_or_b64 s[12:13], vcc, s[12:13]
	s_waitcnt lgkmcnt(0)
	v_fmac_f64_e32 v[26:27], v[34:35], v[32:33]
	s_andn2_b64 exec, exec, s[12:13]
	s_cbranch_execnz .LBB3_29
; %bb.30:
	s_or_b64 exec, exec, s[12:13]
.LBB3_31:
	s_or_b64 exec, exec, s[8:9]
.LBB3_32:
	s_or_b64 exec, exec, s[4:5]
	v_mov_b32_e32 v10, 0
	ds_read_b64 v[10:11], v10
	s_waitcnt lgkmcnt(0)
	v_mul_f64 v[10:11], v[26:27], v[10:11]
.LBB3_33:
	s_or_b64 exec, exec, s[6:7]
	s_branch .LBB3_55
.LBB3_34:
	v_cmp_eq_u32_e64 s[0:1], 0, v0
	s_waitcnt vmcnt(2)
	ds_write_b64 v1, v[4:5]
	s_waitcnt lgkmcnt(0)
	; wave barrier
	s_and_saveexec_b64 s[6:7], s[0:1]
	s_cbranch_execz .LBB3_40
; %bb.35:
	s_and_b64 vcc, exec, s[10:11]
	s_cbranch_vccz .LBB3_37
; %bb.36:
	ds_read_b64 v[10:11], v1
	v_cmp_eq_u32_e32 vcc, 1, v0
	v_cmp_eq_u32_e64 s[2:3], 2, v0
	v_cmp_eq_u32_e64 s[4:5], 3, v0
	v_cndmask_b32_e32 v5, v3, v5, vcc
	v_cndmask_b32_e32 v4, v2, v4, vcc
	s_waitcnt vmcnt(1)
	v_cndmask_b32_e64 v5, v5, v7, s[2:3]
	v_cndmask_b32_e64 v4, v4, v6, s[2:3]
	s_waitcnt vmcnt(0)
	v_cndmask_b32_e64 v5, v5, v9, s[4:5]
	v_cndmask_b32_e64 v4, v4, v8, s[4:5]
	s_waitcnt lgkmcnt(0)
	v_mul_f64 v[4:5], v[4:5], v[10:11]
	s_cbranch_execz .LBB3_38
	s_branch .LBB3_39
.LBB3_37:
                                        ; implicit-def: $vgpr4_vgpr5
.LBB3_38:
	ds_read_b64 v[4:5], v1
.LBB3_39:
	v_mov_b32_e32 v10, 0
	ds_read_b64 v[10:11], v10 offset:8
	s_waitcnt lgkmcnt(0)
	v_mul_f64 v[4:5], v[4:5], v[10:11]
.LBB3_40:
	s_or_b64 exec, exec, s[6:7]
	v_cndmask_b32_e64 v10, 0, 1, s[10:11]
	v_cmp_gt_u32_e64 s[2:3], 2, v0
	v_cmp_ne_u32_e64 s[4:5], 1, v10
	s_waitcnt vmcnt(1)
	ds_write_b64 v1, v[6:7]
	s_waitcnt lgkmcnt(0)
	; wave barrier
	s_and_saveexec_b64 s[10:11], s[2:3]
	s_cbranch_execz .LBB3_46
; %bb.41:
	s_and_b64 vcc, exec, s[4:5]
	s_cbranch_vccnz .LBB3_43
; %bb.42:
	v_cmp_eq_u32_e32 vcc, 1, v0
	v_cmp_eq_u32_e64 s[6:7], 2, v0
	v_cmp_eq_u32_e64 s[8:9], 3, v0
	v_cndmask_b32_e32 v10, v3, v5, vcc
	v_cndmask_b32_e64 v7, v10, v7, s[6:7]
	ds_read_b64 v[10:11], v1
	v_cndmask_b32_e32 v12, v2, v4, vcc
	v_cndmask_b32_e64 v6, v12, v6, s[6:7]
	s_waitcnt vmcnt(0)
	v_cndmask_b32_e64 v7, v7, v9, s[8:9]
	v_cndmask_b32_e64 v6, v6, v8, s[8:9]
	s_waitcnt lgkmcnt(0)
	v_mul_f64 v[6:7], v[6:7], v[10:11]
	s_cbranch_execz .LBB3_44
	s_branch .LBB3_45
.LBB3_43:
                                        ; implicit-def: $vgpr6_vgpr7
.LBB3_44:
	ds_read_b64 v[6:7], v1
.LBB3_45:
	v_mov_b32_e32 v10, 0
	ds_read2_b64 v[10:13], v10 offset0:2 offset1:5
	s_waitcnt lgkmcnt(0)
	v_fma_f64 v[12:13], v[4:5], v[12:13], v[6:7]
	v_cndmask_b32_e64 v7, v7, v13, s[0:1]
	v_cndmask_b32_e64 v6, v6, v12, s[0:1]
	v_mul_f64 v[6:7], v[6:7], v[10:11]
.LBB3_46:
	s_or_b64 exec, exec, s[10:11]
	v_cmp_ne_u32_e32 vcc, 3, v0
	s_waitcnt vmcnt(0)
	ds_write_b64 v1, v[8:9]
	s_waitcnt lgkmcnt(0)
	; wave barrier
	s_and_saveexec_b64 s[8:9], vcc
	s_cbranch_execz .LBB3_54
; %bb.47:
	s_and_b64 vcc, exec, s[4:5]
	s_cbranch_vccnz .LBB3_49
; %bb.48:
	v_cmp_eq_u32_e32 vcc, 1, v0
	v_cmp_eq_u32_e64 s[4:5], 2, v0
	v_cmp_eq_u32_e64 s[6:7], 3, v0
	v_cndmask_b32_e32 v10, v3, v5, vcc
	v_cndmask_b32_e64 v12, v10, v7, s[4:5]
	ds_read_b64 v[10:11], v1
	v_cndmask_b32_e64 v13, v12, v9, s[6:7]
	v_cndmask_b32_e32 v12, v2, v4, vcc
	v_cndmask_b32_e64 v12, v12, v6, s[4:5]
	v_cndmask_b32_e64 v12, v12, v8, s[6:7]
	s_waitcnt lgkmcnt(0)
	v_mul_f64 v[10:11], v[12:13], v[10:11]
	s_cbranch_execz .LBB3_50
	s_branch .LBB3_51
.LBB3_49:
                                        ; implicit-def: $vgpr10_vgpr11
.LBB3_50:
	ds_read_b64 v[10:11], v1
.LBB3_51:
	s_and_saveexec_b64 s[6:7], s[2:3]
	s_cbranch_execz .LBB3_53
; %bb.52:
	v_add_u32_e32 v0, 1, v0
	v_cmp_eq_u32_e32 vcc, 1, v0
	v_cmp_eq_u32_e64 s[2:3], 2, v0
	v_cmp_eq_u32_e64 s[4:5], 3, v0
	v_cndmask_b32_e32 v12, v3, v5, vcc
	v_cndmask_b32_e64 v12, v12, v7, s[2:3]
	v_cndmask_b32_e64 v9, v12, v9, s[4:5]
	v_mov_b32_e32 v12, 0
	ds_read_b64 v[0:1], v1 offset:8
	ds_read_b64 v[12:13], v12 offset:48
	v_cndmask_b32_e32 v14, v2, v4, vcc
	v_cndmask_b32_e64 v14, v14, v6, s[2:3]
	v_cndmask_b32_e64 v8, v14, v8, s[4:5]
	s_waitcnt lgkmcnt(1)
	v_fmac_f64_e32 v[10:11], v[8:9], v[0:1]
	s_waitcnt lgkmcnt(0)
	v_fma_f64 v[0:1], v[6:7], v[12:13], v[10:11]
	v_cndmask_b32_e64 v11, v11, v1, s[0:1]
	v_cndmask_b32_e64 v10, v10, v0, s[0:1]
.LBB3_53:
	s_or_b64 exec, exec, s[6:7]
	v_mov_b32_e32 v0, 0
	ds_read_b64 v[0:1], v0 offset:24
	s_waitcnt lgkmcnt(0)
	v_mul_f64 v[8:9], v[10:11], v[0:1]
.LBB3_54:
	s_or_b64 exec, exec, s[8:9]
	v_mov_b64_e32 v[16:17], v[8:9]
	v_mov_b64_e32 v[14:15], v[6:7]
	;; [unrolled: 1-line block ×4, first 2 shown]
.LBB3_55:
	global_store_dwordx2 v[18:19], v[10:11], off
	global_store_dwordx2 v[20:21], v[12:13], off
	;; [unrolled: 1-line block ×4, first 2 shown]
.LBB3_56:
	s_endpgm
	.section	.rodata,"a",@progbits
	.p2align	6, 0x0
	.amdhsa_kernel _ZN9rocsolver6v33100L18trti2_kernel_smallILi4EdPdEEv13rocblas_fill_17rocblas_diagonal_T1_iil
		.amdhsa_group_segment_fixed_size 64
		.amdhsa_private_segment_fixed_size 0
		.amdhsa_kernarg_size 32
		.amdhsa_user_sgpr_count 2
		.amdhsa_user_sgpr_dispatch_ptr 0
		.amdhsa_user_sgpr_queue_ptr 0
		.amdhsa_user_sgpr_kernarg_segment_ptr 1
		.amdhsa_user_sgpr_dispatch_id 0
		.amdhsa_user_sgpr_kernarg_preload_length 0
		.amdhsa_user_sgpr_kernarg_preload_offset 0
		.amdhsa_user_sgpr_private_segment_size 0
		.amdhsa_uses_dynamic_stack 0
		.amdhsa_enable_private_segment 0
		.amdhsa_system_sgpr_workgroup_id_x 1
		.amdhsa_system_sgpr_workgroup_id_y 0
		.amdhsa_system_sgpr_workgroup_id_z 0
		.amdhsa_system_sgpr_workgroup_info 0
		.amdhsa_system_vgpr_workitem_id 0
		.amdhsa_next_free_vgpr 49
		.amdhsa_next_free_sgpr 16
		.amdhsa_accum_offset 52
		.amdhsa_reserve_vcc 1
		.amdhsa_float_round_mode_32 0
		.amdhsa_float_round_mode_16_64 0
		.amdhsa_float_denorm_mode_32 3
		.amdhsa_float_denorm_mode_16_64 3
		.amdhsa_dx10_clamp 1
		.amdhsa_ieee_mode 1
		.amdhsa_fp16_overflow 0
		.amdhsa_tg_split 0
		.amdhsa_exception_fp_ieee_invalid_op 0
		.amdhsa_exception_fp_denorm_src 0
		.amdhsa_exception_fp_ieee_div_zero 0
		.amdhsa_exception_fp_ieee_overflow 0
		.amdhsa_exception_fp_ieee_underflow 0
		.amdhsa_exception_fp_ieee_inexact 0
		.amdhsa_exception_int_div_zero 0
	.end_amdhsa_kernel
	.section	.text._ZN9rocsolver6v33100L18trti2_kernel_smallILi4EdPdEEv13rocblas_fill_17rocblas_diagonal_T1_iil,"axG",@progbits,_ZN9rocsolver6v33100L18trti2_kernel_smallILi4EdPdEEv13rocblas_fill_17rocblas_diagonal_T1_iil,comdat
.Lfunc_end3:
	.size	_ZN9rocsolver6v33100L18trti2_kernel_smallILi4EdPdEEv13rocblas_fill_17rocblas_diagonal_T1_iil, .Lfunc_end3-_ZN9rocsolver6v33100L18trti2_kernel_smallILi4EdPdEEv13rocblas_fill_17rocblas_diagonal_T1_iil
                                        ; -- End function
	.set _ZN9rocsolver6v33100L18trti2_kernel_smallILi4EdPdEEv13rocblas_fill_17rocblas_diagonal_T1_iil.num_vgpr, 49
	.set _ZN9rocsolver6v33100L18trti2_kernel_smallILi4EdPdEEv13rocblas_fill_17rocblas_diagonal_T1_iil.num_agpr, 0
	.set _ZN9rocsolver6v33100L18trti2_kernel_smallILi4EdPdEEv13rocblas_fill_17rocblas_diagonal_T1_iil.numbered_sgpr, 16
	.set _ZN9rocsolver6v33100L18trti2_kernel_smallILi4EdPdEEv13rocblas_fill_17rocblas_diagonal_T1_iil.num_named_barrier, 0
	.set _ZN9rocsolver6v33100L18trti2_kernel_smallILi4EdPdEEv13rocblas_fill_17rocblas_diagonal_T1_iil.private_seg_size, 0
	.set _ZN9rocsolver6v33100L18trti2_kernel_smallILi4EdPdEEv13rocblas_fill_17rocblas_diagonal_T1_iil.uses_vcc, 1
	.set _ZN9rocsolver6v33100L18trti2_kernel_smallILi4EdPdEEv13rocblas_fill_17rocblas_diagonal_T1_iil.uses_flat_scratch, 0
	.set _ZN9rocsolver6v33100L18trti2_kernel_smallILi4EdPdEEv13rocblas_fill_17rocblas_diagonal_T1_iil.has_dyn_sized_stack, 0
	.set _ZN9rocsolver6v33100L18trti2_kernel_smallILi4EdPdEEv13rocblas_fill_17rocblas_diagonal_T1_iil.has_recursion, 0
	.set _ZN9rocsolver6v33100L18trti2_kernel_smallILi4EdPdEEv13rocblas_fill_17rocblas_diagonal_T1_iil.has_indirect_call, 0
	.section	.AMDGPU.csdata,"",@progbits
; Kernel info:
; codeLenInByte = 2544
; TotalNumSgprs: 22
; NumVgprs: 49
; NumAgprs: 0
; TotalNumVgprs: 49
; ScratchSize: 0
; MemoryBound: 0
; FloatMode: 240
; IeeeMode: 1
; LDSByteSize: 64 bytes/workgroup (compile time only)
; SGPRBlocks: 2
; VGPRBlocks: 6
; NumSGPRsForWavesPerEU: 22
; NumVGPRsForWavesPerEU: 49
; AccumOffset: 52
; Occupancy: 8
; WaveLimiterHint : 0
; COMPUTE_PGM_RSRC2:SCRATCH_EN: 0
; COMPUTE_PGM_RSRC2:USER_SGPR: 2
; COMPUTE_PGM_RSRC2:TRAP_HANDLER: 0
; COMPUTE_PGM_RSRC2:TGID_X_EN: 1
; COMPUTE_PGM_RSRC2:TGID_Y_EN: 0
; COMPUTE_PGM_RSRC2:TGID_Z_EN: 0
; COMPUTE_PGM_RSRC2:TIDIG_COMP_CNT: 0
; COMPUTE_PGM_RSRC3_GFX90A:ACCUM_OFFSET: 12
; COMPUTE_PGM_RSRC3_GFX90A:TG_SPLIT: 0
	.section	.text._ZN9rocsolver6v33100L18trti2_kernel_smallILi5EdPdEEv13rocblas_fill_17rocblas_diagonal_T1_iil,"axG",@progbits,_ZN9rocsolver6v33100L18trti2_kernel_smallILi5EdPdEEv13rocblas_fill_17rocblas_diagonal_T1_iil,comdat
	.globl	_ZN9rocsolver6v33100L18trti2_kernel_smallILi5EdPdEEv13rocblas_fill_17rocblas_diagonal_T1_iil ; -- Begin function _ZN9rocsolver6v33100L18trti2_kernel_smallILi5EdPdEEv13rocblas_fill_17rocblas_diagonal_T1_iil
	.p2align	8
	.type	_ZN9rocsolver6v33100L18trti2_kernel_smallILi5EdPdEEv13rocblas_fill_17rocblas_diagonal_T1_iil,@function
_ZN9rocsolver6v33100L18trti2_kernel_smallILi5EdPdEEv13rocblas_fill_17rocblas_diagonal_T1_iil: ; @_ZN9rocsolver6v33100L18trti2_kernel_smallILi5EdPdEEv13rocblas_fill_17rocblas_diagonal_T1_iil
; %bb.0:
	v_cmp_gt_u32_e32 vcc, 5, v0
	s_and_saveexec_b64 s[4:5], vcc
	s_cbranch_execz .LBB4_82
; %bb.1:
	s_load_dwordx8 s[8:15], s[0:1], 0x0
	s_ashr_i32 s3, s2, 31
	v_mov_b32_e32 v1, 0
	v_lshlrev_b32_e32 v18, 3, v0
	v_mov_b32_e32 v19, v1
	s_waitcnt lgkmcnt(0)
	s_mul_hi_u32 s4, s14, s2
	s_mul_i32 s3, s14, s3
	s_add_i32 s3, s4, s3
	s_mul_i32 s4, s15, s2
	s_add_i32 s3, s3, s4
	s_mul_i32 s2, s14, s2
	s_ashr_i32 s1, s12, 31
	s_lshl_b64 s[2:3], s[2:3], 3
	s_mov_b32 s0, s12
	s_add_u32 s2, s10, s2
	s_addc_u32 s3, s11, s3
	s_lshl_b64 s[0:1], s[0:1], 3
	s_add_u32 s0, s2, s0
	s_addc_u32 s1, s3, s1
	v_lshl_add_u64 v[34:35], s[0:1], 0, v[18:19]
	s_ashr_i32 s3, s13, 31
	s_mov_b32 s2, s13
	v_lshl_add_u64 v[36:37], s[2:3], 3, v[34:35]
	s_add_i32 s2, s13, s13
	v_add_u32_e32 v4, s2, v0
	v_ashrrev_i32_e32 v5, 31, v4
	v_lshl_add_u64 v[38:39], v[4:5], 3, s[0:1]
	v_add_u32_e32 v4, s13, v4
	v_ashrrev_i32_e32 v5, 31, v4
	v_lshl_add_u64 v[40:41], v[4:5], 3, s[0:1]
	v_add_u32_e32 v4, s13, v4
	v_ashrrev_i32_e32 v5, 31, v4
	global_load_dwordx2 v[2:3], v18, s[0:1]
	v_lshl_add_u64 v[42:43], v[4:5], 3, s[0:1]
	global_load_dwordx2 v[4:5], v[36:37], off
	global_load_dwordx2 v[6:7], v[38:39], off
	;; [unrolled: 1-line block ×4, first 2 shown]
	s_cmpk_lg_i32 s9, 0x84
	s_cselect_b64 s[10:11], -1, 0
	s_cmpk_eq_i32 s9, 0x84
	v_mov_b64_e32 v[20:21], -1.0
	s_cbranch_scc1 .LBB4_3
; %bb.2:
	v_cmp_eq_u32_e64 s[0:1], 1, v0
	v_cmp_eq_u32_e64 s[2:3], 2, v0
	;; [unrolled: 1-line block ×3, first 2 shown]
	s_waitcnt vmcnt(3)
	v_cndmask_b32_e64 v12, v3, v5, s[0:1]
	s_waitcnt vmcnt(2)
	v_cndmask_b32_e64 v12, v12, v7, s[2:3]
	;; [unrolled: 2-line block ×3, first 2 shown]
	v_cmp_eq_u32_e64 s[6:7], 4, v0
	s_waitcnt vmcnt(0)
	s_nop 0
	v_cndmask_b32_e64 v13, v12, v11, s[6:7]
	v_cndmask_b32_e64 v12, v2, v4, s[0:1]
	v_cndmask_b32_e64 v12, v12, v6, s[2:3]
	v_cndmask_b32_e64 v12, v12, v8, s[4:5]
	v_cndmask_b32_e64 v12, v12, v10, s[6:7]
	v_div_scale_f64 v[14:15], s[12:13], v[12:13], v[12:13], 1.0
	v_rcp_f64_e32 v[16:17], v[14:15]
	s_nop 0
	v_fma_f64 v[20:21], -v[14:15], v[16:17], 1.0
	v_fmac_f64_e32 v[16:17], v[16:17], v[20:21]
	v_fma_f64 v[20:21], -v[14:15], v[16:17], 1.0
	v_fmac_f64_e32 v[16:17], v[16:17], v[20:21]
	v_div_scale_f64 v[20:21], vcc, 1.0, v[12:13], 1.0
	v_mul_f64 v[22:23], v[20:21], v[16:17]
	v_fma_f64 v[14:15], -v[14:15], v[22:23], v[20:21]
	s_nop 1
	v_div_fmas_f64 v[14:15], v[14:15], v[16:17], v[22:23]
	v_div_fixup_f64 v[20:21], v[14:15], v[12:13], 1.0
	v_cmp_eq_u32_e32 vcc, 0, v0
	v_cndmask_b32_e64 v11, v11, v21, s[6:7]
	v_cndmask_b32_e64 v10, v10, v20, s[6:7]
	;; [unrolled: 1-line block ×8, first 2 shown]
	v_cndmask_b32_e32 v3, v3, v21, vcc
	v_cndmask_b32_e32 v2, v2, v20, vcc
	v_xor_b32_e32 v21, 0x80000000, v21
.LBB4_3:
	s_cmpk_eq_i32 s8, 0x79
	v_add_u32_e32 v44, 48, v18
	ds_write_b64 v18, v[20:21]
	s_cbranch_scc1 .LBB4_7
; %bb.4:
	s_waitcnt vmcnt(0)
	v_mov_b64_e32 v[32:33], v[16:17]
	v_cmp_eq_u32_e64 s[0:1], 4, v0
	v_mov_b64_e32 v[26:27], v[10:11]
	v_mov_b64_e32 v[24:25], v[8:9]
	;; [unrolled: 1-line block ×5, first 2 shown]
	ds_write_b64 v44, v[8:9]
	s_waitcnt lgkmcnt(0)
	; wave barrier
	v_mov_b64_e32 v[30:31], v[14:15]
	v_mov_b64_e32 v[28:29], v[12:13]
	s_and_saveexec_b64 s[8:9], s[0:1]
	s_cbranch_execz .LBB4_11
; %bb.5:
	s_and_b64 vcc, exec, s[10:11]
	s_cbranch_vccz .LBB4_8
; %bb.6:
	v_cmp_eq_u32_e32 vcc, 1, v0
	v_cmp_eq_u32_e64 s[2:3], 2, v0
	v_cmp_eq_u32_e64 s[4:5], 3, v0
	v_cndmask_b32_e32 v18, v3, v5, vcc
	v_cndmask_b32_e64 v18, v18, v7, s[2:3]
	v_cndmask_b32_e64 v18, v18, v9, s[4:5]
	v_cmp_eq_u32_e64 s[6:7], 4, v0
	ds_read_b64 v[20:21], v44
	s_nop 0
	v_cndmask_b32_e64 v19, v18, v11, s[6:7]
	v_cndmask_b32_e32 v18, v2, v4, vcc
	v_cndmask_b32_e64 v18, v18, v6, s[2:3]
	v_cndmask_b32_e64 v18, v18, v8, s[4:5]
	;; [unrolled: 1-line block ×3, first 2 shown]
	s_waitcnt lgkmcnt(0)
	v_mul_f64 v[22:23], v[18:19], v[20:21]
	s_cbranch_execz .LBB4_9
	s_branch .LBB4_10
.LBB4_7:
                                        ; implicit-def: $vgpr18_vgpr19_vgpr20_vgpr21_vgpr22_vgpr23_vgpr24_vgpr25_vgpr26_vgpr27_vgpr28_vgpr29_vgpr30_vgpr31_vgpr32_vgpr33
	s_cbranch_execnz .LBB4_50
	s_branch .LBB4_81
.LBB4_8:
                                        ; implicit-def: $vgpr22_vgpr23
.LBB4_9:
	ds_read_b64 v[22:23], v44
.LBB4_10:
	v_mov_b32_e32 v18, 0
	ds_read_b64 v[24:25], v18 offset:24
	v_mov_b32_e32 v18, v2
	v_mov_b32_e32 v19, v3
	;; [unrolled: 1-line block ×4, first 2 shown]
	s_waitcnt lgkmcnt(0)
	v_mul_f64 v[24:25], v[22:23], v[24:25]
	v_mov_b32_e32 v22, v6
	v_mov_b32_e32 v23, v7
	;; [unrolled: 1-line block ×4, first 2 shown]
.LBB4_11:
	s_or_b64 exec, exec, s[8:9]
	v_cmp_lt_u32_e64 s[2:3], 2, v0
	ds_write_b64 v44, v[22:23]
	s_waitcnt lgkmcnt(0)
	; wave barrier
	s_and_saveexec_b64 s[12:13], s[2:3]
	s_cbranch_execz .LBB4_17
; %bb.12:
	s_andn2_b64 vcc, exec, s[10:11]
	s_cbranch_vccnz .LBB4_14
; %bb.13:
	v_cmp_eq_u32_e32 vcc, 1, v0
	v_cmp_eq_u32_e64 s[4:5], 2, v0
	v_cmp_eq_u32_e64 s[6:7], 3, v0
	v_cndmask_b32_e32 v28, v19, v21, vcc
	v_cndmask_b32_e64 v23, v28, v23, s[4:5]
	ds_read_b64 v[28:29], v44
	v_cndmask_b32_e32 v30, v18, v20, vcc
	v_cndmask_b32_e64 v22, v30, v22, s[4:5]
	v_cndmask_b32_e64 v23, v23, v25, s[6:7]
	v_cmp_eq_u32_e64 s[8:9], 4, v0
	v_cndmask_b32_e64 v22, v22, v24, s[6:7]
	s_nop 0
	v_cndmask_b32_e64 v23, v23, v27, s[8:9]
	v_cndmask_b32_e64 v22, v22, v26, s[8:9]
	s_waitcnt lgkmcnt(0)
	v_mul_f64 v[22:23], v[22:23], v[28:29]
	s_cbranch_execz .LBB4_15
	s_branch .LBB4_16
.LBB4_14:
                                        ; implicit-def: $vgpr22_vgpr23
.LBB4_15:
	ds_read_b64 v[22:23], v44
.LBB4_16:
	v_mov_b32_e32 v28, 0
	ds_read2_b64 v[28:31], v28 offset0:2 offset1:9
	s_waitcnt lgkmcnt(0)
	v_fma_f64 v[30:31], v[24:25], v[30:31], v[22:23]
	v_cndmask_b32_e64 v23, v23, v31, s[0:1]
	v_cndmask_b32_e64 v22, v22, v30, s[0:1]
	v_mul_f64 v[22:23], v[22:23], v[28:29]
.LBB4_17:
	s_or_b64 exec, exec, s[12:13]
	v_cmp_lt_u32_e64 s[0:1], 1, v0
	ds_write_b64 v44, v[20:21]
	s_waitcnt lgkmcnt(0)
	; wave barrier
	s_and_saveexec_b64 s[12:13], s[0:1]
	s_cbranch_execz .LBB4_33
; %bb.18:
	s_andn2_b64 vcc, exec, s[10:11]
	s_cbranch_vccnz .LBB4_20
; %bb.19:
	v_cmp_eq_u32_e32 vcc, 1, v0
	v_cmp_eq_u32_e64 s[4:5], 2, v0
	v_cmp_eq_u32_e64 s[6:7], 3, v0
	v_cndmask_b32_e32 v28, v19, v21, vcc
	v_cndmask_b32_e64 v28, v28, v23, s[4:5]
	v_cndmask_b32_e64 v28, v28, v25, s[6:7]
	v_cmp_eq_u32_e64 s[8:9], 4, v0
	ds_read_b64 v[30:31], v44
	s_nop 0
	v_cndmask_b32_e64 v29, v28, v27, s[8:9]
	v_cndmask_b32_e32 v28, v18, v20, vcc
	v_cndmask_b32_e64 v28, v28, v22, s[4:5]
	v_cndmask_b32_e64 v28, v28, v24, s[6:7]
	;; [unrolled: 1-line block ×3, first 2 shown]
	s_waitcnt lgkmcnt(0)
	v_mul_f64 v[28:29], v[28:29], v[30:31]
	s_cbranch_execz .LBB4_21
	s_branch .LBB4_22
.LBB4_20:
                                        ; implicit-def: $vgpr28_vgpr29
.LBB4_21:
	ds_read_b64 v[28:29], v44
.LBB4_22:
	s_and_saveexec_b64 s[8:9], s[2:3]
	s_cbranch_execz .LBB4_32
; %bb.23:
	v_add_u32_e32 v30, -3, v0
	v_add_u32_e32 v31, -2, v0
	v_cmp_lt_u32_e32 vcc, 6, v30
	v_mov_b32_e32 v32, 2
	s_and_saveexec_b64 s[4:5], vcc
	s_cbranch_execz .LBB4_27
; %bb.24:
	v_and_b32_e32 v30, -8, v31
	v_sub_u32_e32 v30, 0, v30
	s_mov_b64 s[6:7], 9
	s_mov_b32 s16, 64
	s_mov_b64 s[14:15], 0
.LBB4_25:                               ; =>This Inner Loop Header: Depth=1
	s_add_i32 s17, s6, -7
	s_cmp_eq_u32 s17, 1
	v_mov_b32_e32 v32, s16
	s_cselect_b64 vcc, -1, 0
	s_cmp_eq_u32 s17, 2
	ds_read_b128 v[46:49], v32
	ds_read_b128 v[50:53], v32 offset:16
	ds_read_b128 v[54:57], v32 offset:32
	;; [unrolled: 1-line block ×3, first 2 shown]
	v_cndmask_b32_e32 v32, v19, v21, vcc
	s_cselect_b64 s[2:3], -1, 0
	s_cmp_eq_u32 s17, 3
	v_cndmask_b32_e64 v32, v32, v23, s[2:3]
	v_cndmask_b32_e32 v33, v18, v20, vcc
	s_cselect_b64 vcc, -1, 0
	s_cmp_eq_u32 s17, 4
	v_cndmask_b32_e32 v32, v32, v25, vcc
	v_cndmask_b32_e64 v45, v33, v22, s[2:3]
	s_cselect_b64 s[2:3], -1, 0
	s_add_i32 s17, s6, -6
	v_cndmask_b32_e64 v33, v32, v27, s[2:3]
	v_cndmask_b32_e32 v32, v45, v24, vcc
	s_cmp_eq_u32 s17, 1
	v_cndmask_b32_e64 v32, v32, v26, s[2:3]
	s_cselect_b64 vcc, -1, 0
	s_cmp_eq_u32 s17, 2
	s_waitcnt lgkmcnt(3)
	v_fmac_f64_e32 v[28:29], v[32:33], v[46:47]
	v_cndmask_b32_e32 v32, v19, v21, vcc
	s_cselect_b64 s[2:3], -1, 0
	s_cmp_eq_u32 s17, 3
	v_cndmask_b32_e64 v32, v32, v23, s[2:3]
	v_cndmask_b32_e32 v33, v18, v20, vcc
	s_cselect_b64 vcc, -1, 0
	s_cmp_eq_u32 s17, 4
	v_cndmask_b32_e32 v32, v32, v25, vcc
	v_cndmask_b32_e64 v45, v33, v22, s[2:3]
	s_cselect_b64 s[2:3], -1, 0
	s_add_i32 s17, s6, -5
	v_cndmask_b32_e64 v33, v32, v27, s[2:3]
	v_cndmask_b32_e32 v32, v45, v24, vcc
	s_cmp_eq_u32 s17, 1
	v_cndmask_b32_e64 v32, v32, v26, s[2:3]
	s_cselect_b64 vcc, -1, 0
	s_cmp_eq_u32 s17, 2
	v_fmac_f64_e32 v[28:29], v[32:33], v[48:49]
	v_cndmask_b32_e32 v32, v19, v21, vcc
	s_cselect_b64 s[2:3], -1, 0
	s_cmp_eq_u32 s17, 3
	v_cndmask_b32_e64 v32, v32, v23, s[2:3]
	v_cndmask_b32_e32 v33, v18, v20, vcc
	s_cselect_b64 vcc, -1, 0
	s_cmp_eq_u32 s17, 4
	v_cndmask_b32_e32 v32, v32, v25, vcc
	v_cndmask_b32_e64 v45, v33, v22, s[2:3]
	s_cselect_b64 s[2:3], -1, 0
	s_add_i32 s17, s6, -4
	v_cndmask_b32_e64 v33, v32, v27, s[2:3]
	v_cndmask_b32_e32 v32, v45, v24, vcc
	s_cmp_eq_u32 s17, 1
	v_cndmask_b32_e64 v32, v32, v26, s[2:3]
	s_cselect_b64 vcc, -1, 0
	s_cmp_eq_u32 s17, 2
	s_waitcnt lgkmcnt(2)
	v_fmac_f64_e32 v[28:29], v[32:33], v[50:51]
	v_cndmask_b32_e32 v32, v19, v21, vcc
	s_cselect_b64 s[2:3], -1, 0
	s_cmp_eq_u32 s17, 3
	v_cndmask_b32_e64 v32, v32, v23, s[2:3]
	v_cndmask_b32_e32 v33, v18, v20, vcc
	s_cselect_b64 vcc, -1, 0
	s_cmp_eq_u32 s17, 4
	v_cndmask_b32_e32 v32, v32, v25, vcc
	v_cndmask_b32_e64 v45, v33, v22, s[2:3]
	s_cselect_b64 s[2:3], -1, 0
	s_add_i32 s17, s6, -3
	v_cndmask_b32_e64 v33, v32, v27, s[2:3]
	v_cndmask_b32_e32 v32, v45, v24, vcc
	s_cmp_eq_u32 s17, 1
	v_cndmask_b32_e64 v32, v32, v26, s[2:3]
	s_cselect_b64 vcc, -1, 0
	s_cmp_eq_u32 s17, 2
	v_fmac_f64_e32 v[28:29], v[32:33], v[52:53]
	;; [unrolled: 37-line block ×3, first 2 shown]
	v_cndmask_b32_e32 v32, v19, v21, vcc
	s_cselect_b64 s[2:3], -1, 0
	s_cmp_eq_u32 s17, 3
	v_cndmask_b32_e64 v32, v32, v23, s[2:3]
	v_cndmask_b32_e32 v33, v18, v20, vcc
	s_cselect_b64 vcc, -1, 0
	s_cmp_eq_u32 s17, 4
	v_cndmask_b32_e32 v32, v32, v25, vcc
	v_cndmask_b32_e64 v45, v33, v22, s[2:3]
	s_cselect_b64 s[2:3], -1, 0
	s_cmp_eq_u32 s6, 1
	v_cndmask_b32_e64 v33, v32, v27, s[2:3]
	v_cndmask_b32_e32 v32, v45, v24, vcc
	s_cselect_b64 vcc, -1, 0
	s_cmp_eq_u32 s6, 2
	v_cndmask_b32_e64 v32, v32, v26, s[2:3]
	v_cndmask_b32_e32 v45, v19, v21, vcc
	s_cselect_b64 s[2:3], -1, 0
	s_cmp_eq_u32 s6, 3
	s_waitcnt lgkmcnt(0)
	v_fmac_f64_e32 v[28:29], v[32:33], v[58:59]
	v_cndmask_b32_e64 v32, v45, v23, s[2:3]
	v_cndmask_b32_e32 v33, v18, v20, vcc
	s_cselect_b64 vcc, -1, 0
	s_cmp_eq_u32 s6, 4
	v_cndmask_b32_e32 v32, v32, v25, vcc
	v_cndmask_b32_e64 v45, v33, v22, s[2:3]
	s_cselect_b64 s[2:3], -1, 0
	s_add_u32 s6, s6, 8
	v_cndmask_b32_e64 v33, v32, v27, s[2:3]
	v_cndmask_b32_e32 v32, v45, v24, vcc
	v_add_u32_e32 v45, s6, v30
	v_cndmask_b32_e64 v32, v32, v26, s[2:3]
	s_addc_u32 s7, s7, 0
	s_add_i32 s16, s16, 64
	s_add_i32 s2, s6, -7
	v_cmp_eq_u32_e32 vcc, 9, v45
	v_fmac_f64_e32 v[28:29], v[32:33], v[60:61]
	s_or_b64 s[14:15], vcc, s[14:15]
	v_mov_b32_e32 v32, s2
	s_andn2_b64 exec, exec, s[14:15]
	s_cbranch_execnz .LBB4_25
; %bb.26:
	s_or_b64 exec, exec, s[14:15]
.LBB4_27:
	s_or_b64 exec, exec, s[4:5]
	v_and_b32_e32 v30, 7, v31
	v_cmp_ne_u32_e32 vcc, 0, v30
	s_and_saveexec_b64 s[14:15], vcc
	s_cbranch_execz .LBB4_31
; %bb.28:
	v_lshl_add_u32 v31, v32, 3, 48
	v_mov_b32_e32 v33, 0
	s_mov_b64 s[16:17], 0
.LBB4_29:                               ; =>This Inner Loop Header: Depth=1
	v_cmp_eq_u32_e32 vcc, 1, v32
	ds_read_b64 v[46:47], v31
	v_cmp_eq_u32_e64 s[2:3], 2, v32
	v_cndmask_b32_e32 v45, v19, v21, vcc
	v_cndmask_b32_e32 v48, v18, v20, vcc
	v_cndmask_b32_e64 v45, v45, v23, s[2:3]
	v_cmp_eq_u32_e64 s[4:5], 3, v32
	v_cmp_eq_u32_e64 s[6:7], 4, v32
	v_cndmask_b32_e64 v48, v48, v22, s[2:3]
	v_cndmask_b32_e64 v45, v45, v25, s[4:5]
	v_add_u32_e32 v30, -1, v30
	v_cndmask_b32_e64 v49, v45, v27, s[6:7]
	v_cndmask_b32_e64 v45, v48, v24, s[4:5]
	v_cmp_eq_u32_e32 vcc, 0, v30
	v_cndmask_b32_e64 v48, v45, v26, s[6:7]
	v_add_u32_e32 v31, 8, v31
	v_lshl_add_u64 v[32:33], v[32:33], 0, 1
	s_or_b64 s[16:17], vcc, s[16:17]
	s_waitcnt lgkmcnt(0)
	v_fmac_f64_e32 v[28:29], v[48:49], v[46:47]
	s_andn2_b64 exec, exec, s[16:17]
	s_cbranch_execnz .LBB4_29
; %bb.30:
	s_or_b64 exec, exec, s[16:17]
.LBB4_31:
	s_or_b64 exec, exec, s[14:15]
.LBB4_32:
	s_or_b64 exec, exec, s[8:9]
	v_mov_b32_e32 v20, 0
	ds_read_b64 v[20:21], v20 offset:8
	s_waitcnt lgkmcnt(0)
	v_mul_f64 v[20:21], v[28:29], v[20:21]
.LBB4_33:
	s_or_b64 exec, exec, s[12:13]
	v_cmp_ne_u32_e32 vcc, 0, v0
	ds_write_b64 v44, v[18:19]
	s_waitcnt lgkmcnt(0)
	; wave barrier
	s_and_saveexec_b64 s[8:9], vcc
	s_cbranch_execz .LBB4_49
; %bb.34:
	s_andn2_b64 vcc, exec, s[10:11]
	s_cbranch_vccnz .LBB4_36
; %bb.35:
	v_cmp_eq_u32_e32 vcc, 1, v0
	v_cmp_eq_u32_e64 s[2:3], 2, v0
	v_cmp_eq_u32_e64 s[4:5], 3, v0
	v_cndmask_b32_e32 v28, v19, v21, vcc
	v_cndmask_b32_e64 v28, v28, v23, s[2:3]
	v_cndmask_b32_e64 v28, v28, v25, s[4:5]
	v_cmp_eq_u32_e64 s[6:7], 4, v0
	ds_read_b64 v[30:31], v44
	s_nop 0
	v_cndmask_b32_e64 v29, v28, v27, s[6:7]
	v_cndmask_b32_e32 v28, v18, v20, vcc
	v_cndmask_b32_e64 v28, v28, v22, s[2:3]
	v_cndmask_b32_e64 v28, v28, v24, s[4:5]
	;; [unrolled: 1-line block ×3, first 2 shown]
	s_waitcnt lgkmcnt(0)
	v_mul_f64 v[28:29], v[28:29], v[30:31]
	s_cbranch_execz .LBB4_37
	s_branch .LBB4_38
.LBB4_36:
                                        ; implicit-def: $vgpr28_vgpr29
.LBB4_37:
	ds_read_b64 v[28:29], v44
.LBB4_38:
	s_and_saveexec_b64 s[6:7], s[0:1]
	s_cbranch_execz .LBB4_48
; %bb.39:
	v_add_u32_e32 v30, -2, v0
	v_add_u32_e32 v31, -1, v0
	v_cmp_lt_u32_e32 vcc, 6, v30
	v_mov_b32_e32 v32, 1
	s_and_saveexec_b64 s[2:3], vcc
	s_cbranch_execz .LBB4_43
; %bb.40:
	v_and_b32_e32 v30, -8, v31
	v_sub_u32_e32 v30, 0, v30
	s_mov_b64 s[4:5], 8
	s_mov_b32 s14, 56
	s_mov_b64 s[12:13], 0
.LBB4_41:                               ; =>This Inner Loop Header: Depth=1
	s_add_i32 s15, s4, -7
	s_cmp_eq_u32 s15, 1
	v_mov_b32_e32 v32, s14
	s_cselect_b64 vcc, -1, 0
	s_cmp_eq_u32 s15, 2
	ds_read2_b64 v[46:49], v32 offset1:1
	ds_read2_b64 v[50:53], v32 offset0:2 offset1:3
	ds_read2_b64 v[54:57], v32 offset0:4 offset1:5
	;; [unrolled: 1-line block ×3, first 2 shown]
	v_cndmask_b32_e32 v32, v19, v21, vcc
	s_cselect_b64 s[0:1], -1, 0
	s_cmp_eq_u32 s15, 3
	v_cndmask_b32_e64 v32, v32, v23, s[0:1]
	v_cndmask_b32_e32 v33, v18, v20, vcc
	s_cselect_b64 vcc, -1, 0
	s_cmp_eq_u32 s15, 4
	v_cndmask_b32_e32 v32, v32, v25, vcc
	v_cndmask_b32_e64 v45, v33, v22, s[0:1]
	s_cselect_b64 s[0:1], -1, 0
	s_add_i32 s15, s4, -6
	v_cndmask_b32_e64 v33, v32, v27, s[0:1]
	v_cndmask_b32_e32 v32, v45, v24, vcc
	s_cmp_eq_u32 s15, 1
	v_cndmask_b32_e64 v32, v32, v26, s[0:1]
	s_cselect_b64 vcc, -1, 0
	s_cmp_eq_u32 s15, 2
	s_waitcnt lgkmcnt(3)
	v_fmac_f64_e32 v[28:29], v[32:33], v[46:47]
	v_cndmask_b32_e32 v32, v19, v21, vcc
	s_cselect_b64 s[0:1], -1, 0
	s_cmp_eq_u32 s15, 3
	v_cndmask_b32_e64 v32, v32, v23, s[0:1]
	v_cndmask_b32_e32 v33, v18, v20, vcc
	s_cselect_b64 vcc, -1, 0
	s_cmp_eq_u32 s15, 4
	v_cndmask_b32_e32 v32, v32, v25, vcc
	v_cndmask_b32_e64 v45, v33, v22, s[0:1]
	s_cselect_b64 s[0:1], -1, 0
	s_add_i32 s15, s4, -5
	v_cndmask_b32_e64 v33, v32, v27, s[0:1]
	v_cndmask_b32_e32 v32, v45, v24, vcc
	s_cmp_eq_u32 s15, 1
	v_cndmask_b32_e64 v32, v32, v26, s[0:1]
	s_cselect_b64 vcc, -1, 0
	s_cmp_eq_u32 s15, 2
	v_fmac_f64_e32 v[28:29], v[32:33], v[48:49]
	v_cndmask_b32_e32 v32, v19, v21, vcc
	s_cselect_b64 s[0:1], -1, 0
	s_cmp_eq_u32 s15, 3
	v_cndmask_b32_e64 v32, v32, v23, s[0:1]
	v_cndmask_b32_e32 v33, v18, v20, vcc
	s_cselect_b64 vcc, -1, 0
	s_cmp_eq_u32 s15, 4
	v_cndmask_b32_e32 v32, v32, v25, vcc
	v_cndmask_b32_e64 v45, v33, v22, s[0:1]
	s_cselect_b64 s[0:1], -1, 0
	s_add_i32 s15, s4, -4
	v_cndmask_b32_e64 v33, v32, v27, s[0:1]
	v_cndmask_b32_e32 v32, v45, v24, vcc
	s_cmp_eq_u32 s15, 1
	v_cndmask_b32_e64 v32, v32, v26, s[0:1]
	s_cselect_b64 vcc, -1, 0
	s_cmp_eq_u32 s15, 2
	s_waitcnt lgkmcnt(2)
	v_fmac_f64_e32 v[28:29], v[32:33], v[50:51]
	v_cndmask_b32_e32 v32, v19, v21, vcc
	s_cselect_b64 s[0:1], -1, 0
	s_cmp_eq_u32 s15, 3
	v_cndmask_b32_e64 v32, v32, v23, s[0:1]
	v_cndmask_b32_e32 v33, v18, v20, vcc
	s_cselect_b64 vcc, -1, 0
	s_cmp_eq_u32 s15, 4
	v_cndmask_b32_e32 v32, v32, v25, vcc
	v_cndmask_b32_e64 v45, v33, v22, s[0:1]
	s_cselect_b64 s[0:1], -1, 0
	s_add_i32 s15, s4, -3
	v_cndmask_b32_e64 v33, v32, v27, s[0:1]
	v_cndmask_b32_e32 v32, v45, v24, vcc
	s_cmp_eq_u32 s15, 1
	v_cndmask_b32_e64 v32, v32, v26, s[0:1]
	s_cselect_b64 vcc, -1, 0
	s_cmp_eq_u32 s15, 2
	v_fmac_f64_e32 v[28:29], v[32:33], v[52:53]
	;; [unrolled: 37-line block ×3, first 2 shown]
	v_cndmask_b32_e32 v32, v19, v21, vcc
	s_cselect_b64 s[0:1], -1, 0
	s_cmp_eq_u32 s15, 3
	v_cndmask_b32_e64 v32, v32, v23, s[0:1]
	v_cndmask_b32_e32 v33, v18, v20, vcc
	s_cselect_b64 vcc, -1, 0
	s_cmp_eq_u32 s15, 4
	v_cndmask_b32_e32 v32, v32, v25, vcc
	v_cndmask_b32_e64 v45, v33, v22, s[0:1]
	s_cselect_b64 s[0:1], -1, 0
	s_cmp_eq_u32 s4, 1
	v_cndmask_b32_e64 v33, v32, v27, s[0:1]
	v_cndmask_b32_e32 v32, v45, v24, vcc
	s_cselect_b64 vcc, -1, 0
	s_cmp_eq_u32 s4, 2
	v_cndmask_b32_e64 v32, v32, v26, s[0:1]
	v_cndmask_b32_e32 v45, v19, v21, vcc
	s_cselect_b64 s[0:1], -1, 0
	s_cmp_eq_u32 s4, 3
	s_waitcnt lgkmcnt(0)
	v_fmac_f64_e32 v[28:29], v[32:33], v[58:59]
	v_cndmask_b32_e64 v32, v45, v23, s[0:1]
	v_cndmask_b32_e32 v33, v18, v20, vcc
	s_cselect_b64 vcc, -1, 0
	s_cmp_eq_u32 s4, 4
	v_cndmask_b32_e32 v32, v32, v25, vcc
	v_cndmask_b32_e64 v45, v33, v22, s[0:1]
	s_cselect_b64 s[0:1], -1, 0
	s_add_u32 s4, s4, 8
	v_cndmask_b32_e64 v33, v32, v27, s[0:1]
	v_cndmask_b32_e32 v32, v45, v24, vcc
	v_add_u32_e32 v45, s4, v30
	v_cndmask_b32_e64 v32, v32, v26, s[0:1]
	s_addc_u32 s5, s5, 0
	s_add_i32 s14, s14, 64
	s_add_i32 s0, s4, -7
	v_cmp_eq_u32_e32 vcc, 8, v45
	v_fmac_f64_e32 v[28:29], v[32:33], v[60:61]
	s_or_b64 s[12:13], vcc, s[12:13]
	v_mov_b32_e32 v32, s0
	s_andn2_b64 exec, exec, s[12:13]
	s_cbranch_execnz .LBB4_41
; %bb.42:
	s_or_b64 exec, exec, s[12:13]
.LBB4_43:
	s_or_b64 exec, exec, s[2:3]
	v_and_b32_e32 v30, 7, v31
	v_cmp_ne_u32_e32 vcc, 0, v30
	s_and_saveexec_b64 s[12:13], vcc
	s_cbranch_execz .LBB4_47
; %bb.44:
	v_lshl_add_u32 v31, v32, 3, 48
	v_mov_b32_e32 v33, 0
	s_mov_b64 s[14:15], 0
.LBB4_45:                               ; =>This Inner Loop Header: Depth=1
	v_cmp_eq_u32_e32 vcc, 1, v32
	ds_read_b64 v[46:47], v31
	v_cmp_eq_u32_e64 s[0:1], 2, v32
	v_cndmask_b32_e32 v45, v19, v21, vcc
	v_cndmask_b32_e32 v48, v18, v20, vcc
	v_cndmask_b32_e64 v45, v45, v23, s[0:1]
	v_cmp_eq_u32_e64 s[2:3], 3, v32
	v_cmp_eq_u32_e64 s[4:5], 4, v32
	v_cndmask_b32_e64 v48, v48, v22, s[0:1]
	v_cndmask_b32_e64 v45, v45, v25, s[2:3]
	v_add_u32_e32 v30, -1, v30
	v_cndmask_b32_e64 v49, v45, v27, s[4:5]
	v_cndmask_b32_e64 v45, v48, v24, s[2:3]
	v_cmp_eq_u32_e32 vcc, 0, v30
	v_cndmask_b32_e64 v48, v45, v26, s[4:5]
	v_add_u32_e32 v31, 8, v31
	v_lshl_add_u64 v[32:33], v[32:33], 0, 1
	s_or_b64 s[14:15], vcc, s[14:15]
	s_waitcnt lgkmcnt(0)
	v_fmac_f64_e32 v[28:29], v[48:49], v[46:47]
	s_andn2_b64 exec, exec, s[14:15]
	s_cbranch_execnz .LBB4_45
; %bb.46:
	s_or_b64 exec, exec, s[14:15]
.LBB4_47:
	s_or_b64 exec, exec, s[12:13]
.LBB4_48:
	s_or_b64 exec, exec, s[6:7]
	v_mov_b32_e32 v18, 0
	ds_read_b64 v[18:19], v18
	s_waitcnt lgkmcnt(0)
	v_mul_f64 v[18:19], v[28:29], v[18:19]
.LBB4_49:
	s_or_b64 exec, exec, s[8:9]
	s_branch .LBB4_81
.LBB4_50:
	v_cmp_eq_u32_e64 s[0:1], 0, v0
	s_waitcnt vmcnt(3)
	ds_write_b64 v44, v[4:5]
	s_waitcnt lgkmcnt(0)
	; wave barrier
	s_and_saveexec_b64 s[8:9], s[0:1]
	s_cbranch_execz .LBB4_56
; %bb.51:
	s_and_b64 vcc, exec, s[10:11]
	s_cbranch_vccz .LBB4_53
; %bb.52:
	v_cmp_eq_u32_e32 vcc, 1, v0
	ds_read_b64 v[12:13], v44
	v_cmp_eq_u32_e64 s[2:3], 2, v0
	v_cndmask_b32_e32 v5, v3, v5, vcc
	v_cndmask_b32_e32 v4, v2, v4, vcc
	s_waitcnt vmcnt(2)
	v_cndmask_b32_e64 v5, v5, v7, s[2:3]
	v_cmp_eq_u32_e64 s[4:5], 3, v0
	v_cndmask_b32_e64 v4, v4, v6, s[2:3]
	v_cmp_eq_u32_e64 s[6:7], 4, v0
	s_waitcnt vmcnt(1)
	v_cndmask_b32_e64 v5, v5, v9, s[4:5]
	v_cndmask_b32_e64 v4, v4, v8, s[4:5]
	s_waitcnt vmcnt(0)
	v_cndmask_b32_e64 v5, v5, v11, s[6:7]
	v_cndmask_b32_e64 v4, v4, v10, s[6:7]
	s_waitcnt lgkmcnt(0)
	v_mul_f64 v[4:5], v[4:5], v[12:13]
	s_cbranch_execz .LBB4_54
	s_branch .LBB4_55
.LBB4_53:
                                        ; implicit-def: $vgpr4_vgpr5
.LBB4_54:
	ds_read_b64 v[4:5], v44
.LBB4_55:
	v_mov_b32_e32 v12, 0
	ds_read_b64 v[12:13], v12 offset:8
	s_waitcnt lgkmcnt(0)
	v_mul_f64 v[4:5], v[4:5], v[12:13]
.LBB4_56:
	s_or_b64 exec, exec, s[8:9]
	v_cndmask_b32_e64 v18, 0, 1, s[10:11]
	v_cmp_gt_u32_e32 vcc, 2, v0
	v_cmp_ne_u32_e64 s[2:3], 1, v18
	s_waitcnt vmcnt(2)
	ds_write_b64 v44, v[6:7]
	s_waitcnt lgkmcnt(0)
	; wave barrier
	s_and_saveexec_b64 s[10:11], vcc
	s_cbranch_execz .LBB4_62
; %bb.57:
	s_and_b64 vcc, exec, s[2:3]
	s_cbranch_vccnz .LBB4_59
; %bb.58:
	v_cmp_eq_u32_e32 vcc, 1, v0
	v_cmp_eq_u32_e64 s[4:5], 2, v0
	v_cmp_eq_u32_e64 s[6:7], 3, v0
	v_cndmask_b32_e32 v12, v3, v5, vcc
	v_cndmask_b32_e64 v7, v12, v7, s[4:5]
	ds_read_b64 v[12:13], v44
	v_cndmask_b32_e32 v14, v2, v4, vcc
	v_cndmask_b32_e64 v6, v14, v6, s[4:5]
	s_waitcnt vmcnt(1)
	v_cndmask_b32_e64 v7, v7, v9, s[6:7]
	v_cmp_eq_u32_e64 s[8:9], 4, v0
	v_cndmask_b32_e64 v6, v6, v8, s[6:7]
	s_waitcnt vmcnt(0)
	v_cndmask_b32_e64 v7, v7, v11, s[8:9]
	v_cndmask_b32_e64 v6, v6, v10, s[8:9]
	s_waitcnt lgkmcnt(0)
	v_mul_f64 v[6:7], v[6:7], v[12:13]
	s_cbranch_execz .LBB4_60
	s_branch .LBB4_61
.LBB4_59:
                                        ; implicit-def: $vgpr6_vgpr7
.LBB4_60:
	ds_read_b64 v[6:7], v44
.LBB4_61:
	v_mov_b32_e32 v12, 0
	ds_read2_b64 v[12:15], v12 offset0:2 offset1:7
	s_waitcnt lgkmcnt(0)
	v_fma_f64 v[14:15], v[4:5], v[14:15], v[6:7]
	v_cndmask_b32_e64 v7, v7, v15, s[0:1]
	v_cndmask_b32_e64 v6, v6, v14, s[0:1]
	v_mul_f64 v[6:7], v[6:7], v[12:13]
.LBB4_62:
	s_or_b64 exec, exec, s[10:11]
	v_cmp_gt_u32_e64 s[4:5], 3, v0
	s_waitcnt vmcnt(1)
	ds_write_b64 v44, v[8:9]
	s_waitcnt lgkmcnt(0)
	; wave barrier
	s_and_saveexec_b64 s[12:13], s[4:5]
	s_cbranch_execz .LBB4_70
; %bb.63:
	s_and_b64 vcc, exec, s[2:3]
	s_cbranch_vccnz .LBB4_65
; %bb.64:
	v_cmp_eq_u32_e32 vcc, 1, v0
	v_cmp_eq_u32_e64 s[6:7], 2, v0
	v_cmp_eq_u32_e64 s[8:9], 3, v0
	v_cndmask_b32_e32 v12, v3, v5, vcc
	v_cndmask_b32_e64 v12, v12, v7, s[6:7]
	v_cndmask_b32_e64 v12, v12, v9, s[8:9]
	v_cmp_eq_u32_e64 s[10:11], 4, v0
	ds_read_b64 v[14:15], v44
	s_waitcnt vmcnt(0)
	v_cndmask_b32_e64 v13, v12, v11, s[10:11]
	v_cndmask_b32_e32 v12, v2, v4, vcc
	v_cndmask_b32_e64 v12, v12, v6, s[6:7]
	v_cndmask_b32_e64 v12, v12, v8, s[8:9]
	;; [unrolled: 1-line block ×3, first 2 shown]
	s_waitcnt lgkmcnt(0)
	v_mul_f64 v[12:13], v[12:13], v[14:15]
	s_cbranch_execz .LBB4_66
	s_branch .LBB4_67
.LBB4_65:
                                        ; implicit-def: $vgpr12_vgpr13
.LBB4_66:
	ds_read_b64 v[12:13], v44
.LBB4_67:
	v_cmp_ne_u32_e32 vcc, 2, v0
	s_and_saveexec_b64 s[14:15], vcc
	s_cbranch_execz .LBB4_69
; %bb.68:
	v_add_u32_e32 v14, 1, v0
	v_cmp_eq_u32_e32 vcc, 1, v14
	v_cmp_eq_u32_e64 s[6:7], 2, v14
	v_cmp_eq_u32_e64 s[8:9], 3, v14
	v_cndmask_b32_e32 v15, v3, v5, vcc
	v_cndmask_b32_e64 v15, v15, v7, s[6:7]
	v_mov_b32_e32 v16, 0
	v_cndmask_b32_e64 v9, v15, v9, s[8:9]
	v_cmp_eq_u32_e64 s[10:11], 4, v14
	v_cndmask_b32_e32 v18, v2, v4, vcc
	ds_read_b64 v[14:15], v44 offset:8
	ds_read_b64 v[16:17], v16 offset:64
	v_cndmask_b32_e64 v18, v18, v6, s[6:7]
	v_cndmask_b32_e64 v8, v18, v8, s[8:9]
	s_waitcnt vmcnt(0)
	v_cndmask_b32_e64 v9, v9, v11, s[10:11]
	v_cndmask_b32_e64 v8, v8, v10, s[10:11]
	s_waitcnt lgkmcnt(1)
	v_fmac_f64_e32 v[12:13], v[8:9], v[14:15]
	s_waitcnt lgkmcnt(0)
	v_fma_f64 v[8:9], v[6:7], v[16:17], v[12:13]
	v_cndmask_b32_e64 v13, v13, v9, s[0:1]
	v_cndmask_b32_e64 v12, v12, v8, s[0:1]
.LBB4_69:
	s_or_b64 exec, exec, s[14:15]
	v_mov_b32_e32 v8, 0
	ds_read_b64 v[8:9], v8 offset:24
	s_waitcnt lgkmcnt(0)
	v_mul_f64 v[8:9], v[12:13], v[8:9]
.LBB4_70:
	s_or_b64 exec, exec, s[12:13]
	v_cmp_ne_u32_e32 vcc, 4, v0
	s_waitcnt vmcnt(0)
	ds_write_b64 v44, v[10:11]
	s_waitcnt lgkmcnt(0)
	; wave barrier
	s_and_saveexec_b64 s[8:9], vcc
	s_cbranch_execz .LBB4_80
; %bb.71:
	s_and_b64 vcc, exec, s[2:3]
	s_cbranch_vccnz .LBB4_73
; %bb.72:
	v_cmp_eq_u32_e32 vcc, 1, v0
	v_cmp_eq_u32_e64 s[0:1], 2, v0
	v_cmp_eq_u32_e64 s[2:3], 3, v0
	v_cndmask_b32_e32 v12, v3, v5, vcc
	v_cndmask_b32_e64 v12, v12, v7, s[0:1]
	v_cndmask_b32_e64 v12, v12, v9, s[2:3]
	v_cmp_eq_u32_e64 s[6:7], 4, v0
	ds_read_b64 v[14:15], v44
	s_nop 0
	v_cndmask_b32_e64 v13, v12, v11, s[6:7]
	v_cndmask_b32_e32 v12, v2, v4, vcc
	v_cndmask_b32_e64 v12, v12, v6, s[0:1]
	v_cndmask_b32_e64 v12, v12, v8, s[2:3]
	v_cndmask_b32_e64 v12, v12, v10, s[6:7]
	s_waitcnt lgkmcnt(0)
	v_mul_f64 v[12:13], v[12:13], v[14:15]
	s_cbranch_execz .LBB4_74
	s_branch .LBB4_75
.LBB4_73:
                                        ; implicit-def: $vgpr12_vgpr13
.LBB4_74:
	ds_read_b64 v[12:13], v44
.LBB4_75:
	s_and_saveexec_b64 s[6:7], s[4:5]
	s_cbranch_execz .LBB4_79
; %bb.76:
	v_lshl_add_u32 v14, v0, 3, 56
	s_mov_b64 s[4:5], 0
.LBB4_77:                               ; =>This Inner Loop Header: Depth=1
	v_lshl_add_u64 v[0:1], v[0:1], 0, 1
	v_cmp_eq_u32_e32 vcc, 1, v0
	ds_read_b64 v[16:17], v14
	v_cmp_eq_u32_e64 s[2:3], 2, v0
	v_cndmask_b32_e32 v15, v3, v5, vcc
	v_cmp_lt_u32_e64 s[0:1], 2, v0
	v_cndmask_b32_e64 v15, v15, v7, s[2:3]
	v_cndmask_b32_e32 v18, v2, v4, vcc
	v_cmp_eq_u32_e32 vcc, 3, v0
	s_or_b64 s[4:5], s[0:1], s[4:5]
	v_cndmask_b32_e64 v18, v18, v6, s[2:3]
	v_cndmask_b32_e32 v15, v15, v9, vcc
	v_cmp_eq_u32_e64 s[0:1], 4, v0
	v_add_u32_e32 v14, 8, v14
	s_nop 0
	v_cndmask_b32_e64 v19, v15, v11, s[0:1]
	v_cndmask_b32_e32 v15, v18, v8, vcc
	v_cndmask_b32_e64 v18, v15, v10, s[0:1]
	s_waitcnt lgkmcnt(0)
	v_fmac_f64_e32 v[12:13], v[18:19], v[16:17]
	s_andn2_b64 exec, exec, s[4:5]
	s_cbranch_execnz .LBB4_77
; %bb.78:
	s_or_b64 exec, exec, s[4:5]
.LBB4_79:
	s_or_b64 exec, exec, s[6:7]
	v_mov_b32_e32 v0, 0
	ds_read_b64 v[0:1], v0 offset:32
	s_waitcnt lgkmcnt(0)
	v_mul_f64 v[10:11], v[12:13], v[0:1]
.LBB4_80:
	s_or_b64 exec, exec, s[8:9]
	v_mov_b64_e32 v[32:33], v[16:17]
	v_mov_b64_e32 v[30:31], v[14:15]
	;; [unrolled: 1-line block ×8, first 2 shown]
.LBB4_81:
	global_store_dwordx2 v[34:35], v[18:19], off
	global_store_dwordx2 v[36:37], v[20:21], off
	;; [unrolled: 1-line block ×5, first 2 shown]
.LBB4_82:
	s_endpgm
	.section	.rodata,"a",@progbits
	.p2align	6, 0x0
	.amdhsa_kernel _ZN9rocsolver6v33100L18trti2_kernel_smallILi5EdPdEEv13rocblas_fill_17rocblas_diagonal_T1_iil
		.amdhsa_group_segment_fixed_size 88
		.amdhsa_private_segment_fixed_size 0
		.amdhsa_kernarg_size 32
		.amdhsa_user_sgpr_count 2
		.amdhsa_user_sgpr_dispatch_ptr 0
		.amdhsa_user_sgpr_queue_ptr 0
		.amdhsa_user_sgpr_kernarg_segment_ptr 1
		.amdhsa_user_sgpr_dispatch_id 0
		.amdhsa_user_sgpr_kernarg_preload_length 0
		.amdhsa_user_sgpr_kernarg_preload_offset 0
		.amdhsa_user_sgpr_private_segment_size 0
		.amdhsa_uses_dynamic_stack 0
		.amdhsa_enable_private_segment 0
		.amdhsa_system_sgpr_workgroup_id_x 1
		.amdhsa_system_sgpr_workgroup_id_y 0
		.amdhsa_system_sgpr_workgroup_id_z 0
		.amdhsa_system_sgpr_workgroup_info 0
		.amdhsa_system_vgpr_workitem_id 0
		.amdhsa_next_free_vgpr 62
		.amdhsa_next_free_sgpr 18
		.amdhsa_accum_offset 64
		.amdhsa_reserve_vcc 1
		.amdhsa_float_round_mode_32 0
		.amdhsa_float_round_mode_16_64 0
		.amdhsa_float_denorm_mode_32 3
		.amdhsa_float_denorm_mode_16_64 3
		.amdhsa_dx10_clamp 1
		.amdhsa_ieee_mode 1
		.amdhsa_fp16_overflow 0
		.amdhsa_tg_split 0
		.amdhsa_exception_fp_ieee_invalid_op 0
		.amdhsa_exception_fp_denorm_src 0
		.amdhsa_exception_fp_ieee_div_zero 0
		.amdhsa_exception_fp_ieee_overflow 0
		.amdhsa_exception_fp_ieee_underflow 0
		.amdhsa_exception_fp_ieee_inexact 0
		.amdhsa_exception_int_div_zero 0
	.end_amdhsa_kernel
	.section	.text._ZN9rocsolver6v33100L18trti2_kernel_smallILi5EdPdEEv13rocblas_fill_17rocblas_diagonal_T1_iil,"axG",@progbits,_ZN9rocsolver6v33100L18trti2_kernel_smallILi5EdPdEEv13rocblas_fill_17rocblas_diagonal_T1_iil,comdat
.Lfunc_end4:
	.size	_ZN9rocsolver6v33100L18trti2_kernel_smallILi5EdPdEEv13rocblas_fill_17rocblas_diagonal_T1_iil, .Lfunc_end4-_ZN9rocsolver6v33100L18trti2_kernel_smallILi5EdPdEEv13rocblas_fill_17rocblas_diagonal_T1_iil
                                        ; -- End function
	.set _ZN9rocsolver6v33100L18trti2_kernel_smallILi5EdPdEEv13rocblas_fill_17rocblas_diagonal_T1_iil.num_vgpr, 62
	.set _ZN9rocsolver6v33100L18trti2_kernel_smallILi5EdPdEEv13rocblas_fill_17rocblas_diagonal_T1_iil.num_agpr, 0
	.set _ZN9rocsolver6v33100L18trti2_kernel_smallILi5EdPdEEv13rocblas_fill_17rocblas_diagonal_T1_iil.numbered_sgpr, 18
	.set _ZN9rocsolver6v33100L18trti2_kernel_smallILi5EdPdEEv13rocblas_fill_17rocblas_diagonal_T1_iil.num_named_barrier, 0
	.set _ZN9rocsolver6v33100L18trti2_kernel_smallILi5EdPdEEv13rocblas_fill_17rocblas_diagonal_T1_iil.private_seg_size, 0
	.set _ZN9rocsolver6v33100L18trti2_kernel_smallILi5EdPdEEv13rocblas_fill_17rocblas_diagonal_T1_iil.uses_vcc, 1
	.set _ZN9rocsolver6v33100L18trti2_kernel_smallILi5EdPdEEv13rocblas_fill_17rocblas_diagonal_T1_iil.uses_flat_scratch, 0
	.set _ZN9rocsolver6v33100L18trti2_kernel_smallILi5EdPdEEv13rocblas_fill_17rocblas_diagonal_T1_iil.has_dyn_sized_stack, 0
	.set _ZN9rocsolver6v33100L18trti2_kernel_smallILi5EdPdEEv13rocblas_fill_17rocblas_diagonal_T1_iil.has_recursion, 0
	.set _ZN9rocsolver6v33100L18trti2_kernel_smallILi5EdPdEEv13rocblas_fill_17rocblas_diagonal_T1_iil.has_indirect_call, 0
	.section	.AMDGPU.csdata,"",@progbits
; Kernel info:
; codeLenInByte = 4648
; TotalNumSgprs: 24
; NumVgprs: 62
; NumAgprs: 0
; TotalNumVgprs: 62
; ScratchSize: 0
; MemoryBound: 0
; FloatMode: 240
; IeeeMode: 1
; LDSByteSize: 88 bytes/workgroup (compile time only)
; SGPRBlocks: 2
; VGPRBlocks: 7
; NumSGPRsForWavesPerEU: 24
; NumVGPRsForWavesPerEU: 62
; AccumOffset: 64
; Occupancy: 8
; WaveLimiterHint : 0
; COMPUTE_PGM_RSRC2:SCRATCH_EN: 0
; COMPUTE_PGM_RSRC2:USER_SGPR: 2
; COMPUTE_PGM_RSRC2:TRAP_HANDLER: 0
; COMPUTE_PGM_RSRC2:TGID_X_EN: 1
; COMPUTE_PGM_RSRC2:TGID_Y_EN: 0
; COMPUTE_PGM_RSRC2:TGID_Z_EN: 0
; COMPUTE_PGM_RSRC2:TIDIG_COMP_CNT: 0
; COMPUTE_PGM_RSRC3_GFX90A:ACCUM_OFFSET: 15
; COMPUTE_PGM_RSRC3_GFX90A:TG_SPLIT: 0
	.section	.text._ZN9rocsolver6v33100L18trti2_kernel_smallILi6EdPdEEv13rocblas_fill_17rocblas_diagonal_T1_iil,"axG",@progbits,_ZN9rocsolver6v33100L18trti2_kernel_smallILi6EdPdEEv13rocblas_fill_17rocblas_diagonal_T1_iil,comdat
	.globl	_ZN9rocsolver6v33100L18trti2_kernel_smallILi6EdPdEEv13rocblas_fill_17rocblas_diagonal_T1_iil ; -- Begin function _ZN9rocsolver6v33100L18trti2_kernel_smallILi6EdPdEEv13rocblas_fill_17rocblas_diagonal_T1_iil
	.p2align	8
	.type	_ZN9rocsolver6v33100L18trti2_kernel_smallILi6EdPdEEv13rocblas_fill_17rocblas_diagonal_T1_iil,@function
_ZN9rocsolver6v33100L18trti2_kernel_smallILi6EdPdEEv13rocblas_fill_17rocblas_diagonal_T1_iil: ; @_ZN9rocsolver6v33100L18trti2_kernel_smallILi6EdPdEEv13rocblas_fill_17rocblas_diagonal_T1_iil
; %bb.0:
	v_cmp_gt_u32_e32 vcc, 6, v0
	s_and_saveexec_b64 s[4:5], vcc
	s_cbranch_execz .LBB5_108
; %bb.1:
	s_load_dwordx8 s[12:19], s[0:1], 0x0
	s_ashr_i32 s3, s2, 31
	v_mov_b32_e32 v1, 0
	v_lshlrev_b32_e32 v14, 3, v0
	v_mov_b32_e32 v15, v1
	s_waitcnt lgkmcnt(0)
	s_mul_hi_u32 s4, s18, s2
	s_mul_i32 s3, s18, s3
	s_add_i32 s3, s4, s3
	s_mul_i32 s4, s19, s2
	s_add_i32 s3, s3, s4
	s_mul_i32 s2, s18, s2
	s_ashr_i32 s1, s16, 31
	s_lshl_b64 s[2:3], s[2:3], 3
	s_mov_b32 s0, s16
	s_add_u32 s2, s14, s2
	s_addc_u32 s3, s15, s3
	s_lshl_b64 s[0:1], s[0:1], 3
	s_add_u32 s0, s2, s0
	s_addc_u32 s1, s3, s1
	v_lshl_add_u64 v[30:31], s[0:1], 0, v[14:15]
	s_ashr_i32 s3, s17, 31
	s_mov_b32 s2, s17
	v_lshl_add_u64 v[32:33], s[2:3], 3, v[30:31]
	s_add_i32 s2, s17, s17
	v_add_u32_e32 v2, s2, v0
	v_ashrrev_i32_e32 v3, 31, v2
	v_lshl_add_u64 v[34:35], v[2:3], 3, s[0:1]
	v_add_u32_e32 v2, s17, v2
	v_ashrrev_i32_e32 v3, 31, v2
	v_lshl_add_u64 v[36:37], v[2:3], 3, s[0:1]
	;; [unrolled: 3-line block ×3, first 2 shown]
	global_load_dwordx2 v[4:5], v[32:33], off
	global_load_dwordx2 v[6:7], v[34:35], off
	;; [unrolled: 1-line block ×4, first 2 shown]
	v_add_u32_e32 v2, s17, v2
	v_ashrrev_i32_e32 v3, 31, v2
	v_lshl_add_u64 v[40:41], v[2:3], 3, s[0:1]
	global_load_dwordx2 v[2:3], v14, s[0:1]
	global_load_dwordx2 v[12:13], v[40:41], off
	s_cmpk_lg_i32 s13, 0x84
	s_cselect_b64 s[14:15], -1, 0
	s_cmpk_eq_i32 s13, 0x84
	v_mov_b64_e32 v[16:17], -1.0
	s_cbranch_scc1 .LBB5_3
; %bb.2:
	v_cmp_eq_u32_e64 s[0:1], 1, v0
	v_cmp_eq_u32_e64 s[2:3], 2, v0
	;; [unrolled: 1-line block ×3, first 2 shown]
	s_waitcnt vmcnt(1)
	v_cndmask_b32_e64 v15, v3, v5, s[0:1]
	v_cndmask_b32_e64 v15, v15, v7, s[2:3]
	v_cndmask_b32_e64 v15, v15, v9, s[4:5]
	v_cmp_eq_u32_e64 s[6:7], 4, v0
	v_cmp_eq_u32_e64 s[8:9], 5, v0
	s_nop 0
	v_cndmask_b32_e64 v15, v15, v11, s[6:7]
	s_waitcnt vmcnt(0)
	v_cndmask_b32_e64 v17, v15, v13, s[8:9]
	v_cndmask_b32_e64 v15, v2, v4, s[0:1]
	v_cndmask_b32_e64 v15, v15, v6, s[2:3]
	v_cndmask_b32_e64 v15, v15, v8, s[4:5]
	v_cndmask_b32_e64 v15, v15, v10, s[6:7]
	v_cndmask_b32_e64 v16, v15, v12, s[8:9]
	v_div_scale_f64 v[18:19], s[10:11], v[16:17], v[16:17], 1.0
	v_rcp_f64_e32 v[20:21], v[18:19]
	s_nop 0
	v_fma_f64 v[22:23], -v[18:19], v[20:21], 1.0
	v_fmac_f64_e32 v[20:21], v[20:21], v[22:23]
	v_fma_f64 v[22:23], -v[18:19], v[20:21], 1.0
	v_fmac_f64_e32 v[20:21], v[20:21], v[22:23]
	v_div_scale_f64 v[22:23], vcc, 1.0, v[16:17], 1.0
	v_mul_f64 v[24:25], v[22:23], v[20:21]
	v_fma_f64 v[18:19], -v[18:19], v[24:25], v[22:23]
	s_nop 1
	v_div_fmas_f64 v[18:19], v[18:19], v[20:21], v[24:25]
	v_div_fixup_f64 v[16:17], v[18:19], v[16:17], 1.0
	v_cmp_eq_u32_e32 vcc, 0, v0
	v_cndmask_b32_e64 v13, v13, v17, s[8:9]
	v_cndmask_b32_e64 v12, v12, v16, s[8:9]
	;; [unrolled: 1-line block ×10, first 2 shown]
	v_cndmask_b32_e32 v3, v3, v17, vcc
	v_cndmask_b32_e32 v2, v2, v16, vcc
	v_xor_b32_e32 v17, 0x80000000, v17
.LBB5_3:
	s_cmpk_eq_i32 s12, 0x79
	v_add_u32_e32 v45, 48, v14
	ds_write_b64 v14, v[16:17]
	s_cbranch_scc1 .LBB5_7
; %bb.4:
	s_waitcnt vmcnt(0)
	v_mov_b64_e32 v[28:29], v[16:17]
	v_cmp_eq_u32_e64 s[0:1], 5, v0
	v_mov_b64_e32 v[26:27], v[14:15]
	v_mov_b64_e32 v[24:25], v[12:13]
	;; [unrolled: 1-line block ×7, first 2 shown]
	ds_write_b64 v45, v[10:11]
	s_waitcnt lgkmcnt(0)
	; wave barrier
	s_and_saveexec_b64 s[10:11], s[0:1]
	s_cbranch_execz .LBB5_11
; %bb.5:
	s_and_b64 vcc, exec, s[14:15]
	s_cbranch_vccz .LBB5_8
; %bb.6:
	v_cmp_eq_u32_e32 vcc, 1, v0
	v_cmp_eq_u32_e64 s[2:3], 2, v0
	v_cmp_eq_u32_e64 s[4:5], 3, v0
	v_cndmask_b32_e32 v14, v3, v5, vcc
	v_cndmask_b32_e64 v14, v14, v7, s[2:3]
	v_cndmask_b32_e64 v14, v14, v9, s[4:5]
	v_cmp_eq_u32_e64 s[6:7], 4, v0
	v_cmp_eq_u32_e64 s[8:9], 5, v0
	ds_read_b64 v[16:17], v45
	v_cndmask_b32_e64 v14, v14, v11, s[6:7]
	v_cndmask_b32_e64 v15, v14, v13, s[8:9]
	v_cndmask_b32_e32 v14, v2, v4, vcc
	v_cndmask_b32_e64 v14, v14, v6, s[2:3]
	v_cndmask_b32_e64 v14, v14, v8, s[4:5]
	;; [unrolled: 1-line block ×4, first 2 shown]
	s_waitcnt lgkmcnt(0)
	v_mul_f64 v[18:19], v[14:15], v[16:17]
	s_cbranch_execz .LBB5_9
	s_branch .LBB5_10
.LBB5_7:
                                        ; implicit-def: $vgpr14_vgpr15_vgpr16_vgpr17_vgpr18_vgpr19_vgpr20_vgpr21_vgpr22_vgpr23_vgpr24_vgpr25_vgpr26_vgpr27_vgpr28_vgpr29
	s_cbranch_execnz .LBB5_66
	s_branch .LBB5_107
.LBB5_8:
                                        ; implicit-def: $vgpr18_vgpr19
.LBB5_9:
	ds_read_b64 v[18:19], v45
.LBB5_10:
	v_mov_b32_e32 v14, 0
	ds_read_b64 v[20:21], v14 offset:32
	v_mov_b32_e32 v14, v2
	v_mov_b32_e32 v15, v3
	;; [unrolled: 1-line block ×4, first 2 shown]
	s_waitcnt lgkmcnt(0)
	v_mul_f64 v[22:23], v[18:19], v[20:21]
	v_mov_b32_e32 v18, v6
	v_mov_b32_e32 v19, v7
	;; [unrolled: 1-line block ×6, first 2 shown]
.LBB5_11:
	s_or_b64 exec, exec, s[10:11]
	v_cmp_lt_u32_e64 s[2:3], 3, v0
	ds_write_b64 v45, v[20:21]
	s_waitcnt lgkmcnt(0)
	; wave barrier
	s_and_saveexec_b64 s[12:13], s[2:3]
	s_cbranch_execz .LBB5_17
; %bb.12:
	s_andn2_b64 vcc, exec, s[14:15]
	s_cbranch_vccnz .LBB5_14
; %bb.13:
	v_cmp_eq_u32_e32 vcc, 1, v0
	v_cmp_eq_u32_e64 s[4:5], 2, v0
	v_cmp_eq_u32_e64 s[6:7], 3, v0
	v_cndmask_b32_e32 v26, v15, v17, vcc
	v_cndmask_b32_e64 v26, v26, v19, s[4:5]
	v_cndmask_b32_e64 v21, v26, v21, s[6:7]
	v_cndmask_b32_e32 v28, v14, v16, vcc
	ds_read_b64 v[26:27], v45
	v_cndmask_b32_e64 v28, v28, v18, s[4:5]
	v_cmp_eq_u32_e64 s[8:9], 4, v0
	v_cndmask_b32_e64 v20, v28, v20, s[6:7]
	v_cmp_eq_u32_e64 s[10:11], 5, v0
	v_cndmask_b32_e64 v21, v21, v23, s[8:9]
	v_cndmask_b32_e64 v20, v20, v22, s[8:9]
	;; [unrolled: 1-line block ×4, first 2 shown]
	s_waitcnt lgkmcnt(0)
	v_mul_f64 v[20:21], v[20:21], v[26:27]
	s_cbranch_execz .LBB5_15
	s_branch .LBB5_16
.LBB5_14:
                                        ; implicit-def: $vgpr20_vgpr21
.LBB5_15:
	ds_read_b64 v[20:21], v45
.LBB5_16:
	v_mov_b32_e32 v26, 0
	ds_read2_b64 v[26:29], v26 offset0:3 offset1:10
	s_waitcnt lgkmcnt(0)
	v_fma_f64 v[28:29], v[22:23], v[28:29], v[20:21]
	v_cndmask_b32_e64 v21, v21, v29, s[0:1]
	v_cndmask_b32_e64 v20, v20, v28, s[0:1]
	v_mul_f64 v[20:21], v[20:21], v[26:27]
.LBB5_17:
	s_or_b64 exec, exec, s[12:13]
	v_cmp_lt_u32_e64 s[0:1], 2, v0
	ds_write_b64 v45, v[18:19]
	s_waitcnt lgkmcnt(0)
	; wave barrier
	s_and_saveexec_b64 s[12:13], s[0:1]
	s_cbranch_execz .LBB5_33
; %bb.18:
	s_andn2_b64 vcc, exec, s[14:15]
	s_cbranch_vccnz .LBB5_20
; %bb.19:
	v_cmp_eq_u32_e32 vcc, 1, v0
	v_cmp_eq_u32_e64 s[4:5], 2, v0
	v_cmp_eq_u32_e64 s[6:7], 3, v0
	v_cndmask_b32_e32 v42, v15, v17, vcc
	v_cndmask_b32_e64 v42, v42, v19, s[4:5]
	v_cndmask_b32_e64 v42, v42, v21, s[6:7]
	v_cmp_eq_u32_e64 s[8:9], 4, v0
	v_cmp_eq_u32_e64 s[10:11], 5, v0
	ds_read_b64 v[46:47], v45
	v_cndmask_b32_e64 v42, v42, v23, s[8:9]
	v_cndmask_b32_e64 v43, v42, v25, s[10:11]
	v_cndmask_b32_e32 v42, v14, v16, vcc
	v_cndmask_b32_e64 v42, v42, v18, s[4:5]
	v_cndmask_b32_e64 v42, v42, v20, s[6:7]
	;; [unrolled: 1-line block ×4, first 2 shown]
	s_waitcnt lgkmcnt(0)
	v_mul_f64 v[42:43], v[42:43], v[46:47]
	s_cbranch_execz .LBB5_21
	s_branch .LBB5_22
.LBB5_20:
                                        ; implicit-def: $vgpr42_vgpr43
.LBB5_21:
	ds_read_b64 v[42:43], v45
.LBB5_22:
	s_and_saveexec_b64 s[6:7], s[2:3]
	s_cbranch_execz .LBB5_32
; %bb.23:
	v_add_u32_e32 v44, -4, v0
	v_add_u32_e32 v47, -3, v0
	v_cmp_lt_u32_e32 vcc, 6, v44
	v_mov_b32_e32 v46, 3
	s_and_saveexec_b64 s[2:3], vcc
	s_cbranch_execz .LBB5_27
; %bb.24:
	v_and_b32_e32 v44, -8, v47
	v_sub_u32_e32 v44, 0, v44
	s_mov_b64 s[4:5], 10
	s_movk_i32 s10, 0x48
	s_mov_b64 s[8:9], 0
.LBB5_25:                               ; =>This Inner Loop Header: Depth=1
	s_lshl_b32 s11, s4, 1
	s_add_i32 s16, s11, -13
	s_set_gpr_idx_on s16, gpr_idx(SRC0)
	v_mov_b32_e32 v53, v14
	s_set_gpr_idx_off
	s_add_i32 s16, s11, -14
	v_mov_b32_e32 v46, s10
	s_set_gpr_idx_on s16, gpr_idx(SRC0)
	v_mov_b32_e32 v52, v14
	s_set_gpr_idx_off
	ds_read2_b64 v[48:51], v46 offset1:1
	s_add_i32 s16, s11, -11
	s_waitcnt lgkmcnt(0)
	v_fmac_f64_e32 v[42:43], v[52:53], v[48:49]
	s_set_gpr_idx_on s16, gpr_idx(SRC0)
	v_mov_b32_e32 v49, v14
	s_set_gpr_idx_off
	s_add_i32 s16, s11, -12
	s_set_gpr_idx_on s16, gpr_idx(SRC0)
	v_mov_b32_e32 v48, v14
	s_set_gpr_idx_off
	s_add_i32 s16, s11, -9
	v_fmac_f64_e32 v[42:43], v[48:49], v[50:51]
	s_set_gpr_idx_on s16, gpr_idx(SRC0)
	v_mov_b32_e32 v53, v14
	s_set_gpr_idx_off
	s_add_i32 s16, s11, -10
	s_set_gpr_idx_on s16, gpr_idx(SRC0)
	v_mov_b32_e32 v52, v14
	s_set_gpr_idx_off
	ds_read2_b64 v[48:51], v46 offset0:2 offset1:3
	s_add_i32 s16, s11, -7
	s_waitcnt lgkmcnt(0)
	v_fmac_f64_e32 v[42:43], v[52:53], v[48:49]
	s_set_gpr_idx_on s16, gpr_idx(SRC0)
	v_mov_b32_e32 v49, v14
	s_set_gpr_idx_off
	s_add_i32 s16, s11, -8
	s_set_gpr_idx_on s16, gpr_idx(SRC0)
	v_mov_b32_e32 v48, v14
	s_set_gpr_idx_off
	s_add_i32 s16, s11, -5
	v_fmac_f64_e32 v[42:43], v[48:49], v[50:51]
	s_set_gpr_idx_on s16, gpr_idx(SRC0)
	v_mov_b32_e32 v53, v14
	s_set_gpr_idx_off
	s_add_i32 s16, s11, -6
	s_set_gpr_idx_on s16, gpr_idx(SRC0)
	v_mov_b32_e32 v52, v14
	s_set_gpr_idx_off
	ds_read2_b64 v[48:51], v46 offset0:4 offset1:5
	;; [unrolled: 20-line block ×3, first 2 shown]
	s_add_u32 s4, s4, 8
	v_add_u32_e32 v46, s4, v44
	s_addc_u32 s5, s5, 0
	s_add_i32 s10, s10, 64
	s_waitcnt lgkmcnt(0)
	v_fmac_f64_e32 v[42:43], v[52:53], v[48:49]
	s_set_gpr_idx_on s11, gpr_idx(SRC0)
	v_mov_b32_e32 v49, v15
	v_mov_b32_e32 v48, v14
	s_set_gpr_idx_off
	v_cmp_eq_u32_e32 vcc, 10, v46
	s_add_i32 s11, s4, -7
	v_fmac_f64_e32 v[42:43], v[48:49], v[50:51]
	s_or_b64 s[8:9], vcc, s[8:9]
	v_mov_b32_e32 v46, s11
	s_andn2_b64 exec, exec, s[8:9]
	s_cbranch_execnz .LBB5_25
; %bb.26:
	s_or_b64 exec, exec, s[8:9]
.LBB5_27:
	s_or_b64 exec, exec, s[2:3]
	v_and_b32_e32 v26, 7, v47
	v_cmp_ne_u32_e32 vcc, 0, v26
	s_and_saveexec_b64 s[8:9], vcc
	s_cbranch_execz .LBB5_31
; %bb.28:
	v_lshl_add_u32 v27, v46, 3, 48
	v_mov_b32_e32 v47, 0
	s_mov_b64 s[10:11], 0
.LBB5_29:                               ; =>This Inner Loop Header: Depth=1
	v_cmp_eq_u32_e32 vcc, 1, v46
	v_add_u32_e32 v26, -1, v26
	v_cmp_eq_u32_e64 s[2:3], 2, v46
	v_cndmask_b32_e32 v44, v15, v17, vcc
	ds_read_b64 v[28:29], v27
	v_cndmask_b32_e64 v44, v44, v19, s[2:3]
	v_cndmask_b32_e32 v48, v14, v16, vcc
	v_cmp_eq_u32_e32 vcc, 0, v26
	v_cmp_eq_u32_e64 s[4:5], 3, v46
	v_cndmask_b32_e64 v48, v48, v18, s[2:3]
	s_or_b64 s[10:11], vcc, s[10:11]
	v_cndmask_b32_e64 v44, v44, v21, s[4:5]
	v_cmp_eq_u32_e32 vcc, 4, v46
	v_cmp_eq_u32_e64 s[2:3], 5, v46
	v_cndmask_b32_e64 v48, v48, v20, s[4:5]
	v_cndmask_b32_e32 v44, v44, v23, vcc
	v_cndmask_b32_e64 v49, v44, v25, s[2:3]
	v_cndmask_b32_e32 v44, v48, v22, vcc
	v_cndmask_b32_e64 v48, v44, v24, s[2:3]
	v_add_u32_e32 v27, 8, v27
	v_lshl_add_u64 v[46:47], v[46:47], 0, 1
	s_waitcnt lgkmcnt(0)
	v_fmac_f64_e32 v[42:43], v[48:49], v[28:29]
	s_andn2_b64 exec, exec, s[10:11]
	s_cbranch_execnz .LBB5_29
; %bb.30:
	s_or_b64 exec, exec, s[10:11]
.LBB5_31:
	s_or_b64 exec, exec, s[8:9]
.LBB5_32:
	s_or_b64 exec, exec, s[6:7]
	v_mov_b32_e32 v18, 0
	ds_read_b64 v[18:19], v18 offset:16
	s_waitcnt lgkmcnt(0)
	v_mul_f64 v[18:19], v[42:43], v[18:19]
.LBB5_33:
	s_or_b64 exec, exec, s[12:13]
	v_cmp_lt_u32_e64 s[2:3], 1, v0
	ds_write_b64 v45, v[16:17]
	s_waitcnt lgkmcnt(0)
	; wave barrier
	s_and_saveexec_b64 s[12:13], s[2:3]
	s_cbranch_execz .LBB5_49
; %bb.34:
	s_andn2_b64 vcc, exec, s[14:15]
	s_cbranch_vccnz .LBB5_36
; %bb.35:
	v_cmp_eq_u32_e32 vcc, 1, v0
	v_cmp_eq_u32_e64 s[4:5], 2, v0
	v_cmp_eq_u32_e64 s[6:7], 3, v0
	v_cndmask_b32_e32 v42, v15, v17, vcc
	v_cndmask_b32_e64 v42, v42, v19, s[4:5]
	v_cndmask_b32_e64 v42, v42, v21, s[6:7]
	v_cmp_eq_u32_e64 s[8:9], 4, v0
	v_cmp_eq_u32_e64 s[10:11], 5, v0
	ds_read_b64 v[46:47], v45
	v_cndmask_b32_e64 v42, v42, v23, s[8:9]
	v_cndmask_b32_e64 v43, v42, v25, s[10:11]
	v_cndmask_b32_e32 v42, v14, v16, vcc
	v_cndmask_b32_e64 v42, v42, v18, s[4:5]
	v_cndmask_b32_e64 v42, v42, v20, s[6:7]
	;; [unrolled: 1-line block ×4, first 2 shown]
	s_waitcnt lgkmcnt(0)
	v_mul_f64 v[42:43], v[42:43], v[46:47]
	s_cbranch_execz .LBB5_37
	s_branch .LBB5_38
.LBB5_36:
                                        ; implicit-def: $vgpr42_vgpr43
.LBB5_37:
	ds_read_b64 v[42:43], v45
.LBB5_38:
	s_and_saveexec_b64 s[6:7], s[0:1]
	s_cbranch_execz .LBB5_48
; %bb.39:
	v_add_u32_e32 v44, -3, v0
	v_add_u32_e32 v47, -2, v0
	v_cmp_lt_u32_e32 vcc, 6, v44
	v_mov_b32_e32 v46, 2
	s_and_saveexec_b64 s[0:1], vcc
	s_cbranch_execz .LBB5_43
; %bb.40:
	v_and_b32_e32 v44, -8, v47
	v_sub_u32_e32 v44, 0, v44
	s_mov_b64 s[4:5], 9
	s_mov_b32 s10, 64
	s_mov_b64 s[8:9], 0
.LBB5_41:                               ; =>This Inner Loop Header: Depth=1
	s_lshl_b32 s11, s4, 1
	s_add_i32 s16, s11, -13
	s_set_gpr_idx_on s16, gpr_idx(SRC0)
	v_mov_b32_e32 v65, v14
	s_set_gpr_idx_off
	s_add_i32 s16, s11, -14
	v_mov_b32_e32 v46, s10
	s_set_gpr_idx_on s16, gpr_idx(SRC0)
	v_mov_b32_e32 v64, v14
	s_set_gpr_idx_off
	ds_read_b128 v[48:51], v46
	ds_read_b128 v[52:55], v46 offset:16
	ds_read_b128 v[56:59], v46 offset:32
	;; [unrolled: 1-line block ×3, first 2 shown]
	s_add_i32 s16, s11, -11
	s_waitcnt lgkmcnt(3)
	v_fmac_f64_e32 v[42:43], v[64:65], v[48:49]
	s_set_gpr_idx_on s16, gpr_idx(SRC0)
	v_mov_b32_e32 v49, v14
	s_set_gpr_idx_off
	s_add_i32 s16, s11, -12
	s_set_gpr_idx_on s16, gpr_idx(SRC0)
	v_mov_b32_e32 v48, v14
	s_set_gpr_idx_off
	s_add_i32 s16, s11, -9
	v_fmac_f64_e32 v[42:43], v[48:49], v[50:51]
	s_set_gpr_idx_on s16, gpr_idx(SRC0)
	v_mov_b32_e32 v49, v14
	s_set_gpr_idx_off
	s_add_i32 s16, s11, -10
	s_set_gpr_idx_on s16, gpr_idx(SRC0)
	v_mov_b32_e32 v48, v14
	s_set_gpr_idx_off
	s_add_i32 s16, s11, -7
	s_waitcnt lgkmcnt(2)
	v_fmac_f64_e32 v[42:43], v[48:49], v[52:53]
	s_set_gpr_idx_on s16, gpr_idx(SRC0)
	v_mov_b32_e32 v49, v14
	s_set_gpr_idx_off
	s_add_i32 s16, s11, -8
	s_set_gpr_idx_on s16, gpr_idx(SRC0)
	v_mov_b32_e32 v48, v14
	s_set_gpr_idx_off
	s_add_i32 s16, s11, -5
	v_fmac_f64_e32 v[42:43], v[48:49], v[54:55]
	s_set_gpr_idx_on s16, gpr_idx(SRC0)
	v_mov_b32_e32 v49, v14
	s_set_gpr_idx_off
	s_add_i32 s16, s11, -6
	s_set_gpr_idx_on s16, gpr_idx(SRC0)
	v_mov_b32_e32 v48, v14
	s_set_gpr_idx_off
	;; [unrolled: 19-line block ×3, first 2 shown]
	s_add_u32 s4, s4, 8
	s_waitcnt lgkmcnt(0)
	v_fmac_f64_e32 v[42:43], v[48:49], v[60:61]
	s_set_gpr_idx_on s11, gpr_idx(SRC0)
	v_mov_b32_e32 v49, v15
	s_set_gpr_idx_off
	v_add_u32_e32 v46, s4, v44
	s_set_gpr_idx_on s11, gpr_idx(SRC0)
	v_mov_b32_e32 v48, v14
	s_set_gpr_idx_off
	s_addc_u32 s5, s5, 0
	s_add_i32 s10, s10, 64
	v_cmp_eq_u32_e32 vcc, 9, v46
	s_add_i32 s11, s4, -7
	v_fmac_f64_e32 v[42:43], v[48:49], v[62:63]
	s_or_b64 s[8:9], vcc, s[8:9]
	v_mov_b32_e32 v46, s11
	s_andn2_b64 exec, exec, s[8:9]
	s_cbranch_execnz .LBB5_41
; %bb.42:
	s_or_b64 exec, exec, s[8:9]
.LBB5_43:
	s_or_b64 exec, exec, s[0:1]
	v_and_b32_e32 v26, 7, v47
	v_cmp_ne_u32_e32 vcc, 0, v26
	s_and_saveexec_b64 s[8:9], vcc
	s_cbranch_execz .LBB5_47
; %bb.44:
	v_lshl_add_u32 v27, v46, 3, 48
	v_mov_b32_e32 v47, 0
	s_mov_b64 s[10:11], 0
.LBB5_45:                               ; =>This Inner Loop Header: Depth=1
	v_cmp_eq_u32_e32 vcc, 1, v46
	v_add_u32_e32 v26, -1, v26
	v_cmp_eq_u32_e64 s[0:1], 2, v46
	v_cndmask_b32_e32 v44, v15, v17, vcc
	ds_read_b64 v[28:29], v27
	v_cndmask_b32_e64 v44, v44, v19, s[0:1]
	v_cndmask_b32_e32 v48, v14, v16, vcc
	v_cmp_eq_u32_e32 vcc, 0, v26
	v_cmp_eq_u32_e64 s[4:5], 3, v46
	v_cndmask_b32_e64 v48, v48, v18, s[0:1]
	s_or_b64 s[10:11], vcc, s[10:11]
	v_cndmask_b32_e64 v44, v44, v21, s[4:5]
	v_cmp_eq_u32_e32 vcc, 4, v46
	v_cmp_eq_u32_e64 s[0:1], 5, v46
	v_cndmask_b32_e64 v48, v48, v20, s[4:5]
	v_cndmask_b32_e32 v44, v44, v23, vcc
	v_cndmask_b32_e64 v49, v44, v25, s[0:1]
	v_cndmask_b32_e32 v44, v48, v22, vcc
	v_cndmask_b32_e64 v48, v44, v24, s[0:1]
	v_add_u32_e32 v27, 8, v27
	v_lshl_add_u64 v[46:47], v[46:47], 0, 1
	s_waitcnt lgkmcnt(0)
	v_fmac_f64_e32 v[42:43], v[48:49], v[28:29]
	s_andn2_b64 exec, exec, s[10:11]
	s_cbranch_execnz .LBB5_45
; %bb.46:
	s_or_b64 exec, exec, s[10:11]
.LBB5_47:
	s_or_b64 exec, exec, s[8:9]
.LBB5_48:
	s_or_b64 exec, exec, s[6:7]
	v_mov_b32_e32 v16, 0
	ds_read_b64 v[16:17], v16 offset:8
	s_waitcnt lgkmcnt(0)
	v_mul_f64 v[16:17], v[42:43], v[16:17]
.LBB5_49:
	s_or_b64 exec, exec, s[12:13]
	v_cmp_ne_u32_e32 vcc, 0, v0
	ds_write_b64 v45, v[14:15]
	s_waitcnt lgkmcnt(0)
	; wave barrier
	s_and_saveexec_b64 s[10:11], vcc
	s_cbranch_execz .LBB5_65
; %bb.50:
	s_andn2_b64 vcc, exec, s[14:15]
	s_cbranch_vccnz .LBB5_52
; %bb.51:
	v_cmp_eq_u32_e32 vcc, 1, v0
	v_cmp_eq_u32_e64 s[0:1], 2, v0
	v_cmp_eq_u32_e64 s[4:5], 3, v0
	v_cndmask_b32_e32 v42, v15, v17, vcc
	v_cndmask_b32_e64 v42, v42, v19, s[0:1]
	v_cndmask_b32_e64 v42, v42, v21, s[4:5]
	v_cmp_eq_u32_e64 s[6:7], 4, v0
	v_cmp_eq_u32_e64 s[8:9], 5, v0
	ds_read_b64 v[46:47], v45
	v_cndmask_b32_e64 v42, v42, v23, s[6:7]
	v_cndmask_b32_e64 v43, v42, v25, s[8:9]
	v_cndmask_b32_e32 v42, v14, v16, vcc
	v_cndmask_b32_e64 v42, v42, v18, s[0:1]
	v_cndmask_b32_e64 v42, v42, v20, s[4:5]
	;; [unrolled: 1-line block ×4, first 2 shown]
	s_waitcnt lgkmcnt(0)
	v_mul_f64 v[42:43], v[42:43], v[46:47]
	s_cbranch_execz .LBB5_53
	s_branch .LBB5_54
.LBB5_52:
                                        ; implicit-def: $vgpr42_vgpr43
.LBB5_53:
	ds_read_b64 v[42:43], v45
.LBB5_54:
	s_and_saveexec_b64 s[4:5], s[2:3]
	s_cbranch_execz .LBB5_64
; %bb.55:
	v_add_u32_e32 v44, -2, v0
	v_add_u32_e32 v47, -1, v0
	v_cmp_lt_u32_e32 vcc, 6, v44
	v_mov_b32_e32 v46, 1
	s_and_saveexec_b64 s[0:1], vcc
	s_cbranch_execz .LBB5_59
; %bb.56:
	v_and_b32_e32 v44, -8, v47
	v_sub_u32_e32 v44, 0, v44
	s_mov_b64 s[2:3], 8
	s_mov_b32 s8, 56
	s_mov_b64 s[6:7], 0
.LBB5_57:                               ; =>This Inner Loop Header: Depth=1
	s_lshl_b32 s9, s2, 1
	s_add_i32 s12, s9, -13
	v_mov_b32_e32 v62, s8
	s_add_i32 s13, s9, -14
	s_set_gpr_idx_on s12, gpr_idx(SRC0)
	v_mov_b32_e32 v57, v14
	s_set_gpr_idx_off
	s_add_i32 s16, s9, -11
	s_set_gpr_idx_on s13, gpr_idx(SRC0)
	v_mov_b32_e32 v56, v14
	s_set_gpr_idx_off
	ds_read2_b64 v[48:51], v62 offset1:1
	s_add_i32 s17, s9, -12
	s_set_gpr_idx_on s16, gpr_idx(SRC0)
	v_mov_b32_e32 v59, v14
	s_set_gpr_idx_off
	s_add_i32 s18, s9, -9
	s_set_gpr_idx_on s17, gpr_idx(SRC0)
	v_mov_b32_e32 v58, v14
	s_set_gpr_idx_off
	;; [unrolled: 4-line block ×4, first 2 shown]
	ds_read2_b64 v[52:55], v62 offset0:2 offset1:3
	s_add_i32 s21, s9, -8
	s_waitcnt lgkmcnt(1)
	v_fmac_f64_e32 v[42:43], v[56:57], v[48:49]
	s_set_gpr_idx_on s20, gpr_idx(SRC0)
	v_mov_b32_e32 v57, v14
	s_set_gpr_idx_off
	s_add_i32 s22, s9, -5
	v_fmac_f64_e32 v[42:43], v[58:59], v[50:51]
	s_set_gpr_idx_on s21, gpr_idx(SRC0)
	v_mov_b32_e32 v56, v14
	s_set_gpr_idx_off
	s_add_i32 s23, s9, -6
	s_set_gpr_idx_on s22, gpr_idx(SRC0)
	v_mov_b32_e32 v59, v14
	s_set_gpr_idx_off
	s_add_i32 s24, s9, -3
	;; [unrolled: 4-line block ×3, first 2 shown]
	ds_read2_b64 v[48:51], v62 offset0:4 offset1:5
	s_waitcnt lgkmcnt(1)
	v_fmac_f64_e32 v[42:43], v[60:61], v[52:53]
	s_set_gpr_idx_on s24, gpr_idx(SRC0)
	v_mov_b32_e32 v61, v14
	s_set_gpr_idx_off
	s_add_i32 s26, s9, -1
	v_fmac_f64_e32 v[42:43], v[56:57], v[54:55]
	s_set_gpr_idx_on s25, gpr_idx(SRC0)
	v_mov_b32_e32 v60, v14
	s_set_gpr_idx_off
	s_add_i32 s27, s9, -2
	s_set_gpr_idx_on s26, gpr_idx(SRC0)
	v_mov_b32_e32 v57, v14
	s_set_gpr_idx_off
	s_set_gpr_idx_on s27, gpr_idx(SRC0)
	v_mov_b32_e32 v56, v14
	s_set_gpr_idx_off
	ds_read2_b64 v[52:55], v62 offset0:6 offset1:7
	s_add_u32 s2, s2, 8
	s_waitcnt lgkmcnt(1)
	v_fmac_f64_e32 v[42:43], v[58:59], v[48:49]
	s_set_gpr_idx_on s9, gpr_idx(SRC0)
	v_mov_b32_e32 v49, v15
	s_set_gpr_idx_off
	v_add_u32_e32 v46, s2, v44
	v_fmac_f64_e32 v[42:43], v[60:61], v[50:51]
	s_set_gpr_idx_on s9, gpr_idx(SRC0)
	v_mov_b32_e32 v48, v14
	s_set_gpr_idx_off
	s_addc_u32 s3, s3, 0
	s_add_i32 s8, s8, 64
	s_add_i32 s12, s2, -7
	v_cmp_eq_u32_e32 vcc, 8, v46
	s_waitcnt lgkmcnt(0)
	v_fmac_f64_e32 v[42:43], v[56:57], v[52:53]
	v_mov_b32_e32 v46, s12
	s_or_b64 s[6:7], vcc, s[6:7]
	v_fmac_f64_e32 v[42:43], v[48:49], v[54:55]
	s_andn2_b64 exec, exec, s[6:7]
	s_cbranch_execnz .LBB5_57
; %bb.58:
	s_or_b64 exec, exec, s[6:7]
.LBB5_59:
	s_or_b64 exec, exec, s[0:1]
	v_and_b32_e32 v26, 7, v47
	v_cmp_ne_u32_e32 vcc, 0, v26
	s_and_saveexec_b64 s[6:7], vcc
	s_cbranch_execz .LBB5_63
; %bb.60:
	v_lshl_add_u32 v27, v46, 3, 48
	v_mov_b32_e32 v47, 0
	s_mov_b64 s[8:9], 0
.LBB5_61:                               ; =>This Inner Loop Header: Depth=1
	v_cmp_eq_u32_e32 vcc, 1, v46
	v_add_u32_e32 v26, -1, v26
	v_cmp_eq_u32_e64 s[0:1], 2, v46
	v_cndmask_b32_e32 v44, v15, v17, vcc
	ds_read_b64 v[28:29], v27
	v_cndmask_b32_e64 v44, v44, v19, s[0:1]
	v_cndmask_b32_e32 v48, v14, v16, vcc
	v_cmp_eq_u32_e32 vcc, 0, v26
	v_cmp_eq_u32_e64 s[2:3], 3, v46
	v_cndmask_b32_e64 v48, v48, v18, s[0:1]
	s_or_b64 s[8:9], vcc, s[8:9]
	v_cndmask_b32_e64 v44, v44, v21, s[2:3]
	v_cmp_eq_u32_e32 vcc, 4, v46
	v_cmp_eq_u32_e64 s[0:1], 5, v46
	v_cndmask_b32_e64 v48, v48, v20, s[2:3]
	v_cndmask_b32_e32 v44, v44, v23, vcc
	v_cndmask_b32_e64 v49, v44, v25, s[0:1]
	v_cndmask_b32_e32 v44, v48, v22, vcc
	v_cndmask_b32_e64 v48, v44, v24, s[0:1]
	v_add_u32_e32 v27, 8, v27
	v_lshl_add_u64 v[46:47], v[46:47], 0, 1
	s_waitcnt lgkmcnt(0)
	v_fmac_f64_e32 v[42:43], v[48:49], v[28:29]
	s_andn2_b64 exec, exec, s[8:9]
	s_cbranch_execnz .LBB5_61
; %bb.62:
	s_or_b64 exec, exec, s[8:9]
.LBB5_63:
	s_or_b64 exec, exec, s[6:7]
.LBB5_64:
	s_or_b64 exec, exec, s[4:5]
	v_mov_b32_e32 v14, 0
	ds_read_b64 v[14:15], v14
	s_waitcnt lgkmcnt(0)
	v_mul_f64 v[14:15], v[42:43], v[14:15]
.LBB5_65:
	s_or_b64 exec, exec, s[10:11]
	s_branch .LBB5_107
.LBB5_66:
	v_cmp_eq_u32_e64 s[2:3], 0, v0
	s_waitcnt vmcnt(5)
	ds_write_b64 v45, v[4:5]
	s_waitcnt lgkmcnt(0)
	; wave barrier
	s_and_saveexec_b64 s[10:11], s[2:3]
	s_cbranch_execz .LBB5_72
; %bb.67:
	s_and_b64 vcc, exec, s[14:15]
	s_cbranch_vccz .LBB5_69
; %bb.68:
	v_cmp_eq_u32_e32 vcc, 1, v0
	v_cmp_eq_u32_e64 s[0:1], 2, v0
	ds_read_b64 v[14:15], v45
	s_waitcnt vmcnt(1)
	v_cndmask_b32_e32 v5, v3, v5, vcc
	v_cndmask_b32_e32 v4, v2, v4, vcc
	v_cndmask_b32_e64 v5, v5, v7, s[0:1]
	v_cmp_eq_u32_e64 s[4:5], 3, v0
	v_cndmask_b32_e64 v4, v4, v6, s[0:1]
	v_cmp_eq_u32_e64 s[6:7], 4, v0
	v_cndmask_b32_e64 v5, v5, v9, s[4:5]
	v_cndmask_b32_e64 v4, v4, v8, s[4:5]
	v_cndmask_b32_e64 v5, v5, v11, s[6:7]
	v_cmp_eq_u32_e64 s[8:9], 5, v0
	v_cndmask_b32_e64 v4, v4, v10, s[6:7]
	s_waitcnt vmcnt(0)
	v_cndmask_b32_e64 v5, v5, v13, s[8:9]
	v_cndmask_b32_e64 v4, v4, v12, s[8:9]
	s_waitcnt lgkmcnt(0)
	v_mul_f64 v[4:5], v[4:5], v[14:15]
	s_cbranch_execz .LBB5_70
	s_branch .LBB5_71
.LBB5_69:
                                        ; implicit-def: $vgpr4_vgpr5
.LBB5_70:
	ds_read_b64 v[4:5], v45
.LBB5_71:
	v_mov_b32_e32 v14, 0
	ds_read_b64 v[14:15], v14 offset:8
	s_waitcnt lgkmcnt(0)
	v_mul_f64 v[4:5], v[4:5], v[14:15]
.LBB5_72:
	s_or_b64 exec, exec, s[10:11]
	v_cndmask_b32_e64 v14, 0, 1, s[14:15]
	v_cmp_gt_u32_e32 vcc, 2, v0
	v_cmp_ne_u32_e64 s[0:1], 1, v14
	s_waitcnt vmcnt(4)
	ds_write_b64 v45, v[6:7]
	s_waitcnt lgkmcnt(0)
	; wave barrier
	s_and_saveexec_b64 s[12:13], vcc
	s_cbranch_execz .LBB5_78
; %bb.73:
	s_and_b64 vcc, exec, s[0:1]
	s_cbranch_vccnz .LBB5_75
; %bb.74:
	v_cmp_eq_u32_e32 vcc, 1, v0
	v_cmp_eq_u32_e64 s[4:5], 2, v0
	v_cmp_eq_u32_e64 s[6:7], 3, v0
	s_waitcnt vmcnt(1)
	v_cndmask_b32_e32 v14, v3, v5, vcc
	v_cndmask_b32_e64 v7, v14, v7, s[4:5]
	v_cndmask_b32_e32 v16, v2, v4, vcc
	ds_read_b64 v[14:15], v45
	v_cndmask_b32_e64 v6, v16, v6, s[4:5]
	v_cndmask_b32_e64 v7, v7, v9, s[6:7]
	v_cmp_eq_u32_e64 s[8:9], 4, v0
	v_cndmask_b32_e64 v6, v6, v8, s[6:7]
	v_cmp_eq_u32_e64 s[10:11], 5, v0
	v_cndmask_b32_e64 v7, v7, v11, s[8:9]
	v_cndmask_b32_e64 v6, v6, v10, s[8:9]
	s_waitcnt vmcnt(0)
	v_cndmask_b32_e64 v7, v7, v13, s[10:11]
	v_cndmask_b32_e64 v6, v6, v12, s[10:11]
	s_waitcnt lgkmcnt(0)
	v_mul_f64 v[6:7], v[6:7], v[14:15]
	s_cbranch_execz .LBB5_76
	s_branch .LBB5_77
.LBB5_75:
                                        ; implicit-def: $vgpr6_vgpr7
.LBB5_76:
	ds_read_b64 v[6:7], v45
.LBB5_77:
	v_mov_b32_e32 v14, 0
	ds_read2_b64 v[14:17], v14 offset0:2 offset1:7
	s_waitcnt lgkmcnt(0)
	v_fma_f64 v[16:17], v[4:5], v[16:17], v[6:7]
	v_cndmask_b32_e64 v7, v7, v17, s[2:3]
	v_cndmask_b32_e64 v6, v6, v16, s[2:3]
	v_mul_f64 v[6:7], v[6:7], v[14:15]
.LBB5_78:
	s_or_b64 exec, exec, s[12:13]
	v_cmp_gt_u32_e32 vcc, 3, v0
	s_waitcnt vmcnt(3)
	ds_write_b64 v45, v[8:9]
	s_waitcnt lgkmcnt(0)
	; wave barrier
	s_and_saveexec_b64 s[12:13], vcc
	s_cbranch_execz .LBB5_86
; %bb.79:
	s_and_b64 vcc, exec, s[0:1]
	s_cbranch_vccnz .LBB5_81
; %bb.80:
	v_cmp_eq_u32_e32 vcc, 1, v0
	v_cmp_eq_u32_e64 s[4:5], 2, v0
	v_cmp_eq_u32_e64 s[6:7], 3, v0
	s_waitcnt vmcnt(1)
	v_cndmask_b32_e32 v14, v3, v5, vcc
	v_cndmask_b32_e64 v14, v14, v7, s[4:5]
	v_cndmask_b32_e64 v14, v14, v9, s[6:7]
	v_cmp_eq_u32_e64 s[8:9], 4, v0
	v_cmp_eq_u32_e64 s[10:11], 5, v0
	ds_read_b64 v[16:17], v45
	v_cndmask_b32_e64 v14, v14, v11, s[8:9]
	s_waitcnt vmcnt(0)
	v_cndmask_b32_e64 v15, v14, v13, s[10:11]
	v_cndmask_b32_e32 v14, v2, v4, vcc
	v_cndmask_b32_e64 v14, v14, v6, s[4:5]
	v_cndmask_b32_e64 v14, v14, v8, s[6:7]
	v_cndmask_b32_e64 v14, v14, v10, s[8:9]
	v_cndmask_b32_e64 v14, v14, v12, s[10:11]
	s_waitcnt lgkmcnt(0)
	v_mul_f64 v[14:15], v[14:15], v[16:17]
	s_cbranch_execz .LBB5_82
	s_branch .LBB5_83
.LBB5_81:
                                        ; implicit-def: $vgpr14_vgpr15
.LBB5_82:
	ds_read_b64 v[14:15], v45
.LBB5_83:
	v_cmp_ne_u32_e32 vcc, 2, v0
	s_and_saveexec_b64 s[14:15], vcc
	s_cbranch_execz .LBB5_85
; %bb.84:
	v_add_u32_e32 v16, 1, v0
	v_cmp_eq_u32_e32 vcc, 1, v16
	v_cmp_eq_u32_e64 s[4:5], 2, v16
	v_cmp_eq_u32_e64 s[6:7], 3, v16
	s_waitcnt vmcnt(1)
	v_cndmask_b32_e32 v17, v3, v5, vcc
	v_cndmask_b32_e64 v17, v17, v7, s[4:5]
	v_cmp_eq_u32_e64 s[8:9], 4, v16
	v_cmp_eq_u32_e64 s[10:11], 5, v16
	v_cndmask_b32_e32 v16, v2, v4, vcc
	v_mov_b32_e32 v18, 0
	v_cndmask_b32_e64 v9, v17, v9, s[6:7]
	v_cndmask_b32_e64 v20, v16, v6, s[4:5]
	ds_read_b64 v[16:17], v45 offset:8
	ds_read_b64 v[18:19], v18 offset:64
	v_cndmask_b32_e64 v8, v20, v8, s[6:7]
	v_cndmask_b32_e64 v9, v9, v11, s[8:9]
	v_cndmask_b32_e64 v8, v8, v10, s[8:9]
	s_waitcnt vmcnt(0)
	v_cndmask_b32_e64 v9, v9, v13, s[10:11]
	v_cndmask_b32_e64 v8, v8, v12, s[10:11]
	s_waitcnt lgkmcnt(1)
	v_fmac_f64_e32 v[14:15], v[8:9], v[16:17]
	s_waitcnt lgkmcnt(0)
	v_fma_f64 v[8:9], v[6:7], v[18:19], v[14:15]
	v_cndmask_b32_e64 v15, v15, v9, s[2:3]
	v_cndmask_b32_e64 v14, v14, v8, s[2:3]
.LBB5_85:
	s_or_b64 exec, exec, s[14:15]
	v_mov_b32_e32 v8, 0
	ds_read_b64 v[8:9], v8 offset:24
	s_waitcnt lgkmcnt(0)
	v_mul_f64 v[8:9], v[14:15], v[8:9]
.LBB5_86:
	s_or_b64 exec, exec, s[12:13]
	v_cmp_gt_u32_e64 s[2:3], 4, v0
	s_waitcnt vmcnt(2)
	ds_write_b64 v45, v[10:11]
	s_waitcnt lgkmcnt(0)
	; wave barrier
	s_and_saveexec_b64 s[12:13], s[2:3]
	s_cbranch_execz .LBB5_96
; %bb.87:
	s_and_b64 vcc, exec, s[0:1]
	s_cbranch_vccnz .LBB5_89
; %bb.88:
	v_cmp_eq_u32_e32 vcc, 1, v0
	v_cmp_eq_u32_e64 s[4:5], 2, v0
	v_cmp_eq_u32_e64 s[6:7], 3, v0
	s_waitcnt vmcnt(1)
	v_cndmask_b32_e32 v14, v3, v5, vcc
	v_cndmask_b32_e64 v14, v14, v7, s[4:5]
	v_cndmask_b32_e64 v14, v14, v9, s[6:7]
	v_cmp_eq_u32_e64 s[8:9], 4, v0
	v_cmp_eq_u32_e64 s[10:11], 5, v0
	ds_read_b64 v[16:17], v45
	v_cndmask_b32_e64 v14, v14, v11, s[8:9]
	s_waitcnt vmcnt(0)
	v_cndmask_b32_e64 v15, v14, v13, s[10:11]
	v_cndmask_b32_e32 v14, v2, v4, vcc
	v_cndmask_b32_e64 v14, v14, v6, s[4:5]
	v_cndmask_b32_e64 v14, v14, v8, s[6:7]
	;; [unrolled: 1-line block ×4, first 2 shown]
	s_waitcnt lgkmcnt(0)
	v_mul_f64 v[14:15], v[14:15], v[16:17]
	s_cbranch_execz .LBB5_90
	s_branch .LBB5_91
.LBB5_89:
                                        ; implicit-def: $vgpr14_vgpr15
.LBB5_90:
	ds_read_b64 v[14:15], v45
.LBB5_91:
	v_cmp_ne_u32_e32 vcc, 3, v0
	s_and_saveexec_b64 s[8:9], vcc
	s_cbranch_execz .LBB5_95
; %bb.92:
	v_lshl_add_u32 v18, v0, 3, 56
	s_mov_b64 s[10:11], 0
	v_mov_b64_e32 v[16:17], v[0:1]
.LBB5_93:                               ; =>This Inner Loop Header: Depth=1
	v_lshl_add_u64 v[16:17], v[16:17], 0, 1
	v_cmp_eq_u32_e32 vcc, 1, v16
	v_cmp_eq_u32_e64 s[6:7], 2, v16
	ds_read_b64 v[20:21], v18
	s_waitcnt vmcnt(1)
	v_cndmask_b32_e32 v19, v3, v5, vcc
	v_cmp_lt_u32_e64 s[4:5], 2, v16
	v_cndmask_b32_e64 v19, v19, v7, s[6:7]
	v_cndmask_b32_e32 v22, v2, v4, vcc
	v_cmp_eq_u32_e32 vcc, 3, v16
	s_or_b64 s[10:11], s[4:5], s[10:11]
	v_cndmask_b32_e64 v22, v22, v6, s[6:7]
	v_cndmask_b32_e32 v19, v19, v9, vcc
	v_cmp_eq_u32_e64 s[4:5], 4, v16
	v_cndmask_b32_e32 v22, v22, v8, vcc
	v_cmp_eq_u32_e32 vcc, 5, v16
	v_cndmask_b32_e64 v19, v19, v11, s[4:5]
	v_add_u32_e32 v18, 8, v18
	s_waitcnt vmcnt(0)
	v_cndmask_b32_e32 v23, v19, v13, vcc
	v_cndmask_b32_e64 v19, v22, v10, s[4:5]
	v_cndmask_b32_e32 v22, v19, v12, vcc
	s_waitcnt lgkmcnt(0)
	v_fmac_f64_e32 v[14:15], v[22:23], v[20:21]
	s_andn2_b64 exec, exec, s[10:11]
	s_cbranch_execnz .LBB5_93
; %bb.94:
	s_or_b64 exec, exec, s[10:11]
.LBB5_95:
	s_or_b64 exec, exec, s[8:9]
	v_mov_b32_e32 v10, 0
	ds_read_b64 v[10:11], v10 offset:32
	s_waitcnt lgkmcnt(0)
	v_mul_f64 v[10:11], v[14:15], v[10:11]
.LBB5_96:
	s_or_b64 exec, exec, s[12:13]
	v_cmp_ne_u32_e32 vcc, 5, v0
	s_waitcnt vmcnt(0)
	ds_write_b64 v45, v[12:13]
	s_waitcnt lgkmcnt(0)
	; wave barrier
	s_and_saveexec_b64 s[10:11], vcc
	s_cbranch_execz .LBB5_106
; %bb.97:
	s_and_b64 vcc, exec, s[0:1]
	s_cbranch_vccnz .LBB5_99
; %bb.98:
	v_cmp_eq_u32_e32 vcc, 1, v0
	v_cmp_eq_u32_e64 s[0:1], 2, v0
	v_cmp_eq_u32_e64 s[4:5], 3, v0
	v_cndmask_b32_e32 v14, v3, v5, vcc
	v_cndmask_b32_e64 v14, v14, v7, s[0:1]
	v_cndmask_b32_e64 v14, v14, v9, s[4:5]
	v_cmp_eq_u32_e64 s[6:7], 4, v0
	v_cmp_eq_u32_e64 s[8:9], 5, v0
	ds_read_b64 v[16:17], v45
	v_cndmask_b32_e64 v14, v14, v11, s[6:7]
	v_cndmask_b32_e64 v15, v14, v13, s[8:9]
	v_cndmask_b32_e32 v14, v2, v4, vcc
	v_cndmask_b32_e64 v14, v14, v6, s[0:1]
	v_cndmask_b32_e64 v14, v14, v8, s[4:5]
	;; [unrolled: 1-line block ×4, first 2 shown]
	s_waitcnt lgkmcnt(0)
	v_mul_f64 v[14:15], v[14:15], v[16:17]
	s_cbranch_execz .LBB5_100
	s_branch .LBB5_101
.LBB5_99:
                                        ; implicit-def: $vgpr14_vgpr15
.LBB5_100:
	ds_read_b64 v[14:15], v45
.LBB5_101:
	s_and_saveexec_b64 s[4:5], s[2:3]
	s_cbranch_execz .LBB5_105
; %bb.102:
	v_lshl_add_u32 v16, v0, 3, 56
	s_mov_b64 s[6:7], 0
.LBB5_103:                              ; =>This Inner Loop Header: Depth=1
	v_lshl_add_u64 v[0:1], v[0:1], 0, 1
	v_cmp_eq_u32_e32 vcc, 1, v0
	v_cmp_eq_u32_e64 s[2:3], 2, v0
	ds_read_b64 v[18:19], v16
	v_cndmask_b32_e32 v17, v3, v5, vcc
	v_cmp_lt_u32_e64 s[0:1], 3, v0
	v_cndmask_b32_e64 v17, v17, v7, s[2:3]
	v_cndmask_b32_e32 v20, v2, v4, vcc
	v_cmp_eq_u32_e32 vcc, 3, v0
	s_or_b64 s[6:7], s[0:1], s[6:7]
	v_cndmask_b32_e64 v20, v20, v6, s[2:3]
	v_cndmask_b32_e32 v17, v17, v9, vcc
	v_cmp_eq_u32_e64 s[0:1], 4, v0
	v_cndmask_b32_e32 v20, v20, v8, vcc
	v_cmp_eq_u32_e32 vcc, 5, v0
	v_cndmask_b32_e64 v17, v17, v11, s[0:1]
	v_add_u32_e32 v16, 8, v16
	v_cndmask_b32_e32 v21, v17, v13, vcc
	v_cndmask_b32_e64 v17, v20, v10, s[0:1]
	v_cndmask_b32_e32 v20, v17, v12, vcc
	s_waitcnt lgkmcnt(0)
	v_fmac_f64_e32 v[14:15], v[20:21], v[18:19]
	s_andn2_b64 exec, exec, s[6:7]
	s_cbranch_execnz .LBB5_103
; %bb.104:
	s_or_b64 exec, exec, s[6:7]
.LBB5_105:
	s_or_b64 exec, exec, s[4:5]
	v_mov_b32_e32 v0, 0
	ds_read_b64 v[0:1], v0 offset:40
	s_waitcnt lgkmcnt(0)
	v_mul_f64 v[12:13], v[14:15], v[0:1]
.LBB5_106:
	s_or_b64 exec, exec, s[10:11]
	v_mov_b64_e32 v[28:29], v[16:17]
	v_mov_b64_e32 v[26:27], v[14:15]
	;; [unrolled: 1-line block ×8, first 2 shown]
.LBB5_107:
	global_store_dwordx2 v[30:31], v[14:15], off
	global_store_dwordx2 v[32:33], v[16:17], off
	;; [unrolled: 1-line block ×6, first 2 shown]
.LBB5_108:
	s_endpgm
	.section	.rodata,"a",@progbits
	.p2align	6, 0x0
	.amdhsa_kernel _ZN9rocsolver6v33100L18trti2_kernel_smallILi6EdPdEEv13rocblas_fill_17rocblas_diagonal_T1_iil
		.amdhsa_group_segment_fixed_size 96
		.amdhsa_private_segment_fixed_size 0
		.amdhsa_kernarg_size 32
		.amdhsa_user_sgpr_count 2
		.amdhsa_user_sgpr_dispatch_ptr 0
		.amdhsa_user_sgpr_queue_ptr 0
		.amdhsa_user_sgpr_kernarg_segment_ptr 1
		.amdhsa_user_sgpr_dispatch_id 0
		.amdhsa_user_sgpr_kernarg_preload_length 0
		.amdhsa_user_sgpr_kernarg_preload_offset 0
		.amdhsa_user_sgpr_private_segment_size 0
		.amdhsa_uses_dynamic_stack 0
		.amdhsa_enable_private_segment 0
		.amdhsa_system_sgpr_workgroup_id_x 1
		.amdhsa_system_sgpr_workgroup_id_y 0
		.amdhsa_system_sgpr_workgroup_id_z 0
		.amdhsa_system_sgpr_workgroup_info 0
		.amdhsa_system_vgpr_workitem_id 0
		.amdhsa_next_free_vgpr 66
		.amdhsa_next_free_sgpr 28
		.amdhsa_accum_offset 68
		.amdhsa_reserve_vcc 1
		.amdhsa_float_round_mode_32 0
		.amdhsa_float_round_mode_16_64 0
		.amdhsa_float_denorm_mode_32 3
		.amdhsa_float_denorm_mode_16_64 3
		.amdhsa_dx10_clamp 1
		.amdhsa_ieee_mode 1
		.amdhsa_fp16_overflow 0
		.amdhsa_tg_split 0
		.amdhsa_exception_fp_ieee_invalid_op 0
		.amdhsa_exception_fp_denorm_src 0
		.amdhsa_exception_fp_ieee_div_zero 0
		.amdhsa_exception_fp_ieee_overflow 0
		.amdhsa_exception_fp_ieee_underflow 0
		.amdhsa_exception_fp_ieee_inexact 0
		.amdhsa_exception_int_div_zero 0
	.end_amdhsa_kernel
	.section	.text._ZN9rocsolver6v33100L18trti2_kernel_smallILi6EdPdEEv13rocblas_fill_17rocblas_diagonal_T1_iil,"axG",@progbits,_ZN9rocsolver6v33100L18trti2_kernel_smallILi6EdPdEEv13rocblas_fill_17rocblas_diagonal_T1_iil,comdat
.Lfunc_end5:
	.size	_ZN9rocsolver6v33100L18trti2_kernel_smallILi6EdPdEEv13rocblas_fill_17rocblas_diagonal_T1_iil, .Lfunc_end5-_ZN9rocsolver6v33100L18trti2_kernel_smallILi6EdPdEEv13rocblas_fill_17rocblas_diagonal_T1_iil
                                        ; -- End function
	.set _ZN9rocsolver6v33100L18trti2_kernel_smallILi6EdPdEEv13rocblas_fill_17rocblas_diagonal_T1_iil.num_vgpr, 66
	.set _ZN9rocsolver6v33100L18trti2_kernel_smallILi6EdPdEEv13rocblas_fill_17rocblas_diagonal_T1_iil.num_agpr, 0
	.set _ZN9rocsolver6v33100L18trti2_kernel_smallILi6EdPdEEv13rocblas_fill_17rocblas_diagonal_T1_iil.numbered_sgpr, 28
	.set _ZN9rocsolver6v33100L18trti2_kernel_smallILi6EdPdEEv13rocblas_fill_17rocblas_diagonal_T1_iil.num_named_barrier, 0
	.set _ZN9rocsolver6v33100L18trti2_kernel_smallILi6EdPdEEv13rocblas_fill_17rocblas_diagonal_T1_iil.private_seg_size, 0
	.set _ZN9rocsolver6v33100L18trti2_kernel_smallILi6EdPdEEv13rocblas_fill_17rocblas_diagonal_T1_iil.uses_vcc, 1
	.set _ZN9rocsolver6v33100L18trti2_kernel_smallILi6EdPdEEv13rocblas_fill_17rocblas_diagonal_T1_iil.uses_flat_scratch, 0
	.set _ZN9rocsolver6v33100L18trti2_kernel_smallILi6EdPdEEv13rocblas_fill_17rocblas_diagonal_T1_iil.has_dyn_sized_stack, 0
	.set _ZN9rocsolver6v33100L18trti2_kernel_smallILi6EdPdEEv13rocblas_fill_17rocblas_diagonal_T1_iil.has_recursion, 0
	.set _ZN9rocsolver6v33100L18trti2_kernel_smallILi6EdPdEEv13rocblas_fill_17rocblas_diagonal_T1_iil.has_indirect_call, 0
	.section	.AMDGPU.csdata,"",@progbits
; Kernel info:
; codeLenInByte = 5336
; TotalNumSgprs: 34
; NumVgprs: 66
; NumAgprs: 0
; TotalNumVgprs: 66
; ScratchSize: 0
; MemoryBound: 0
; FloatMode: 240
; IeeeMode: 1
; LDSByteSize: 96 bytes/workgroup (compile time only)
; SGPRBlocks: 4
; VGPRBlocks: 8
; NumSGPRsForWavesPerEU: 34
; NumVGPRsForWavesPerEU: 66
; AccumOffset: 68
; Occupancy: 7
; WaveLimiterHint : 0
; COMPUTE_PGM_RSRC2:SCRATCH_EN: 0
; COMPUTE_PGM_RSRC2:USER_SGPR: 2
; COMPUTE_PGM_RSRC2:TRAP_HANDLER: 0
; COMPUTE_PGM_RSRC2:TGID_X_EN: 1
; COMPUTE_PGM_RSRC2:TGID_Y_EN: 0
; COMPUTE_PGM_RSRC2:TGID_Z_EN: 0
; COMPUTE_PGM_RSRC2:TIDIG_COMP_CNT: 0
; COMPUTE_PGM_RSRC3_GFX90A:ACCUM_OFFSET: 16
; COMPUTE_PGM_RSRC3_GFX90A:TG_SPLIT: 0
	.section	.text._ZN9rocsolver6v33100L18trti2_kernel_smallILi7EdPdEEv13rocblas_fill_17rocblas_diagonal_T1_iil,"axG",@progbits,_ZN9rocsolver6v33100L18trti2_kernel_smallILi7EdPdEEv13rocblas_fill_17rocblas_diagonal_T1_iil,comdat
	.globl	_ZN9rocsolver6v33100L18trti2_kernel_smallILi7EdPdEEv13rocblas_fill_17rocblas_diagonal_T1_iil ; -- Begin function _ZN9rocsolver6v33100L18trti2_kernel_smallILi7EdPdEEv13rocblas_fill_17rocblas_diagonal_T1_iil
	.p2align	8
	.type	_ZN9rocsolver6v33100L18trti2_kernel_smallILi7EdPdEEv13rocblas_fill_17rocblas_diagonal_T1_iil,@function
_ZN9rocsolver6v33100L18trti2_kernel_smallILi7EdPdEEv13rocblas_fill_17rocblas_diagonal_T1_iil: ; @_ZN9rocsolver6v33100L18trti2_kernel_smallILi7EdPdEEv13rocblas_fill_17rocblas_diagonal_T1_iil
; %bb.0:
	v_cmp_gt_u32_e32 vcc, 7, v0
	s_and_saveexec_b64 s[4:5], vcc
	s_cbranch_execz .LBB6_134
; %bb.1:
	s_load_dwordx8 s[12:19], s[0:1], 0x0
	s_ashr_i32 s3, s2, 31
	v_mov_b32_e32 v1, 0
	v_lshlrev_b32_e32 v16, 3, v0
	v_mov_b32_e32 v17, v1
	s_waitcnt lgkmcnt(0)
	s_mul_hi_u32 s4, s18, s2
	s_mul_i32 s3, s18, s3
	s_add_i32 s3, s4, s3
	s_mul_i32 s4, s19, s2
	s_add_i32 s3, s3, s4
	s_mul_i32 s2, s18, s2
	s_ashr_i32 s1, s16, 31
	s_lshl_b64 s[2:3], s[2:3], 3
	s_mov_b32 s0, s16
	s_add_u32 s2, s14, s2
	s_addc_u32 s3, s15, s3
	s_lshl_b64 s[0:1], s[0:1], 3
	s_add_u32 s0, s2, s0
	s_addc_u32 s1, s3, s1
	v_lshl_add_u64 v[32:33], s[0:1], 0, v[16:17]
	s_ashr_i32 s3, s17, 31
	s_mov_b32 s2, s17
	v_lshl_add_u64 v[34:35], s[2:3], 3, v[32:33]
	s_add_i32 s2, s17, s17
	v_add_u32_e32 v2, s2, v0
	v_ashrrev_i32_e32 v3, 31, v2
	v_lshl_add_u64 v[36:37], v[2:3], 3, s[0:1]
	v_add_u32_e32 v2, s17, v2
	v_ashrrev_i32_e32 v3, 31, v2
	v_lshl_add_u64 v[38:39], v[2:3], 3, s[0:1]
	;; [unrolled: 3-line block ×4, first 2 shown]
	v_add_u32_e32 v2, s17, v2
	global_load_dwordx2 v[4:5], v[34:35], off
	global_load_dwordx2 v[6:7], v[36:37], off
	;; [unrolled: 1-line block ×4, first 2 shown]
	v_ashrrev_i32_e32 v3, 31, v2
	v_lshl_add_u64 v[44:45], v[2:3], 3, s[0:1]
	global_load_dwordx2 v[2:3], v16, s[0:1]
	global_load_dwordx2 v[12:13], v[42:43], off
	global_load_dwordx2 v[14:15], v[44:45], off
	s_cmpk_lg_i32 s13, 0x84
	s_cselect_b64 s[14:15], -1, 0
	s_cmpk_eq_i32 s13, 0x84
	v_mov_b64_e32 v[18:19], -1.0
	s_cbranch_scc1 .LBB6_3
; %bb.2:
	v_cmp_eq_u32_e64 s[0:1], 1, v0
	v_cmp_eq_u32_e64 s[2:3], 2, v0
	;; [unrolled: 1-line block ×3, first 2 shown]
	s_waitcnt vmcnt(2)
	v_cndmask_b32_e64 v17, v3, v5, s[0:1]
	v_cndmask_b32_e64 v17, v17, v7, s[2:3]
	;; [unrolled: 1-line block ×3, first 2 shown]
	v_cmp_eq_u32_e64 s[6:7], 4, v0
	v_cmp_eq_u32_e64 s[8:9], 5, v0
	;; [unrolled: 1-line block ×3, first 2 shown]
	v_cndmask_b32_e64 v17, v17, v11, s[6:7]
	s_waitcnt vmcnt(1)
	v_cndmask_b32_e64 v17, v17, v13, s[8:9]
	s_waitcnt vmcnt(0)
	v_cndmask_b32_e64 v19, v17, v15, s[10:11]
	v_cndmask_b32_e64 v17, v2, v4, s[0:1]
	;; [unrolled: 1-line block ×7, first 2 shown]
	v_div_scale_f64 v[20:21], s[16:17], v[18:19], v[18:19], 1.0
	v_rcp_f64_e32 v[22:23], v[20:21]
	s_nop 0
	v_fma_f64 v[24:25], -v[20:21], v[22:23], 1.0
	v_fmac_f64_e32 v[22:23], v[22:23], v[24:25]
	v_fma_f64 v[24:25], -v[20:21], v[22:23], 1.0
	v_fmac_f64_e32 v[22:23], v[22:23], v[24:25]
	v_div_scale_f64 v[24:25], vcc, 1.0, v[18:19], 1.0
	v_mul_f64 v[26:27], v[24:25], v[22:23]
	v_fma_f64 v[20:21], -v[20:21], v[26:27], v[24:25]
	s_nop 1
	v_div_fmas_f64 v[20:21], v[20:21], v[22:23], v[26:27]
	v_div_fixup_f64 v[18:19], v[20:21], v[18:19], 1.0
	v_cmp_eq_u32_e32 vcc, 0, v0
	v_cndmask_b32_e64 v15, v15, v19, s[10:11]
	v_cndmask_b32_e64 v14, v14, v18, s[10:11]
	;; [unrolled: 1-line block ×12, first 2 shown]
	v_cndmask_b32_e32 v3, v3, v19, vcc
	v_cndmask_b32_e32 v2, v2, v18, vcc
	v_xor_b32_e32 v19, 0x80000000, v19
.LBB6_3:
	s_cmpk_eq_i32 s12, 0x79
	v_add_u32_e32 v49, 64, v16
	ds_write_b64 v16, v[18:19]
	s_cbranch_scc1 .LBB6_7
; %bb.4:
	s_waitcnt vmcnt(0)
	v_mov_b64_e32 v[30:31], v[16:17]
	v_cmp_eq_u32_e64 s[0:1], 6, v0
	v_mov_b64_e32 v[28:29], v[14:15]
	v_mov_b64_e32 v[26:27], v[12:13]
	;; [unrolled: 1-line block ×7, first 2 shown]
	ds_write_b64 v49, v[12:13]
	s_waitcnt lgkmcnt(0)
	; wave barrier
	s_and_saveexec_b64 s[12:13], s[0:1]
	s_cbranch_execz .LBB6_11
; %bb.5:
	s_and_b64 vcc, exec, s[14:15]
	s_cbranch_vccz .LBB6_8
; %bb.6:
	v_cmp_eq_u32_e32 vcc, 1, v0
	v_cmp_eq_u32_e64 s[2:3], 2, v0
	v_cmp_eq_u32_e64 s[4:5], 3, v0
	v_cndmask_b32_e32 v16, v3, v5, vcc
	v_cndmask_b32_e64 v16, v16, v7, s[2:3]
	v_cndmask_b32_e64 v16, v16, v9, s[4:5]
	v_cmp_eq_u32_e64 s[6:7], 4, v0
	v_cmp_eq_u32_e64 s[8:9], 5, v0
	;; [unrolled: 1-line block ×3, first 2 shown]
	v_cndmask_b32_e64 v16, v16, v11, s[6:7]
	v_cndmask_b32_e64 v16, v16, v13, s[8:9]
	;; [unrolled: 1-line block ×3, first 2 shown]
	v_cndmask_b32_e32 v16, v2, v4, vcc
	v_cndmask_b32_e64 v16, v16, v6, s[2:3]
	ds_read_b64 v[18:19], v49
	v_cndmask_b32_e64 v16, v16, v8, s[4:5]
	v_cndmask_b32_e64 v16, v16, v10, s[6:7]
	;; [unrolled: 1-line block ×4, first 2 shown]
	s_waitcnt lgkmcnt(0)
	v_mul_f64 v[20:21], v[16:17], v[18:19]
	s_cbranch_execz .LBB6_9
	s_branch .LBB6_10
.LBB6_7:
                                        ; implicit-def: $vgpr16_vgpr17_vgpr18_vgpr19_vgpr20_vgpr21_vgpr22_vgpr23_vgpr24_vgpr25_vgpr26_vgpr27_vgpr28_vgpr29_vgpr30_vgpr31
	s_cbranch_execnz .LBB6_82
	s_branch .LBB6_133
.LBB6_8:
                                        ; implicit-def: $vgpr20_vgpr21
.LBB6_9:
	ds_read_b64 v[20:21], v49
.LBB6_10:
	v_mov_b32_e32 v16, 0
	ds_read_b64 v[22:23], v16 offset:40
	v_mov_b32_e32 v16, v2
	v_mov_b32_e32 v17, v3
	;; [unrolled: 1-line block ×4, first 2 shown]
	s_waitcnt lgkmcnt(0)
	v_mul_f64 v[26:27], v[20:21], v[22:23]
	v_mov_b32_e32 v20, v6
	v_mov_b32_e32 v21, v7
	v_mov_b32_e32 v22, v8
	v_mov_b32_e32 v23, v9
	v_mov_b32_e32 v24, v10
	v_mov_b32_e32 v25, v11
	v_mov_b32_e32 v28, v14
	v_mov_b32_e32 v29, v15
.LBB6_11:
	s_or_b64 exec, exec, s[12:13]
	v_cmp_lt_u32_e64 s[2:3], 4, v0
	ds_write_b64 v49, v[24:25]
	s_waitcnt lgkmcnt(0)
	; wave barrier
	s_and_saveexec_b64 s[16:17], s[2:3]
	s_cbranch_execz .LBB6_17
; %bb.12:
	s_andn2_b64 vcc, exec, s[14:15]
	s_cbranch_vccnz .LBB6_14
; %bb.13:
	v_cmp_eq_u32_e32 vcc, 1, v0
	v_cmp_eq_u32_e64 s[4:5], 2, v0
	v_cmp_eq_u32_e64 s[6:7], 3, v0
	v_cndmask_b32_e32 v30, v17, v19, vcc
	v_cndmask_b32_e64 v30, v30, v21, s[4:5]
	v_cndmask_b32_e64 v30, v30, v23, s[6:7]
	v_cmp_eq_u32_e64 s[8:9], 4, v0
	v_cmp_eq_u32_e64 s[10:11], 5, v0
	;; [unrolled: 1-line block ×3, first 2 shown]
	v_cndmask_b32_e64 v25, v30, v25, s[8:9]
	v_cndmask_b32_e32 v30, v16, v18, vcc
	v_cndmask_b32_e64 v46, v30, v20, s[4:5]
	ds_read_b64 v[30:31], v49
	v_cndmask_b32_e64 v46, v46, v22, s[6:7]
	v_cndmask_b32_e64 v24, v46, v24, s[8:9]
	v_cndmask_b32_e64 v25, v25, v27, s[10:11]
	v_cndmask_b32_e64 v24, v24, v26, s[10:11]
	v_cndmask_b32_e64 v25, v25, v29, s[12:13]
	v_cndmask_b32_e64 v24, v24, v28, s[12:13]
	s_waitcnt lgkmcnt(0)
	v_mul_f64 v[24:25], v[24:25], v[30:31]
	s_cbranch_execz .LBB6_15
	s_branch .LBB6_16
.LBB6_14:
                                        ; implicit-def: $vgpr24_vgpr25
.LBB6_15:
	ds_read_b64 v[24:25], v49
.LBB6_16:
	v_mov_b32_e32 v30, 0
	ds_read2_b64 v[50:53], v30 offset0:4 offset1:13
	s_waitcnt lgkmcnt(0)
	v_fma_f64 v[30:31], v[26:27], v[52:53], v[24:25]
	v_cndmask_b32_e64 v25, v25, v31, s[0:1]
	v_cndmask_b32_e64 v24, v24, v30, s[0:1]
	v_mul_f64 v[24:25], v[24:25], v[50:51]
.LBB6_17:
	s_or_b64 exec, exec, s[16:17]
	v_cmp_lt_u32_e64 s[0:1], 3, v0
	ds_write_b64 v49, v[22:23]
	s_waitcnt lgkmcnt(0)
	; wave barrier
	s_and_saveexec_b64 s[16:17], s[0:1]
	s_cbranch_execz .LBB6_33
; %bb.18:
	s_andn2_b64 vcc, exec, s[14:15]
	s_cbranch_vccnz .LBB6_20
; %bb.19:
	v_cmp_eq_u32_e32 vcc, 1, v0
	v_cmp_eq_u32_e64 s[4:5], 2, v0
	v_cmp_eq_u32_e64 s[6:7], 3, v0
	v_cndmask_b32_e32 v46, v17, v19, vcc
	v_cndmask_b32_e64 v46, v46, v21, s[4:5]
	v_cndmask_b32_e64 v46, v46, v23, s[6:7]
	v_cmp_eq_u32_e64 s[8:9], 4, v0
	v_cmp_eq_u32_e64 s[10:11], 5, v0
	;; [unrolled: 1-line block ×3, first 2 shown]
	v_cndmask_b32_e64 v46, v46, v25, s[8:9]
	v_cndmask_b32_e64 v46, v46, v27, s[10:11]
	;; [unrolled: 1-line block ×3, first 2 shown]
	v_cndmask_b32_e32 v46, v16, v18, vcc
	v_cndmask_b32_e64 v46, v46, v20, s[4:5]
	ds_read_b64 v[50:51], v49
	v_cndmask_b32_e64 v46, v46, v22, s[6:7]
	v_cndmask_b32_e64 v46, v46, v24, s[8:9]
	;; [unrolled: 1-line block ×4, first 2 shown]
	s_waitcnt lgkmcnt(0)
	v_mul_f64 v[46:47], v[46:47], v[50:51]
	s_cbranch_execz .LBB6_21
	s_branch .LBB6_22
.LBB6_20:
                                        ; implicit-def: $vgpr46_vgpr47
.LBB6_21:
	ds_read_b64 v[46:47], v49
.LBB6_22:
	s_and_saveexec_b64 s[6:7], s[2:3]
	s_cbranch_execz .LBB6_32
; %bb.23:
	v_add_u32_e32 v48, -5, v0
	v_add_u32_e32 v51, -4, v0
	v_cmp_lt_u32_e32 vcc, 6, v48
	v_mov_b32_e32 v50, 4
	s_and_saveexec_b64 s[2:3], vcc
	s_cbranch_execz .LBB6_27
; %bb.24:
	v_and_b32_e32 v48, -8, v51
	v_sub_u32_e32 v48, 0, v48
	s_mov_b64 s[4:5], 5
	s_movk_i32 s10, 0x60
	s_mov_b64 s[8:9], 0
.LBB6_25:                               ; =>This Inner Loop Header: Depth=1
	s_lshl_b32 s11, s4, 1
	s_add_i32 s12, s11, -1
	s_set_gpr_idx_on s12, gpr_idx(SRC0)
	v_mov_b32_e32 v69, v16
	s_set_gpr_idx_off
	s_add_i32 s12, s11, -2
	v_mov_b32_e32 v50, s10
	s_set_gpr_idx_on s12, gpr_idx(SRC0)
	v_mov_b32_e32 v68, v16
	s_set_gpr_idx_off
	ds_read_b128 v[52:55], v50
	ds_read_b128 v[56:59], v50 offset:16
	ds_read_b128 v[60:63], v50 offset:32
	;; [unrolled: 1-line block ×3, first 2 shown]
	s_add_i32 s12, s11, 3
	s_waitcnt lgkmcnt(3)
	v_fmac_f64_e32 v[46:47], v[68:69], v[52:53]
	s_set_gpr_idx_on s11, gpr_idx(SRC0)
	v_mov_b32_e32 v53, v17
	v_mov_b32_e32 v52, v16
	s_set_gpr_idx_off
	v_fmac_f64_e32 v[46:47], v[52:53], v[54:55]
	s_set_gpr_idx_on s12, gpr_idx(SRC0)
	v_mov_b32_e32 v53, v16
	s_set_gpr_idx_off
	s_add_i32 s12, s11, 2
	s_set_gpr_idx_on s12, gpr_idx(SRC0)
	v_mov_b32_e32 v52, v16
	s_set_gpr_idx_off
	s_add_i32 s12, s11, 5
	s_waitcnt lgkmcnt(2)
	v_fmac_f64_e32 v[46:47], v[52:53], v[56:57]
	s_set_gpr_idx_on s12, gpr_idx(SRC0)
	v_mov_b32_e32 v53, v16
	s_set_gpr_idx_off
	s_add_i32 s12, s11, 4
	s_set_gpr_idx_on s12, gpr_idx(SRC0)
	v_mov_b32_e32 v52, v16
	s_set_gpr_idx_off
	s_add_i32 s12, s11, 7
	v_fmac_f64_e32 v[46:47], v[52:53], v[58:59]
	s_set_gpr_idx_on s12, gpr_idx(SRC0)
	v_mov_b32_e32 v53, v16
	s_set_gpr_idx_off
	s_add_i32 s12, s11, 6
	s_set_gpr_idx_on s12, gpr_idx(SRC0)
	v_mov_b32_e32 v52, v16
	s_set_gpr_idx_off
	s_add_i32 s12, s11, 9
	s_waitcnt lgkmcnt(1)
	v_fmac_f64_e32 v[46:47], v[52:53], v[60:61]
	s_set_gpr_idx_on s12, gpr_idx(SRC0)
	v_mov_b32_e32 v53, v16
	s_set_gpr_idx_off
	s_add_i32 s12, s11, 8
	s_set_gpr_idx_on s12, gpr_idx(SRC0)
	v_mov_b32_e32 v52, v16
	s_set_gpr_idx_off
	s_add_i32 s12, s11, 11
	v_fmac_f64_e32 v[46:47], v[52:53], v[62:63]
	s_set_gpr_idx_on s12, gpr_idx(SRC0)
	v_mov_b32_e32 v53, v16
	s_set_gpr_idx_off
	s_add_i32 s12, s11, 10
	s_set_gpr_idx_on s12, gpr_idx(SRC0)
	v_mov_b32_e32 v52, v16
	s_set_gpr_idx_off
	s_add_i32 s12, s11, 13
	s_add_i32 s11, s11, 12
	s_add_u32 s4, s4, 8
	s_waitcnt lgkmcnt(0)
	v_fmac_f64_e32 v[46:47], v[52:53], v[64:65]
	s_set_gpr_idx_on s12, gpr_idx(SRC0)
	v_mov_b32_e32 v53, v16
	s_set_gpr_idx_off
	v_add_u32_e32 v50, s4, v48
	s_set_gpr_idx_on s11, gpr_idx(SRC0)
	v_mov_b32_e32 v52, v16
	s_set_gpr_idx_off
	s_addc_u32 s5, s5, 0
	s_add_i32 s10, s10, 64
	v_cmp_eq_u32_e32 vcc, 5, v50
	s_add_i32 s11, s4, -1
	v_fmac_f64_e32 v[46:47], v[52:53], v[66:67]
	s_or_b64 s[8:9], vcc, s[8:9]
	v_mov_b32_e32 v50, s11
	s_andn2_b64 exec, exec, s[8:9]
	s_cbranch_execnz .LBB6_25
; %bb.26:
	s_or_b64 exec, exec, s[8:9]
.LBB6_27:
	s_or_b64 exec, exec, s[2:3]
	v_and_b32_e32 v30, 7, v51
	v_cmp_ne_u32_e32 vcc, 0, v30
	s_and_saveexec_b64 s[8:9], vcc
	s_cbranch_execz .LBB6_31
; %bb.28:
	v_lshl_add_u32 v31, v50, 3, 64
	v_mov_b32_e32 v51, 0
	s_mov_b64 s[10:11], 0
.LBB6_29:                               ; =>This Inner Loop Header: Depth=1
	v_cmp_eq_u32_e32 vcc, 1, v50
	v_add_u32_e32 v30, -1, v30
	v_cmp_eq_u32_e64 s[2:3], 2, v50
	v_cndmask_b32_e32 v48, v17, v19, vcc
	v_cndmask_b32_e32 v54, v16, v18, vcc
	v_cndmask_b32_e64 v48, v48, v21, s[2:3]
	v_cmp_eq_u32_e32 vcc, 0, v30
	v_cmp_eq_u32_e64 s[4:5], 3, v50
	ds_read_b64 v[52:53], v31
	v_cndmask_b32_e64 v54, v54, v20, s[2:3]
	v_cndmask_b32_e64 v48, v48, v23, s[4:5]
	s_or_b64 s[10:11], vcc, s[10:11]
	v_cmp_eq_u32_e32 vcc, 4, v50
	v_cndmask_b32_e64 v54, v54, v22, s[4:5]
	v_cmp_eq_u32_e64 s[2:3], 5, v50
	v_cndmask_b32_e32 v48, v48, v25, vcc
	v_cmp_eq_u32_e64 s[4:5], 6, v50
	v_cndmask_b32_e64 v48, v48, v27, s[2:3]
	v_cndmask_b32_e32 v54, v54, v24, vcc
	v_cndmask_b32_e64 v55, v48, v29, s[4:5]
	v_cndmask_b32_e64 v48, v54, v26, s[2:3]
	v_cndmask_b32_e64 v54, v48, v28, s[4:5]
	v_add_u32_e32 v31, 8, v31
	v_lshl_add_u64 v[50:51], v[50:51], 0, 1
	s_waitcnt lgkmcnt(0)
	v_fmac_f64_e32 v[46:47], v[54:55], v[52:53]
	s_andn2_b64 exec, exec, s[10:11]
	s_cbranch_execnz .LBB6_29
; %bb.30:
	s_or_b64 exec, exec, s[10:11]
.LBB6_31:
	s_or_b64 exec, exec, s[8:9]
.LBB6_32:
	s_or_b64 exec, exec, s[6:7]
	v_mov_b32_e32 v22, 0
	ds_read_b64 v[22:23], v22 offset:24
	s_waitcnt lgkmcnt(0)
	v_mul_f64 v[22:23], v[46:47], v[22:23]
.LBB6_33:
	s_or_b64 exec, exec, s[16:17]
	v_cmp_lt_u32_e64 s[2:3], 2, v0
	ds_write_b64 v49, v[20:21]
	s_waitcnt lgkmcnt(0)
	; wave barrier
	s_and_saveexec_b64 s[16:17], s[2:3]
	s_cbranch_execz .LBB6_49
; %bb.34:
	s_andn2_b64 vcc, exec, s[14:15]
	s_cbranch_vccnz .LBB6_36
; %bb.35:
	v_cmp_eq_u32_e32 vcc, 1, v0
	v_cmp_eq_u32_e64 s[4:5], 2, v0
	v_cmp_eq_u32_e64 s[6:7], 3, v0
	v_cndmask_b32_e32 v46, v17, v19, vcc
	v_cndmask_b32_e64 v46, v46, v21, s[4:5]
	v_cndmask_b32_e64 v46, v46, v23, s[6:7]
	v_cmp_eq_u32_e64 s[8:9], 4, v0
	v_cmp_eq_u32_e64 s[10:11], 5, v0
	;; [unrolled: 1-line block ×3, first 2 shown]
	v_cndmask_b32_e64 v46, v46, v25, s[8:9]
	v_cndmask_b32_e64 v46, v46, v27, s[10:11]
	;; [unrolled: 1-line block ×3, first 2 shown]
	v_cndmask_b32_e32 v46, v16, v18, vcc
	v_cndmask_b32_e64 v46, v46, v20, s[4:5]
	ds_read_b64 v[50:51], v49
	v_cndmask_b32_e64 v46, v46, v22, s[6:7]
	v_cndmask_b32_e64 v46, v46, v24, s[8:9]
	;; [unrolled: 1-line block ×4, first 2 shown]
	s_waitcnt lgkmcnt(0)
	v_mul_f64 v[46:47], v[46:47], v[50:51]
	s_cbranch_execz .LBB6_37
	s_branch .LBB6_38
.LBB6_36:
                                        ; implicit-def: $vgpr46_vgpr47
.LBB6_37:
	ds_read_b64 v[46:47], v49
.LBB6_38:
	s_and_saveexec_b64 s[6:7], s[0:1]
	s_cbranch_execz .LBB6_48
; %bb.39:
	v_add_u32_e32 v48, -4, v0
	v_add_u32_e32 v51, -3, v0
	v_cmp_lt_u32_e32 vcc, 6, v48
	v_mov_b32_e32 v50, 3
	s_and_saveexec_b64 s[0:1], vcc
	s_cbranch_execz .LBB6_43
; %bb.40:
	v_and_b32_e32 v48, -8, v51
	v_sub_u32_e32 v48, 0, v48
	s_mov_b64 s[4:5], 10
	s_movk_i32 s10, 0x58
	s_mov_b64 s[8:9], 0
.LBB6_41:                               ; =>This Inner Loop Header: Depth=1
	s_lshl_b32 s11, s4, 1
	s_add_i32 s12, s11, -13
	v_mov_b32_e32 v66, s10
	s_add_i32 s13, s11, -14
	s_set_gpr_idx_on s12, gpr_idx(SRC0)
	v_mov_b32_e32 v61, v16
	s_set_gpr_idx_off
	s_add_i32 s18, s11, -11
	s_set_gpr_idx_on s13, gpr_idx(SRC0)
	v_mov_b32_e32 v60, v16
	s_set_gpr_idx_off
	ds_read2_b64 v[52:55], v66 offset1:1
	s_add_i32 s19, s11, -12
	s_set_gpr_idx_on s18, gpr_idx(SRC0)
	v_mov_b32_e32 v63, v16
	s_set_gpr_idx_off
	s_add_i32 s20, s11, -9
	s_set_gpr_idx_on s19, gpr_idx(SRC0)
	v_mov_b32_e32 v62, v16
	s_set_gpr_idx_off
	;; [unrolled: 4-line block ×4, first 2 shown]
	ds_read2_b64 v[56:59], v66 offset0:2 offset1:3
	s_add_i32 s23, s11, -8
	s_waitcnt lgkmcnt(1)
	v_fmac_f64_e32 v[46:47], v[60:61], v[52:53]
	s_set_gpr_idx_on s22, gpr_idx(SRC0)
	v_mov_b32_e32 v61, v16
	s_set_gpr_idx_off
	s_add_i32 s24, s11, -5
	v_fmac_f64_e32 v[46:47], v[62:63], v[54:55]
	s_set_gpr_idx_on s23, gpr_idx(SRC0)
	v_mov_b32_e32 v60, v16
	s_set_gpr_idx_off
	s_add_i32 s25, s11, -6
	s_set_gpr_idx_on s24, gpr_idx(SRC0)
	v_mov_b32_e32 v63, v16
	s_set_gpr_idx_off
	s_add_i32 s26, s11, -3
	;; [unrolled: 4-line block ×3, first 2 shown]
	ds_read2_b64 v[52:55], v66 offset0:4 offset1:5
	s_waitcnt lgkmcnt(1)
	v_fmac_f64_e32 v[46:47], v[64:65], v[56:57]
	s_set_gpr_idx_on s26, gpr_idx(SRC0)
	v_mov_b32_e32 v65, v16
	s_set_gpr_idx_off
	s_add_i32 s28, s11, -1
	v_fmac_f64_e32 v[46:47], v[60:61], v[58:59]
	s_set_gpr_idx_on s27, gpr_idx(SRC0)
	v_mov_b32_e32 v64, v16
	s_set_gpr_idx_off
	s_add_i32 s29, s11, -2
	s_set_gpr_idx_on s28, gpr_idx(SRC0)
	v_mov_b32_e32 v61, v16
	s_set_gpr_idx_off
	s_set_gpr_idx_on s29, gpr_idx(SRC0)
	v_mov_b32_e32 v60, v16
	s_set_gpr_idx_off
	ds_read2_b64 v[56:59], v66 offset0:6 offset1:7
	s_add_u32 s4, s4, 8
	s_waitcnt lgkmcnt(1)
	v_fmac_f64_e32 v[46:47], v[62:63], v[52:53]
	s_set_gpr_idx_on s11, gpr_idx(SRC0)
	v_mov_b32_e32 v53, v17
	s_set_gpr_idx_off
	v_add_u32_e32 v50, s4, v48
	v_fmac_f64_e32 v[46:47], v[64:65], v[54:55]
	s_set_gpr_idx_on s11, gpr_idx(SRC0)
	v_mov_b32_e32 v52, v16
	s_set_gpr_idx_off
	s_addc_u32 s5, s5, 0
	s_add_i32 s10, s10, 64
	s_add_i32 s12, s4, -7
	v_cmp_eq_u32_e32 vcc, 10, v50
	s_waitcnt lgkmcnt(0)
	v_fmac_f64_e32 v[46:47], v[60:61], v[56:57]
	v_mov_b32_e32 v50, s12
	s_or_b64 s[8:9], vcc, s[8:9]
	v_fmac_f64_e32 v[46:47], v[52:53], v[58:59]
	s_andn2_b64 exec, exec, s[8:9]
	s_cbranch_execnz .LBB6_41
; %bb.42:
	s_or_b64 exec, exec, s[8:9]
.LBB6_43:
	s_or_b64 exec, exec, s[0:1]
	v_and_b32_e32 v30, 7, v51
	v_cmp_ne_u32_e32 vcc, 0, v30
	s_and_saveexec_b64 s[8:9], vcc
	s_cbranch_execz .LBB6_47
; %bb.44:
	v_lshl_add_u32 v31, v50, 3, 64
	v_mov_b32_e32 v51, 0
	s_mov_b64 s[10:11], 0
.LBB6_45:                               ; =>This Inner Loop Header: Depth=1
	v_cmp_eq_u32_e32 vcc, 1, v50
	v_add_u32_e32 v30, -1, v30
	v_cmp_eq_u32_e64 s[0:1], 2, v50
	v_cndmask_b32_e32 v48, v17, v19, vcc
	v_cndmask_b32_e32 v54, v16, v18, vcc
	v_cndmask_b32_e64 v48, v48, v21, s[0:1]
	v_cmp_eq_u32_e32 vcc, 0, v30
	v_cmp_eq_u32_e64 s[4:5], 3, v50
	ds_read_b64 v[52:53], v31
	v_cndmask_b32_e64 v54, v54, v20, s[0:1]
	v_cndmask_b32_e64 v48, v48, v23, s[4:5]
	s_or_b64 s[10:11], vcc, s[10:11]
	v_cmp_eq_u32_e32 vcc, 4, v50
	v_cndmask_b32_e64 v54, v54, v22, s[4:5]
	v_cmp_eq_u32_e64 s[0:1], 5, v50
	v_cndmask_b32_e32 v48, v48, v25, vcc
	v_cmp_eq_u32_e64 s[4:5], 6, v50
	v_cndmask_b32_e64 v48, v48, v27, s[0:1]
	v_cndmask_b32_e32 v54, v54, v24, vcc
	v_cndmask_b32_e64 v55, v48, v29, s[4:5]
	v_cndmask_b32_e64 v48, v54, v26, s[0:1]
	;; [unrolled: 1-line block ×3, first 2 shown]
	v_add_u32_e32 v31, 8, v31
	v_lshl_add_u64 v[50:51], v[50:51], 0, 1
	s_waitcnt lgkmcnt(0)
	v_fmac_f64_e32 v[46:47], v[54:55], v[52:53]
	s_andn2_b64 exec, exec, s[10:11]
	s_cbranch_execnz .LBB6_45
; %bb.46:
	s_or_b64 exec, exec, s[10:11]
.LBB6_47:
	s_or_b64 exec, exec, s[8:9]
.LBB6_48:
	s_or_b64 exec, exec, s[6:7]
	v_mov_b32_e32 v20, 0
	ds_read_b64 v[20:21], v20 offset:16
	s_waitcnt lgkmcnt(0)
	v_mul_f64 v[20:21], v[46:47], v[20:21]
.LBB6_49:
	s_or_b64 exec, exec, s[16:17]
	v_cmp_lt_u32_e64 s[0:1], 1, v0
	ds_write_b64 v49, v[18:19]
	s_waitcnt lgkmcnt(0)
	; wave barrier
	s_and_saveexec_b64 s[16:17], s[0:1]
	s_cbranch_execz .LBB6_65
; %bb.50:
	s_andn2_b64 vcc, exec, s[14:15]
	s_cbranch_vccnz .LBB6_52
; %bb.51:
	v_cmp_eq_u32_e32 vcc, 1, v0
	v_cmp_eq_u32_e64 s[4:5], 2, v0
	v_cmp_eq_u32_e64 s[6:7], 3, v0
	v_cndmask_b32_e32 v46, v17, v19, vcc
	v_cndmask_b32_e64 v46, v46, v21, s[4:5]
	v_cndmask_b32_e64 v46, v46, v23, s[6:7]
	v_cmp_eq_u32_e64 s[8:9], 4, v0
	v_cmp_eq_u32_e64 s[10:11], 5, v0
	;; [unrolled: 1-line block ×3, first 2 shown]
	v_cndmask_b32_e64 v46, v46, v25, s[8:9]
	v_cndmask_b32_e64 v46, v46, v27, s[10:11]
	;; [unrolled: 1-line block ×3, first 2 shown]
	v_cndmask_b32_e32 v46, v16, v18, vcc
	v_cndmask_b32_e64 v46, v46, v20, s[4:5]
	ds_read_b64 v[50:51], v49
	v_cndmask_b32_e64 v46, v46, v22, s[6:7]
	v_cndmask_b32_e64 v46, v46, v24, s[8:9]
	;; [unrolled: 1-line block ×4, first 2 shown]
	s_waitcnt lgkmcnt(0)
	v_mul_f64 v[46:47], v[46:47], v[50:51]
	s_cbranch_execz .LBB6_53
	s_branch .LBB6_54
.LBB6_52:
                                        ; implicit-def: $vgpr46_vgpr47
.LBB6_53:
	ds_read_b64 v[46:47], v49
.LBB6_54:
	s_and_saveexec_b64 s[6:7], s[2:3]
	s_cbranch_execz .LBB6_64
; %bb.55:
	v_add_u32_e32 v48, -3, v0
	v_add_u32_e32 v51, -2, v0
	v_cmp_lt_u32_e32 vcc, 6, v48
	v_mov_b32_e32 v50, 2
	s_and_saveexec_b64 s[2:3], vcc
	s_cbranch_execz .LBB6_59
; %bb.56:
	v_and_b32_e32 v48, -8, v51
	v_sub_u32_e32 v48, 0, v48
	s_mov_b64 s[4:5], 9
	s_movk_i32 s10, 0x50
	s_mov_b64 s[8:9], 0
.LBB6_57:                               ; =>This Inner Loop Header: Depth=1
	s_lshl_b32 s11, s4, 1
	s_add_i32 s12, s11, -13
	s_set_gpr_idx_on s12, gpr_idx(SRC0)
	v_mov_b32_e32 v69, v16
	s_set_gpr_idx_off
	s_add_i32 s12, s11, -14
	v_mov_b32_e32 v50, s10
	s_set_gpr_idx_on s12, gpr_idx(SRC0)
	v_mov_b32_e32 v68, v16
	s_set_gpr_idx_off
	ds_read_b128 v[52:55], v50
	ds_read_b128 v[56:59], v50 offset:16
	ds_read_b128 v[60:63], v50 offset:32
	;; [unrolled: 1-line block ×3, first 2 shown]
	s_add_i32 s12, s11, -11
	s_waitcnt lgkmcnt(3)
	v_fmac_f64_e32 v[46:47], v[68:69], v[52:53]
	s_set_gpr_idx_on s12, gpr_idx(SRC0)
	v_mov_b32_e32 v53, v16
	s_set_gpr_idx_off
	s_add_i32 s12, s11, -12
	s_set_gpr_idx_on s12, gpr_idx(SRC0)
	v_mov_b32_e32 v52, v16
	s_set_gpr_idx_off
	s_add_i32 s12, s11, -9
	v_fmac_f64_e32 v[46:47], v[52:53], v[54:55]
	s_set_gpr_idx_on s12, gpr_idx(SRC0)
	v_mov_b32_e32 v53, v16
	s_set_gpr_idx_off
	s_add_i32 s12, s11, -10
	s_set_gpr_idx_on s12, gpr_idx(SRC0)
	v_mov_b32_e32 v52, v16
	s_set_gpr_idx_off
	s_add_i32 s12, s11, -7
	s_waitcnt lgkmcnt(2)
	v_fmac_f64_e32 v[46:47], v[52:53], v[56:57]
	s_set_gpr_idx_on s12, gpr_idx(SRC0)
	v_mov_b32_e32 v53, v16
	s_set_gpr_idx_off
	s_add_i32 s12, s11, -8
	s_set_gpr_idx_on s12, gpr_idx(SRC0)
	v_mov_b32_e32 v52, v16
	s_set_gpr_idx_off
	s_add_i32 s12, s11, -5
	v_fmac_f64_e32 v[46:47], v[52:53], v[58:59]
	s_set_gpr_idx_on s12, gpr_idx(SRC0)
	v_mov_b32_e32 v53, v16
	s_set_gpr_idx_off
	s_add_i32 s12, s11, -6
	s_set_gpr_idx_on s12, gpr_idx(SRC0)
	v_mov_b32_e32 v52, v16
	s_set_gpr_idx_off
	;; [unrolled: 19-line block ×3, first 2 shown]
	s_add_u32 s4, s4, 8
	s_waitcnt lgkmcnt(0)
	v_fmac_f64_e32 v[46:47], v[52:53], v[64:65]
	s_set_gpr_idx_on s11, gpr_idx(SRC0)
	v_mov_b32_e32 v53, v17
	s_set_gpr_idx_off
	v_add_u32_e32 v50, s4, v48
	s_set_gpr_idx_on s11, gpr_idx(SRC0)
	v_mov_b32_e32 v52, v16
	s_set_gpr_idx_off
	s_addc_u32 s5, s5, 0
	s_add_i32 s10, s10, 64
	v_cmp_eq_u32_e32 vcc, 9, v50
	s_add_i32 s11, s4, -7
	v_fmac_f64_e32 v[46:47], v[52:53], v[66:67]
	s_or_b64 s[8:9], vcc, s[8:9]
	v_mov_b32_e32 v50, s11
	s_andn2_b64 exec, exec, s[8:9]
	s_cbranch_execnz .LBB6_57
; %bb.58:
	s_or_b64 exec, exec, s[8:9]
.LBB6_59:
	s_or_b64 exec, exec, s[2:3]
	v_and_b32_e32 v30, 7, v51
	v_cmp_ne_u32_e32 vcc, 0, v30
	s_and_saveexec_b64 s[8:9], vcc
	s_cbranch_execz .LBB6_63
; %bb.60:
	v_lshl_add_u32 v31, v50, 3, 64
	v_mov_b32_e32 v51, 0
	s_mov_b64 s[10:11], 0
.LBB6_61:                               ; =>This Inner Loop Header: Depth=1
	v_cmp_eq_u32_e32 vcc, 1, v50
	v_add_u32_e32 v30, -1, v30
	v_cmp_eq_u32_e64 s[2:3], 2, v50
	v_cndmask_b32_e32 v48, v17, v19, vcc
	v_cndmask_b32_e32 v54, v16, v18, vcc
	v_cndmask_b32_e64 v48, v48, v21, s[2:3]
	v_cmp_eq_u32_e32 vcc, 0, v30
	v_cmp_eq_u32_e64 s[4:5], 3, v50
	ds_read_b64 v[52:53], v31
	v_cndmask_b32_e64 v54, v54, v20, s[2:3]
	v_cndmask_b32_e64 v48, v48, v23, s[4:5]
	s_or_b64 s[10:11], vcc, s[10:11]
	v_cmp_eq_u32_e32 vcc, 4, v50
	v_cndmask_b32_e64 v54, v54, v22, s[4:5]
	v_cmp_eq_u32_e64 s[2:3], 5, v50
	v_cndmask_b32_e32 v48, v48, v25, vcc
	v_cmp_eq_u32_e64 s[4:5], 6, v50
	v_cndmask_b32_e64 v48, v48, v27, s[2:3]
	v_cndmask_b32_e32 v54, v54, v24, vcc
	v_cndmask_b32_e64 v55, v48, v29, s[4:5]
	v_cndmask_b32_e64 v48, v54, v26, s[2:3]
	;; [unrolled: 1-line block ×3, first 2 shown]
	v_add_u32_e32 v31, 8, v31
	v_lshl_add_u64 v[50:51], v[50:51], 0, 1
	s_waitcnt lgkmcnt(0)
	v_fmac_f64_e32 v[46:47], v[54:55], v[52:53]
	s_andn2_b64 exec, exec, s[10:11]
	s_cbranch_execnz .LBB6_61
; %bb.62:
	s_or_b64 exec, exec, s[10:11]
.LBB6_63:
	s_or_b64 exec, exec, s[8:9]
.LBB6_64:
	s_or_b64 exec, exec, s[6:7]
	v_mov_b32_e32 v18, 0
	ds_read_b64 v[18:19], v18 offset:8
	s_waitcnt lgkmcnt(0)
	v_mul_f64 v[18:19], v[46:47], v[18:19]
.LBB6_65:
	s_or_b64 exec, exec, s[16:17]
	v_cmp_ne_u32_e32 vcc, 0, v0
	ds_write_b64 v49, v[16:17]
	s_waitcnt lgkmcnt(0)
	; wave barrier
	s_and_saveexec_b64 s[12:13], vcc
	s_cbranch_execz .LBB6_81
; %bb.66:
	s_andn2_b64 vcc, exec, s[14:15]
	s_cbranch_vccnz .LBB6_68
; %bb.67:
	v_cmp_eq_u32_e32 vcc, 1, v0
	v_cmp_eq_u32_e64 s[2:3], 2, v0
	v_cmp_eq_u32_e64 s[4:5], 3, v0
	v_cndmask_b32_e32 v46, v17, v19, vcc
	v_cndmask_b32_e64 v46, v46, v21, s[2:3]
	v_cndmask_b32_e64 v46, v46, v23, s[4:5]
	v_cmp_eq_u32_e64 s[6:7], 4, v0
	v_cmp_eq_u32_e64 s[8:9], 5, v0
	;; [unrolled: 1-line block ×3, first 2 shown]
	v_cndmask_b32_e64 v46, v46, v25, s[6:7]
	v_cndmask_b32_e64 v46, v46, v27, s[8:9]
	;; [unrolled: 1-line block ×3, first 2 shown]
	v_cndmask_b32_e32 v46, v16, v18, vcc
	v_cndmask_b32_e64 v46, v46, v20, s[2:3]
	ds_read_b64 v[50:51], v49
	v_cndmask_b32_e64 v46, v46, v22, s[4:5]
	v_cndmask_b32_e64 v46, v46, v24, s[6:7]
	;; [unrolled: 1-line block ×4, first 2 shown]
	s_waitcnt lgkmcnt(0)
	v_mul_f64 v[46:47], v[46:47], v[50:51]
	s_cbranch_execz .LBB6_69
	s_branch .LBB6_70
.LBB6_68:
                                        ; implicit-def: $vgpr46_vgpr47
.LBB6_69:
	ds_read_b64 v[46:47], v49
.LBB6_70:
	s_and_saveexec_b64 s[4:5], s[0:1]
	s_cbranch_execz .LBB6_80
; %bb.71:
	v_add_u32_e32 v48, -2, v0
	v_add_u32_e32 v51, -1, v0
	v_cmp_lt_u32_e32 vcc, 6, v48
	v_mov_b32_e32 v50, 1
	s_and_saveexec_b64 s[0:1], vcc
	s_cbranch_execz .LBB6_75
; %bb.72:
	v_and_b32_e32 v48, -8, v51
	v_sub_u32_e32 v48, 0, v48
	s_mov_b64 s[2:3], 8
	s_movk_i32 s8, 0x48
	s_mov_b64 s[6:7], 0
.LBB6_73:                               ; =>This Inner Loop Header: Depth=1
	s_lshl_b32 s9, s2, 1
	s_add_i32 s10, s9, -13
	v_mov_b32_e32 v66, s8
	s_add_i32 s11, s9, -14
	s_set_gpr_idx_on s10, gpr_idx(SRC0)
	v_mov_b32_e32 v61, v16
	s_set_gpr_idx_off
	s_add_i32 s16, s9, -11
	s_set_gpr_idx_on s11, gpr_idx(SRC0)
	v_mov_b32_e32 v60, v16
	s_set_gpr_idx_off
	ds_read2_b64 v[52:55], v66 offset1:1
	s_add_i32 s17, s9, -12
	s_set_gpr_idx_on s16, gpr_idx(SRC0)
	v_mov_b32_e32 v63, v16
	s_set_gpr_idx_off
	s_add_i32 s18, s9, -9
	s_set_gpr_idx_on s17, gpr_idx(SRC0)
	v_mov_b32_e32 v62, v16
	s_set_gpr_idx_off
	;; [unrolled: 4-line block ×4, first 2 shown]
	ds_read2_b64 v[56:59], v66 offset0:2 offset1:3
	s_add_i32 s21, s9, -8
	s_waitcnt lgkmcnt(1)
	v_fmac_f64_e32 v[46:47], v[60:61], v[52:53]
	s_set_gpr_idx_on s20, gpr_idx(SRC0)
	v_mov_b32_e32 v61, v16
	s_set_gpr_idx_off
	s_add_i32 s22, s9, -5
	v_fmac_f64_e32 v[46:47], v[62:63], v[54:55]
	s_set_gpr_idx_on s21, gpr_idx(SRC0)
	v_mov_b32_e32 v60, v16
	s_set_gpr_idx_off
	s_add_i32 s23, s9, -6
	s_set_gpr_idx_on s22, gpr_idx(SRC0)
	v_mov_b32_e32 v63, v16
	s_set_gpr_idx_off
	s_add_i32 s24, s9, -3
	;; [unrolled: 4-line block ×3, first 2 shown]
	ds_read2_b64 v[52:55], v66 offset0:4 offset1:5
	s_waitcnt lgkmcnt(1)
	v_fmac_f64_e32 v[46:47], v[64:65], v[56:57]
	s_set_gpr_idx_on s24, gpr_idx(SRC0)
	v_mov_b32_e32 v65, v16
	s_set_gpr_idx_off
	s_add_i32 s26, s9, -1
	v_fmac_f64_e32 v[46:47], v[60:61], v[58:59]
	s_set_gpr_idx_on s25, gpr_idx(SRC0)
	v_mov_b32_e32 v64, v16
	s_set_gpr_idx_off
	s_add_i32 s27, s9, -2
	s_set_gpr_idx_on s26, gpr_idx(SRC0)
	v_mov_b32_e32 v61, v16
	s_set_gpr_idx_off
	s_set_gpr_idx_on s27, gpr_idx(SRC0)
	v_mov_b32_e32 v60, v16
	s_set_gpr_idx_off
	ds_read2_b64 v[56:59], v66 offset0:6 offset1:7
	s_add_u32 s2, s2, 8
	s_waitcnt lgkmcnt(1)
	v_fmac_f64_e32 v[46:47], v[62:63], v[52:53]
	s_set_gpr_idx_on s9, gpr_idx(SRC0)
	v_mov_b32_e32 v53, v17
	s_set_gpr_idx_off
	v_add_u32_e32 v50, s2, v48
	v_fmac_f64_e32 v[46:47], v[64:65], v[54:55]
	s_set_gpr_idx_on s9, gpr_idx(SRC0)
	v_mov_b32_e32 v52, v16
	s_set_gpr_idx_off
	s_addc_u32 s3, s3, 0
	s_add_i32 s8, s8, 64
	s_add_i32 s10, s2, -7
	v_cmp_eq_u32_e32 vcc, 8, v50
	s_waitcnt lgkmcnt(0)
	v_fmac_f64_e32 v[46:47], v[60:61], v[56:57]
	v_mov_b32_e32 v50, s10
	s_or_b64 s[6:7], vcc, s[6:7]
	v_fmac_f64_e32 v[46:47], v[52:53], v[58:59]
	s_andn2_b64 exec, exec, s[6:7]
	s_cbranch_execnz .LBB6_73
; %bb.74:
	s_or_b64 exec, exec, s[6:7]
.LBB6_75:
	s_or_b64 exec, exec, s[0:1]
	v_and_b32_e32 v30, 7, v51
	v_cmp_ne_u32_e32 vcc, 0, v30
	s_and_saveexec_b64 s[6:7], vcc
	s_cbranch_execz .LBB6_79
; %bb.76:
	v_lshl_add_u32 v31, v50, 3, 64
	v_mov_b32_e32 v51, 0
	s_mov_b64 s[8:9], 0
.LBB6_77:                               ; =>This Inner Loop Header: Depth=1
	v_cmp_eq_u32_e32 vcc, 1, v50
	v_add_u32_e32 v30, -1, v30
	v_cmp_eq_u32_e64 s[0:1], 2, v50
	v_cndmask_b32_e32 v48, v17, v19, vcc
	v_cndmask_b32_e32 v54, v16, v18, vcc
	v_cndmask_b32_e64 v48, v48, v21, s[0:1]
	v_cmp_eq_u32_e32 vcc, 0, v30
	v_cmp_eq_u32_e64 s[2:3], 3, v50
	ds_read_b64 v[52:53], v31
	v_cndmask_b32_e64 v54, v54, v20, s[0:1]
	v_cndmask_b32_e64 v48, v48, v23, s[2:3]
	s_or_b64 s[8:9], vcc, s[8:9]
	v_cmp_eq_u32_e32 vcc, 4, v50
	v_cndmask_b32_e64 v54, v54, v22, s[2:3]
	v_cmp_eq_u32_e64 s[0:1], 5, v50
	v_cndmask_b32_e32 v48, v48, v25, vcc
	v_cmp_eq_u32_e64 s[2:3], 6, v50
	v_cndmask_b32_e64 v48, v48, v27, s[0:1]
	v_cndmask_b32_e32 v54, v54, v24, vcc
	v_cndmask_b32_e64 v55, v48, v29, s[2:3]
	v_cndmask_b32_e64 v48, v54, v26, s[0:1]
	;; [unrolled: 1-line block ×3, first 2 shown]
	v_add_u32_e32 v31, 8, v31
	v_lshl_add_u64 v[50:51], v[50:51], 0, 1
	s_waitcnt lgkmcnt(0)
	v_fmac_f64_e32 v[46:47], v[54:55], v[52:53]
	s_andn2_b64 exec, exec, s[8:9]
	s_cbranch_execnz .LBB6_77
; %bb.78:
	s_or_b64 exec, exec, s[8:9]
.LBB6_79:
	s_or_b64 exec, exec, s[6:7]
.LBB6_80:
	s_or_b64 exec, exec, s[4:5]
	v_mov_b32_e32 v16, 0
	ds_read_b64 v[16:17], v16
	s_waitcnt lgkmcnt(0)
	v_mul_f64 v[16:17], v[46:47], v[16:17]
.LBB6_81:
	s_or_b64 exec, exec, s[12:13]
	s_branch .LBB6_133
.LBB6_82:
	v_cmp_eq_u32_e64 s[2:3], 0, v0
	s_waitcnt vmcnt(6)
	ds_write_b64 v49, v[4:5]
	s_waitcnt lgkmcnt(0)
	; wave barrier
	s_and_saveexec_b64 s[12:13], s[2:3]
	s_cbranch_execz .LBB6_88
; %bb.83:
	s_and_b64 vcc, exec, s[14:15]
	s_cbranch_vccz .LBB6_85
; %bb.84:
	v_cmp_eq_u32_e32 vcc, 1, v0
	v_cmp_eq_u32_e64 s[0:1], 2, v0
	v_cmp_eq_u32_e64 s[4:5], 3, v0
	s_waitcnt vmcnt(2)
	v_cndmask_b32_e32 v5, v3, v5, vcc
	v_cndmask_b32_e32 v4, v2, v4, vcc
	v_cndmask_b32_e64 v5, v5, v7, s[0:1]
	v_cndmask_b32_e64 v4, v4, v6, s[0:1]
	ds_read_b64 v[16:17], v49
	v_cndmask_b32_e64 v5, v5, v9, s[4:5]
	v_cmp_eq_u32_e64 s[6:7], 4, v0
	v_cndmask_b32_e64 v4, v4, v8, s[4:5]
	v_cmp_eq_u32_e64 s[8:9], 5, v0
	v_cndmask_b32_e64 v5, v5, v11, s[6:7]
	v_cndmask_b32_e64 v4, v4, v10, s[6:7]
	s_waitcnt vmcnt(1)
	v_cndmask_b32_e64 v5, v5, v13, s[8:9]
	v_cmp_eq_u32_e64 s[10:11], 6, v0
	v_cndmask_b32_e64 v4, v4, v12, s[8:9]
	s_waitcnt vmcnt(0)
	v_cndmask_b32_e64 v5, v5, v15, s[10:11]
	v_cndmask_b32_e64 v4, v4, v14, s[10:11]
	s_waitcnt lgkmcnt(0)
	v_mul_f64 v[4:5], v[4:5], v[16:17]
	s_cbranch_execz .LBB6_86
	s_branch .LBB6_87
.LBB6_85:
                                        ; implicit-def: $vgpr4_vgpr5
.LBB6_86:
	ds_read_b64 v[4:5], v49
.LBB6_87:
	v_mov_b32_e32 v16, 0
	ds_read_b64 v[16:17], v16 offset:8
	s_waitcnt lgkmcnt(0)
	v_mul_f64 v[4:5], v[4:5], v[16:17]
.LBB6_88:
	s_or_b64 exec, exec, s[12:13]
	v_cndmask_b32_e64 v16, 0, 1, s[14:15]
	v_cmp_gt_u32_e32 vcc, 2, v0
	v_cmp_ne_u32_e64 s[0:1], 1, v16
	s_waitcnt vmcnt(5)
	ds_write_b64 v49, v[6:7]
	s_waitcnt lgkmcnt(0)
	; wave barrier
	s_and_saveexec_b64 s[14:15], vcc
	s_cbranch_execz .LBB6_94
; %bb.89:
	s_and_b64 vcc, exec, s[0:1]
	s_cbranch_vccnz .LBB6_91
; %bb.90:
	v_cmp_eq_u32_e32 vcc, 1, v0
	v_cmp_eq_u32_e64 s[4:5], 2, v0
	v_cmp_eq_u32_e64 s[6:7], 3, v0
	s_waitcnt vmcnt(2)
	v_cndmask_b32_e32 v16, v3, v5, vcc
	v_cndmask_b32_e64 v7, v16, v7, s[4:5]
	v_cndmask_b32_e32 v16, v2, v4, vcc
	v_cndmask_b32_e64 v6, v16, v6, s[4:5]
	ds_read_b64 v[16:17], v49
	v_cndmask_b32_e64 v7, v7, v9, s[6:7]
	v_cmp_eq_u32_e64 s[8:9], 4, v0
	v_cndmask_b32_e64 v6, v6, v8, s[6:7]
	v_cmp_eq_u32_e64 s[10:11], 5, v0
	v_cndmask_b32_e64 v7, v7, v11, s[8:9]
	v_cndmask_b32_e64 v6, v6, v10, s[8:9]
	s_waitcnt vmcnt(1)
	v_cndmask_b32_e64 v7, v7, v13, s[10:11]
	v_cmp_eq_u32_e64 s[12:13], 6, v0
	v_cndmask_b32_e64 v6, v6, v12, s[10:11]
	s_waitcnt vmcnt(0)
	v_cndmask_b32_e64 v7, v7, v15, s[12:13]
	v_cndmask_b32_e64 v6, v6, v14, s[12:13]
	s_waitcnt lgkmcnt(0)
	v_mul_f64 v[6:7], v[6:7], v[16:17]
	s_cbranch_execz .LBB6_92
	s_branch .LBB6_93
.LBB6_91:
                                        ; implicit-def: $vgpr6_vgpr7
.LBB6_92:
	ds_read_b64 v[6:7], v49
.LBB6_93:
	v_mov_b32_e32 v16, 0
	ds_read2_b64 v[16:19], v16 offset0:2 offset1:9
	s_waitcnt lgkmcnt(0)
	v_fma_f64 v[18:19], v[4:5], v[18:19], v[6:7]
	v_cndmask_b32_e64 v7, v7, v19, s[2:3]
	v_cndmask_b32_e64 v6, v6, v18, s[2:3]
	v_mul_f64 v[6:7], v[6:7], v[16:17]
.LBB6_94:
	s_or_b64 exec, exec, s[14:15]
	v_cmp_gt_u32_e32 vcc, 3, v0
	s_waitcnt vmcnt(4)
	ds_write_b64 v49, v[8:9]
	s_waitcnt lgkmcnt(0)
	; wave barrier
	s_and_saveexec_b64 s[14:15], vcc
	s_cbranch_execz .LBB6_102
; %bb.95:
	s_and_b64 vcc, exec, s[0:1]
	s_cbranch_vccnz .LBB6_97
; %bb.96:
	v_cmp_eq_u32_e32 vcc, 1, v0
	v_cmp_eq_u32_e64 s[4:5], 2, v0
	v_cmp_eq_u32_e64 s[6:7], 3, v0
	s_waitcnt vmcnt(2)
	v_cndmask_b32_e32 v16, v3, v5, vcc
	v_cndmask_b32_e64 v16, v16, v7, s[4:5]
	v_cndmask_b32_e64 v16, v16, v9, s[6:7]
	v_cmp_eq_u32_e64 s[8:9], 4, v0
	v_cmp_eq_u32_e64 s[10:11], 5, v0
	;; [unrolled: 1-line block ×3, first 2 shown]
	v_cndmask_b32_e64 v16, v16, v11, s[8:9]
	s_waitcnt vmcnt(1)
	v_cndmask_b32_e64 v16, v16, v13, s[10:11]
	s_waitcnt vmcnt(0)
	v_cndmask_b32_e64 v17, v16, v15, s[12:13]
	v_cndmask_b32_e32 v16, v2, v4, vcc
	v_cndmask_b32_e64 v16, v16, v6, s[4:5]
	ds_read_b64 v[18:19], v49
	v_cndmask_b32_e64 v16, v16, v8, s[6:7]
	v_cndmask_b32_e64 v16, v16, v10, s[8:9]
	;; [unrolled: 1-line block ×4, first 2 shown]
	s_waitcnt lgkmcnt(0)
	v_mul_f64 v[16:17], v[16:17], v[18:19]
	s_cbranch_execz .LBB6_98
	s_branch .LBB6_99
.LBB6_97:
                                        ; implicit-def: $vgpr16_vgpr17
.LBB6_98:
	ds_read_b64 v[16:17], v49
.LBB6_99:
	v_cmp_ne_u32_e32 vcc, 2, v0
	s_and_saveexec_b64 s[16:17], vcc
	s_cbranch_execz .LBB6_101
; %bb.100:
	v_add_u32_e32 v18, 1, v0
	v_cmp_eq_u32_e32 vcc, 1, v18
	v_cmp_eq_u32_e64 s[4:5], 2, v18
	v_cmp_eq_u32_e64 s[6:7], 3, v18
	s_waitcnt vmcnt(2)
	v_cndmask_b32_e32 v19, v3, v5, vcc
	v_cmp_eq_u32_e64 s[8:9], 4, v18
	v_cmp_eq_u32_e64 s[10:11], 5, v18
	;; [unrolled: 1-line block ×3, first 2 shown]
	v_cndmask_b32_e32 v18, v2, v4, vcc
	v_cndmask_b32_e64 v19, v19, v7, s[4:5]
	v_cndmask_b32_e64 v18, v18, v6, s[4:5]
	v_mov_b32_e32 v20, 0
	v_cndmask_b32_e64 v9, v19, v9, s[6:7]
	v_cndmask_b32_e64 v8, v18, v8, s[6:7]
	ds_read_b64 v[18:19], v49 offset:8
	ds_read_b64 v[20:21], v20 offset:80
	v_cndmask_b32_e64 v9, v9, v11, s[8:9]
	v_cndmask_b32_e64 v8, v8, v10, s[8:9]
	s_waitcnt vmcnt(1)
	v_cndmask_b32_e64 v9, v9, v13, s[10:11]
	v_cndmask_b32_e64 v8, v8, v12, s[10:11]
	s_waitcnt vmcnt(0)
	v_cndmask_b32_e64 v9, v9, v15, s[12:13]
	v_cndmask_b32_e64 v8, v8, v14, s[12:13]
	s_waitcnt lgkmcnt(1)
	v_fmac_f64_e32 v[16:17], v[8:9], v[18:19]
	s_waitcnt lgkmcnt(0)
	v_fma_f64 v[8:9], v[6:7], v[20:21], v[16:17]
	v_cndmask_b32_e64 v17, v17, v9, s[2:3]
	v_cndmask_b32_e64 v16, v16, v8, s[2:3]
.LBB6_101:
	s_or_b64 exec, exec, s[16:17]
	v_mov_b32_e32 v8, 0
	ds_read_b64 v[8:9], v8 offset:24
	s_waitcnt lgkmcnt(0)
	v_mul_f64 v[8:9], v[16:17], v[8:9]
.LBB6_102:
	s_or_b64 exec, exec, s[14:15]
	v_cmp_gt_u32_e32 vcc, 4, v0
	s_waitcnt vmcnt(3)
	ds_write_b64 v49, v[10:11]
	s_waitcnt lgkmcnt(0)
	; wave barrier
	s_and_saveexec_b64 s[12:13], vcc
	s_cbranch_execz .LBB6_112
; %bb.103:
	s_and_b64 vcc, exec, s[0:1]
	s_cbranch_vccnz .LBB6_105
; %bb.104:
	v_cmp_eq_u32_e32 vcc, 1, v0
	v_cmp_eq_u32_e64 s[2:3], 2, v0
	v_cmp_eq_u32_e64 s[4:5], 3, v0
	s_waitcnt vmcnt(2)
	v_cndmask_b32_e32 v16, v3, v5, vcc
	v_cndmask_b32_e64 v16, v16, v7, s[2:3]
	v_cndmask_b32_e64 v16, v16, v9, s[4:5]
	v_cmp_eq_u32_e64 s[6:7], 4, v0
	v_cmp_eq_u32_e64 s[8:9], 5, v0
	;; [unrolled: 1-line block ×3, first 2 shown]
	v_cndmask_b32_e64 v16, v16, v11, s[6:7]
	s_waitcnt vmcnt(1)
	v_cndmask_b32_e64 v16, v16, v13, s[8:9]
	s_waitcnt vmcnt(0)
	v_cndmask_b32_e64 v17, v16, v15, s[10:11]
	v_cndmask_b32_e32 v16, v2, v4, vcc
	v_cndmask_b32_e64 v16, v16, v6, s[2:3]
	ds_read_b64 v[18:19], v49
	v_cndmask_b32_e64 v16, v16, v8, s[4:5]
	v_cndmask_b32_e64 v16, v16, v10, s[6:7]
	;; [unrolled: 1-line block ×4, first 2 shown]
	s_waitcnt lgkmcnt(0)
	v_mul_f64 v[16:17], v[16:17], v[18:19]
	s_cbranch_execz .LBB6_106
	s_branch .LBB6_107
.LBB6_105:
                                        ; implicit-def: $vgpr16_vgpr17
.LBB6_106:
	ds_read_b64 v[16:17], v49
.LBB6_107:
	v_cmp_ne_u32_e32 vcc, 3, v0
	s_and_saveexec_b64 s[6:7], vcc
	s_cbranch_execz .LBB6_111
; %bb.108:
	v_mov_b32_e32 v18, 0x48
	v_lshl_add_u32 v20, v0, 3, v18
	s_mov_b64 s[8:9], 0
	v_mov_b64_e32 v[18:19], v[0:1]
.LBB6_109:                              ; =>This Inner Loop Header: Depth=1
	v_lshl_add_u64 v[18:19], v[18:19], 0, 1
	v_cmp_eq_u32_e32 vcc, 1, v18
	v_cmp_eq_u32_e64 s[4:5], 2, v18
	v_cmp_lt_u32_e64 s[2:3], 2, v18
	s_waitcnt vmcnt(2)
	v_cndmask_b32_e32 v21, v3, v5, vcc
	v_cndmask_b32_e64 v21, v21, v7, s[4:5]
	v_cndmask_b32_e32 v24, v2, v4, vcc
	v_cmp_eq_u32_e32 vcc, 3, v18
	ds_read_b64 v[22:23], v20
	s_or_b64 s[8:9], s[2:3], s[8:9]
	v_cndmask_b32_e32 v21, v21, v9, vcc
	v_cndmask_b32_e64 v24, v24, v6, s[4:5]
	v_cmp_eq_u32_e64 s[2:3], 4, v18
	v_cndmask_b32_e32 v24, v24, v8, vcc
	v_cmp_eq_u32_e32 vcc, 5, v18
	v_cndmask_b32_e64 v21, v21, v11, s[2:3]
	v_cndmask_b32_e64 v24, v24, v10, s[2:3]
	s_waitcnt vmcnt(1)
	v_cndmask_b32_e32 v21, v21, v13, vcc
	v_cmp_eq_u32_e64 s[2:3], 6, v18
	v_add_u32_e32 v20, 8, v20
	s_waitcnt vmcnt(0)
	v_cndmask_b32_e64 v25, v21, v15, s[2:3]
	v_cndmask_b32_e32 v21, v24, v12, vcc
	v_cndmask_b32_e64 v24, v21, v14, s[2:3]
	s_waitcnt lgkmcnt(0)
	v_fmac_f64_e32 v[16:17], v[24:25], v[22:23]
	s_andn2_b64 exec, exec, s[8:9]
	s_cbranch_execnz .LBB6_109
; %bb.110:
	s_or_b64 exec, exec, s[8:9]
.LBB6_111:
	s_or_b64 exec, exec, s[6:7]
	v_mov_b32_e32 v10, 0
	ds_read_b64 v[10:11], v10 offset:32
	s_waitcnt lgkmcnt(0)
	v_mul_f64 v[10:11], v[16:17], v[10:11]
.LBB6_112:
	s_or_b64 exec, exec, s[12:13]
	v_cmp_gt_u32_e64 s[2:3], 5, v0
	s_waitcnt vmcnt(1)
	ds_write_b64 v49, v[12:13]
	s_waitcnt lgkmcnt(0)
	; wave barrier
	s_and_saveexec_b64 s[14:15], s[2:3]
	s_cbranch_execz .LBB6_122
; %bb.113:
	s_and_b64 vcc, exec, s[0:1]
	s_cbranch_vccnz .LBB6_115
; %bb.114:
	v_cmp_eq_u32_e32 vcc, 1, v0
	v_cmp_eq_u32_e64 s[4:5], 2, v0
	v_cmp_eq_u32_e64 s[6:7], 3, v0
	v_cndmask_b32_e32 v16, v3, v5, vcc
	v_cndmask_b32_e64 v16, v16, v7, s[4:5]
	v_cndmask_b32_e64 v16, v16, v9, s[6:7]
	v_cmp_eq_u32_e64 s[8:9], 4, v0
	v_cmp_eq_u32_e64 s[10:11], 5, v0
	;; [unrolled: 1-line block ×3, first 2 shown]
	v_cndmask_b32_e64 v16, v16, v11, s[8:9]
	v_cndmask_b32_e64 v16, v16, v13, s[10:11]
	s_waitcnt vmcnt(0)
	v_cndmask_b32_e64 v17, v16, v15, s[12:13]
	v_cndmask_b32_e32 v16, v2, v4, vcc
	v_cndmask_b32_e64 v16, v16, v6, s[4:5]
	ds_read_b64 v[18:19], v49
	v_cndmask_b32_e64 v16, v16, v8, s[6:7]
	v_cndmask_b32_e64 v16, v16, v10, s[8:9]
	;; [unrolled: 1-line block ×4, first 2 shown]
	s_waitcnt lgkmcnt(0)
	v_mul_f64 v[16:17], v[16:17], v[18:19]
	s_cbranch_execz .LBB6_116
	s_branch .LBB6_117
.LBB6_115:
                                        ; implicit-def: $vgpr16_vgpr17
.LBB6_116:
	ds_read_b64 v[16:17], v49
.LBB6_117:
	v_cmp_ne_u32_e32 vcc, 4, v0
	s_and_saveexec_b64 s[8:9], vcc
	s_cbranch_execz .LBB6_121
; %bb.118:
	v_mov_b32_e32 v18, 0x48
	v_lshl_add_u32 v20, v0, 3, v18
	s_mov_b64 s[10:11], 0
	v_mov_b64_e32 v[18:19], v[0:1]
.LBB6_119:                              ; =>This Inner Loop Header: Depth=1
	v_lshl_add_u64 v[18:19], v[18:19], 0, 1
	v_cmp_eq_u32_e32 vcc, 1, v18
	v_cmp_eq_u32_e64 s[6:7], 2, v18
	v_cmp_lt_u32_e64 s[4:5], 3, v18
	v_cndmask_b32_e32 v21, v3, v5, vcc
	v_cndmask_b32_e64 v21, v21, v7, s[6:7]
	v_cndmask_b32_e32 v24, v2, v4, vcc
	v_cmp_eq_u32_e32 vcc, 3, v18
	ds_read_b64 v[22:23], v20
	s_or_b64 s[10:11], s[4:5], s[10:11]
	v_cndmask_b32_e32 v21, v21, v9, vcc
	v_cndmask_b32_e64 v24, v24, v6, s[6:7]
	v_cmp_eq_u32_e64 s[4:5], 4, v18
	v_cndmask_b32_e32 v24, v24, v8, vcc
	v_cmp_eq_u32_e32 vcc, 5, v18
	v_cndmask_b32_e64 v21, v21, v11, s[4:5]
	v_cndmask_b32_e64 v24, v24, v10, s[4:5]
	v_cndmask_b32_e32 v21, v21, v13, vcc
	v_cmp_eq_u32_e64 s[4:5], 6, v18
	v_add_u32_e32 v20, 8, v20
	s_waitcnt vmcnt(0)
	v_cndmask_b32_e64 v25, v21, v15, s[4:5]
	v_cndmask_b32_e32 v21, v24, v12, vcc
	v_cndmask_b32_e64 v24, v21, v14, s[4:5]
	s_waitcnt lgkmcnt(0)
	v_fmac_f64_e32 v[16:17], v[24:25], v[22:23]
	s_andn2_b64 exec, exec, s[10:11]
	s_cbranch_execnz .LBB6_119
; %bb.120:
	s_or_b64 exec, exec, s[10:11]
.LBB6_121:
	s_or_b64 exec, exec, s[8:9]
	v_mov_b32_e32 v12, 0
	ds_read_b64 v[12:13], v12 offset:40
	s_waitcnt lgkmcnt(0)
	v_mul_f64 v[12:13], v[16:17], v[12:13]
.LBB6_122:
	s_or_b64 exec, exec, s[14:15]
	v_cmp_ne_u32_e32 vcc, 6, v0
	s_waitcnt vmcnt(0)
	ds_write_b64 v49, v[14:15]
	s_waitcnt lgkmcnt(0)
	; wave barrier
	s_and_saveexec_b64 s[12:13], vcc
	s_cbranch_execz .LBB6_132
; %bb.123:
	s_and_b64 vcc, exec, s[0:1]
	s_cbranch_vccnz .LBB6_125
; %bb.124:
	v_cmp_eq_u32_e32 vcc, 1, v0
	v_cmp_eq_u32_e64 s[0:1], 2, v0
	v_cmp_eq_u32_e64 s[4:5], 3, v0
	v_cndmask_b32_e32 v16, v3, v5, vcc
	v_cndmask_b32_e64 v16, v16, v7, s[0:1]
	v_cndmask_b32_e64 v16, v16, v9, s[4:5]
	v_cmp_eq_u32_e64 s[6:7], 4, v0
	v_cmp_eq_u32_e64 s[8:9], 5, v0
	;; [unrolled: 1-line block ×3, first 2 shown]
	v_cndmask_b32_e64 v16, v16, v11, s[6:7]
	v_cndmask_b32_e64 v16, v16, v13, s[8:9]
	;; [unrolled: 1-line block ×3, first 2 shown]
	v_cndmask_b32_e32 v16, v2, v4, vcc
	v_cndmask_b32_e64 v16, v16, v6, s[0:1]
	ds_read_b64 v[18:19], v49
	v_cndmask_b32_e64 v16, v16, v8, s[4:5]
	v_cndmask_b32_e64 v16, v16, v10, s[6:7]
	;; [unrolled: 1-line block ×4, first 2 shown]
	s_waitcnt lgkmcnt(0)
	v_mul_f64 v[16:17], v[16:17], v[18:19]
	s_cbranch_execz .LBB6_126
	s_branch .LBB6_127
.LBB6_125:
                                        ; implicit-def: $vgpr16_vgpr17
.LBB6_126:
	ds_read_b64 v[16:17], v49
.LBB6_127:
	s_and_saveexec_b64 s[4:5], s[2:3]
	s_cbranch_execz .LBB6_131
; %bb.128:
	v_mov_b32_e32 v18, 0x48
	v_lshl_add_u32 v18, v0, 3, v18
	s_mov_b64 s[6:7], 0
.LBB6_129:                              ; =>This Inner Loop Header: Depth=1
	v_lshl_add_u64 v[0:1], v[0:1], 0, 1
	v_cmp_eq_u32_e32 vcc, 1, v0
	v_cmp_eq_u32_e64 s[2:3], 2, v0
	v_cmp_lt_u32_e64 s[0:1], 4, v0
	v_cndmask_b32_e32 v19, v3, v5, vcc
	v_cndmask_b32_e64 v19, v19, v7, s[2:3]
	v_cndmask_b32_e32 v22, v2, v4, vcc
	v_cmp_eq_u32_e32 vcc, 3, v0
	ds_read_b64 v[20:21], v18
	s_or_b64 s[6:7], s[0:1], s[6:7]
	v_cndmask_b32_e32 v19, v19, v9, vcc
	v_cndmask_b32_e64 v22, v22, v6, s[2:3]
	v_cmp_eq_u32_e64 s[0:1], 4, v0
	v_cndmask_b32_e32 v22, v22, v8, vcc
	v_cmp_eq_u32_e32 vcc, 5, v0
	v_cndmask_b32_e64 v19, v19, v11, s[0:1]
	v_cndmask_b32_e64 v22, v22, v10, s[0:1]
	v_cndmask_b32_e32 v19, v19, v13, vcc
	v_cmp_eq_u32_e64 s[0:1], 6, v0
	v_add_u32_e32 v18, 8, v18
	s_nop 0
	v_cndmask_b32_e64 v23, v19, v15, s[0:1]
	v_cndmask_b32_e32 v19, v22, v12, vcc
	v_cndmask_b32_e64 v22, v19, v14, s[0:1]
	s_waitcnt lgkmcnt(0)
	v_fmac_f64_e32 v[16:17], v[22:23], v[20:21]
	s_andn2_b64 exec, exec, s[6:7]
	s_cbranch_execnz .LBB6_129
; %bb.130:
	s_or_b64 exec, exec, s[6:7]
.LBB6_131:
	s_or_b64 exec, exec, s[4:5]
	v_mov_b32_e32 v0, 0
	ds_read_b64 v[0:1], v0 offset:48
	s_waitcnt lgkmcnt(0)
	v_mul_f64 v[14:15], v[16:17], v[0:1]
.LBB6_132:
	s_or_b64 exec, exec, s[12:13]
	v_mov_b64_e32 v[30:31], v[16:17]
	v_mov_b64_e32 v[28:29], v[14:15]
	;; [unrolled: 1-line block ×8, first 2 shown]
.LBB6_133:
	global_store_dwordx2 v[32:33], v[16:17], off
	global_store_dwordx2 v[34:35], v[18:19], off
	;; [unrolled: 1-line block ×7, first 2 shown]
.LBB6_134:
	s_endpgm
	.section	.rodata,"a",@progbits
	.p2align	6, 0x0
	.amdhsa_kernel _ZN9rocsolver6v33100L18trti2_kernel_smallILi7EdPdEEv13rocblas_fill_17rocblas_diagonal_T1_iil
		.amdhsa_group_segment_fixed_size 120
		.amdhsa_private_segment_fixed_size 0
		.amdhsa_kernarg_size 32
		.amdhsa_user_sgpr_count 2
		.amdhsa_user_sgpr_dispatch_ptr 0
		.amdhsa_user_sgpr_queue_ptr 0
		.amdhsa_user_sgpr_kernarg_segment_ptr 1
		.amdhsa_user_sgpr_dispatch_id 0
		.amdhsa_user_sgpr_kernarg_preload_length 0
		.amdhsa_user_sgpr_kernarg_preload_offset 0
		.amdhsa_user_sgpr_private_segment_size 0
		.amdhsa_uses_dynamic_stack 0
		.amdhsa_enable_private_segment 0
		.amdhsa_system_sgpr_workgroup_id_x 1
		.amdhsa_system_sgpr_workgroup_id_y 0
		.amdhsa_system_sgpr_workgroup_id_z 0
		.amdhsa_system_sgpr_workgroup_info 0
		.amdhsa_system_vgpr_workitem_id 0
		.amdhsa_next_free_vgpr 70
		.amdhsa_next_free_sgpr 30
		.amdhsa_accum_offset 72
		.amdhsa_reserve_vcc 1
		.amdhsa_float_round_mode_32 0
		.amdhsa_float_round_mode_16_64 0
		.amdhsa_float_denorm_mode_32 3
		.amdhsa_float_denorm_mode_16_64 3
		.amdhsa_dx10_clamp 1
		.amdhsa_ieee_mode 1
		.amdhsa_fp16_overflow 0
		.amdhsa_tg_split 0
		.amdhsa_exception_fp_ieee_invalid_op 0
		.amdhsa_exception_fp_denorm_src 0
		.amdhsa_exception_fp_ieee_div_zero 0
		.amdhsa_exception_fp_ieee_overflow 0
		.amdhsa_exception_fp_ieee_underflow 0
		.amdhsa_exception_fp_ieee_inexact 0
		.amdhsa_exception_int_div_zero 0
	.end_amdhsa_kernel
	.section	.text._ZN9rocsolver6v33100L18trti2_kernel_smallILi7EdPdEEv13rocblas_fill_17rocblas_diagonal_T1_iil,"axG",@progbits,_ZN9rocsolver6v33100L18trti2_kernel_smallILi7EdPdEEv13rocblas_fill_17rocblas_diagonal_T1_iil,comdat
.Lfunc_end6:
	.size	_ZN9rocsolver6v33100L18trti2_kernel_smallILi7EdPdEEv13rocblas_fill_17rocblas_diagonal_T1_iil, .Lfunc_end6-_ZN9rocsolver6v33100L18trti2_kernel_smallILi7EdPdEEv13rocblas_fill_17rocblas_diagonal_T1_iil
                                        ; -- End function
	.set _ZN9rocsolver6v33100L18trti2_kernel_smallILi7EdPdEEv13rocblas_fill_17rocblas_diagonal_T1_iil.num_vgpr, 70
	.set _ZN9rocsolver6v33100L18trti2_kernel_smallILi7EdPdEEv13rocblas_fill_17rocblas_diagonal_T1_iil.num_agpr, 0
	.set _ZN9rocsolver6v33100L18trti2_kernel_smallILi7EdPdEEv13rocblas_fill_17rocblas_diagonal_T1_iil.numbered_sgpr, 30
	.set _ZN9rocsolver6v33100L18trti2_kernel_smallILi7EdPdEEv13rocblas_fill_17rocblas_diagonal_T1_iil.num_named_barrier, 0
	.set _ZN9rocsolver6v33100L18trti2_kernel_smallILi7EdPdEEv13rocblas_fill_17rocblas_diagonal_T1_iil.private_seg_size, 0
	.set _ZN9rocsolver6v33100L18trti2_kernel_smallILi7EdPdEEv13rocblas_fill_17rocblas_diagonal_T1_iil.uses_vcc, 1
	.set _ZN9rocsolver6v33100L18trti2_kernel_smallILi7EdPdEEv13rocblas_fill_17rocblas_diagonal_T1_iil.uses_flat_scratch, 0
	.set _ZN9rocsolver6v33100L18trti2_kernel_smallILi7EdPdEEv13rocblas_fill_17rocblas_diagonal_T1_iil.has_dyn_sized_stack, 0
	.set _ZN9rocsolver6v33100L18trti2_kernel_smallILi7EdPdEEv13rocblas_fill_17rocblas_diagonal_T1_iil.has_recursion, 0
	.set _ZN9rocsolver6v33100L18trti2_kernel_smallILi7EdPdEEv13rocblas_fill_17rocblas_diagonal_T1_iil.has_indirect_call, 0
	.section	.AMDGPU.csdata,"",@progbits
; Kernel info:
; codeLenInByte = 7164
; TotalNumSgprs: 36
; NumVgprs: 70
; NumAgprs: 0
; TotalNumVgprs: 70
; ScratchSize: 0
; MemoryBound: 0
; FloatMode: 240
; IeeeMode: 1
; LDSByteSize: 120 bytes/workgroup (compile time only)
; SGPRBlocks: 4
; VGPRBlocks: 8
; NumSGPRsForWavesPerEU: 36
; NumVGPRsForWavesPerEU: 70
; AccumOffset: 72
; Occupancy: 7
; WaveLimiterHint : 0
; COMPUTE_PGM_RSRC2:SCRATCH_EN: 0
; COMPUTE_PGM_RSRC2:USER_SGPR: 2
; COMPUTE_PGM_RSRC2:TRAP_HANDLER: 0
; COMPUTE_PGM_RSRC2:TGID_X_EN: 1
; COMPUTE_PGM_RSRC2:TGID_Y_EN: 0
; COMPUTE_PGM_RSRC2:TGID_Z_EN: 0
; COMPUTE_PGM_RSRC2:TIDIG_COMP_CNT: 0
; COMPUTE_PGM_RSRC3_GFX90A:ACCUM_OFFSET: 17
; COMPUTE_PGM_RSRC3_GFX90A:TG_SPLIT: 0
	.section	.text._ZN9rocsolver6v33100L18trti2_kernel_smallILi8EdPdEEv13rocblas_fill_17rocblas_diagonal_T1_iil,"axG",@progbits,_ZN9rocsolver6v33100L18trti2_kernel_smallILi8EdPdEEv13rocblas_fill_17rocblas_diagonal_T1_iil,comdat
	.globl	_ZN9rocsolver6v33100L18trti2_kernel_smallILi8EdPdEEv13rocblas_fill_17rocblas_diagonal_T1_iil ; -- Begin function _ZN9rocsolver6v33100L18trti2_kernel_smallILi8EdPdEEv13rocblas_fill_17rocblas_diagonal_T1_iil
	.p2align	8
	.type	_ZN9rocsolver6v33100L18trti2_kernel_smallILi8EdPdEEv13rocblas_fill_17rocblas_diagonal_T1_iil,@function
_ZN9rocsolver6v33100L18trti2_kernel_smallILi8EdPdEEv13rocblas_fill_17rocblas_diagonal_T1_iil: ; @_ZN9rocsolver6v33100L18trti2_kernel_smallILi8EdPdEEv13rocblas_fill_17rocblas_diagonal_T1_iil
; %bb.0:
	v_cmp_gt_u32_e32 vcc, 8, v0
	s_and_saveexec_b64 s[4:5], vcc
	s_cbranch_execz .LBB7_160
; %bb.1:
	s_load_dwordx8 s[16:23], s[0:1], 0x0
	s_ashr_i32 s3, s2, 31
	v_mov_b32_e32 v1, 0
	v_lshlrev_b32_e32 v18, 3, v0
	v_mov_b32_e32 v19, v1
	s_waitcnt lgkmcnt(0)
	s_mul_hi_u32 s4, s22, s2
	s_mul_i32 s3, s22, s3
	s_add_i32 s3, s4, s3
	s_mul_i32 s4, s23, s2
	s_add_i32 s3, s3, s4
	s_mul_i32 s2, s22, s2
	s_ashr_i32 s1, s20, 31
	s_lshl_b64 s[2:3], s[2:3], 3
	s_mov_b32 s0, s20
	s_add_u32 s2, s18, s2
	s_addc_u32 s3, s19, s3
	s_lshl_b64 s[0:1], s[0:1], 3
	s_add_u32 s0, s2, s0
	s_addc_u32 s1, s3, s1
	v_lshl_add_u64 v[34:35], s[0:1], 0, v[18:19]
	s_ashr_i32 s3, s21, 31
	s_mov_b32 s2, s21
	v_lshl_add_u64 v[36:37], s[2:3], 3, v[34:35]
	s_add_i32 s2, s21, s21
	v_add_u32_e32 v2, s2, v0
	v_ashrrev_i32_e32 v3, 31, v2
	v_lshl_add_u64 v[38:39], v[2:3], 3, s[0:1]
	v_add_u32_e32 v2, s21, v2
	v_ashrrev_i32_e32 v3, 31, v2
	v_lshl_add_u64 v[40:41], v[2:3], 3, s[0:1]
	;; [unrolled: 3-line block ×5, first 2 shown]
	v_add_u32_e32 v2, s21, v2
	v_ashrrev_i32_e32 v3, 31, v2
	global_load_dwordx2 v[4:5], v[36:37], off
	global_load_dwordx2 v[6:7], v[38:39], off
	;; [unrolled: 1-line block ×4, first 2 shown]
	v_lshl_add_u64 v[48:49], v[2:3], 3, s[0:1]
	global_load_dwordx2 v[2:3], v18, s[0:1]
	global_load_dwordx2 v[12:13], v[44:45], off
	global_load_dwordx2 v[14:15], v[46:47], off
	;; [unrolled: 1-line block ×3, first 2 shown]
	s_cmpk_lg_i32 s17, 0x84
	s_cselect_b64 s[18:19], -1, 0
	s_cmpk_eq_i32 s17, 0x84
	v_mov_b64_e32 v[20:21], -1.0
	s_cbranch_scc1 .LBB7_3
; %bb.2:
	v_cmp_eq_u32_e64 s[0:1], 1, v0
	v_cmp_eq_u32_e64 s[2:3], 2, v0
	;; [unrolled: 1-line block ×3, first 2 shown]
	s_waitcnt vmcnt(3)
	v_cndmask_b32_e64 v19, v3, v5, s[0:1]
	v_cndmask_b32_e64 v19, v19, v7, s[2:3]
	;; [unrolled: 1-line block ×3, first 2 shown]
	v_cmp_eq_u32_e64 s[6:7], 4, v0
	v_cmp_eq_u32_e64 s[8:9], 5, v0
	;; [unrolled: 1-line block ×3, first 2 shown]
	v_cndmask_b32_e64 v19, v19, v11, s[6:7]
	s_waitcnt vmcnt(2)
	v_cndmask_b32_e64 v19, v19, v13, s[8:9]
	s_waitcnt vmcnt(1)
	v_cndmask_b32_e64 v19, v19, v15, s[10:11]
	v_cmp_eq_u32_e64 s[12:13], 7, v0
	s_waitcnt vmcnt(0)
	s_nop 0
	v_cndmask_b32_e64 v21, v19, v17, s[12:13]
	v_cndmask_b32_e64 v19, v2, v4, s[0:1]
	;; [unrolled: 1-line block ×8, first 2 shown]
	v_div_scale_f64 v[22:23], s[14:15], v[20:21], v[20:21], 1.0
	v_rcp_f64_e32 v[24:25], v[22:23]
	s_nop 0
	v_fma_f64 v[26:27], -v[22:23], v[24:25], 1.0
	v_fmac_f64_e32 v[24:25], v[24:25], v[26:27]
	v_fma_f64 v[26:27], -v[22:23], v[24:25], 1.0
	v_fmac_f64_e32 v[24:25], v[24:25], v[26:27]
	v_div_scale_f64 v[26:27], vcc, 1.0, v[20:21], 1.0
	v_mul_f64 v[28:29], v[26:27], v[24:25]
	v_fma_f64 v[22:23], -v[22:23], v[28:29], v[26:27]
	s_nop 1
	v_div_fmas_f64 v[22:23], v[22:23], v[24:25], v[28:29]
	v_div_fixup_f64 v[20:21], v[22:23], v[20:21], 1.0
	v_cmp_eq_u32_e32 vcc, 0, v0
	v_cndmask_b32_e64 v17, v17, v21, s[12:13]
	v_cndmask_b32_e64 v16, v16, v20, s[12:13]
	;; [unrolled: 1-line block ×14, first 2 shown]
	v_cndmask_b32_e32 v3, v3, v21, vcc
	v_cndmask_b32_e32 v2, v2, v20, vcc
	v_xor_b32_e32 v21, 0x80000000, v21
.LBB7_3:
	s_cmpk_eq_i32 s16, 0x79
	v_add_u32_e32 v53, 64, v18
	ds_write_b64 v18, v[20:21]
	s_cbranch_scc1 .LBB7_7
; %bb.4:
	s_waitcnt vmcnt(0)
	v_mov_b64_e32 v[32:33], v[16:17]
	v_cmp_eq_u32_e64 s[0:1], 7, v0
	v_mov_b64_e32 v[30:31], v[14:15]
	v_mov_b64_e32 v[28:29], v[12:13]
	;; [unrolled: 1-line block ×7, first 2 shown]
	ds_write_b64 v53, v[14:15]
	s_waitcnt lgkmcnt(0)
	; wave barrier
	s_and_saveexec_b64 s[14:15], s[0:1]
	s_cbranch_execz .LBB7_11
; %bb.5:
	s_and_b64 vcc, exec, s[18:19]
	s_cbranch_vccz .LBB7_8
; %bb.6:
	v_cmp_eq_u32_e32 vcc, 1, v0
	v_cmp_eq_u32_e64 s[2:3], 2, v0
	v_cmp_eq_u32_e64 s[4:5], 3, v0
	v_cndmask_b32_e32 v18, v3, v5, vcc
	v_cndmask_b32_e64 v18, v18, v7, s[2:3]
	v_cndmask_b32_e64 v18, v18, v9, s[4:5]
	v_cmp_eq_u32_e64 s[6:7], 4, v0
	v_cmp_eq_u32_e64 s[8:9], 5, v0
	;; [unrolled: 1-line block ×3, first 2 shown]
	v_cndmask_b32_e64 v18, v18, v11, s[6:7]
	v_cndmask_b32_e64 v18, v18, v13, s[8:9]
	;; [unrolled: 1-line block ×3, first 2 shown]
	v_cmp_eq_u32_e64 s[12:13], 7, v0
	ds_read_b64 v[20:21], v53
	s_nop 0
	v_cndmask_b32_e64 v19, v18, v17, s[12:13]
	v_cndmask_b32_e32 v18, v2, v4, vcc
	v_cndmask_b32_e64 v18, v18, v6, s[2:3]
	v_cndmask_b32_e64 v18, v18, v8, s[4:5]
	;; [unrolled: 1-line block ×6, first 2 shown]
	s_waitcnt lgkmcnt(0)
	v_mul_f64 v[50:51], v[18:19], v[20:21]
	s_cbranch_execz .LBB7_9
	s_branch .LBB7_10
.LBB7_7:
                                        ; implicit-def: $vgpr18_vgpr19_vgpr20_vgpr21_vgpr22_vgpr23_vgpr24_vgpr25_vgpr26_vgpr27_vgpr28_vgpr29_vgpr30_vgpr31_vgpr32_vgpr33
	s_cbranch_execnz .LBB7_98
	s_branch .LBB7_159
.LBB7_8:
                                        ; implicit-def: $vgpr50_vgpr51
.LBB7_9:
	ds_read_b64 v[50:51], v53
.LBB7_10:
	v_mov_b32_e32 v18, 0
	ds_read_b64 v[54:55], v18 offset:48
	v_mov_b64_e32 v[32:33], v[16:17]
	v_mov_b64_e32 v[30:31], v[14:15]
	;; [unrolled: 1-line block ×8, first 2 shown]
	s_waitcnt lgkmcnt(0)
	v_mul_f64 v[30:31], v[50:51], v[54:55]
.LBB7_11:
	s_or_b64 exec, exec, s[14:15]
	v_cmp_lt_u32_e64 s[2:3], 5, v0
	ds_write_b64 v53, v[28:29]
	s_waitcnt lgkmcnt(0)
	; wave barrier
	s_and_saveexec_b64 s[16:17], s[2:3]
	s_cbranch_execz .LBB7_17
; %bb.12:
	s_andn2_b64 vcc, exec, s[18:19]
	s_cbranch_vccnz .LBB7_14
; %bb.13:
	v_cmp_eq_u32_e32 vcc, 1, v0
	v_cmp_eq_u32_e64 s[4:5], 2, v0
	v_cmp_eq_u32_e64 s[6:7], 3, v0
	v_cndmask_b32_e32 v50, v19, v21, vcc
	v_cndmask_b32_e64 v50, v50, v23, s[4:5]
	v_cndmask_b32_e64 v50, v50, v25, s[6:7]
	v_cmp_eq_u32_e64 s[8:9], 4, v0
	v_cmp_eq_u32_e64 s[10:11], 5, v0
	;; [unrolled: 1-line block ×3, first 2 shown]
	v_cndmask_b32_e64 v50, v50, v27, s[8:9]
	v_cndmask_b32_e64 v29, v50, v29, s[10:11]
	v_cndmask_b32_e32 v50, v18, v20, vcc
	v_cndmask_b32_e64 v50, v50, v22, s[4:5]
	v_cndmask_b32_e64 v52, v50, v24, s[6:7]
	ds_read_b64 v[50:51], v53
	v_cndmask_b32_e64 v52, v52, v26, s[8:9]
	v_cndmask_b32_e64 v28, v52, v28, s[10:11]
	;; [unrolled: 1-line block ×3, first 2 shown]
	v_cmp_eq_u32_e64 s[14:15], 7, v0
	v_cndmask_b32_e64 v28, v28, v30, s[12:13]
	s_nop 0
	v_cndmask_b32_e64 v29, v29, v33, s[14:15]
	v_cndmask_b32_e64 v28, v28, v32, s[14:15]
	s_waitcnt lgkmcnt(0)
	v_mul_f64 v[28:29], v[28:29], v[50:51]
	s_cbranch_execz .LBB7_15
	s_branch .LBB7_16
.LBB7_14:
                                        ; implicit-def: $vgpr28_vgpr29
.LBB7_15:
	ds_read_b64 v[28:29], v53
.LBB7_16:
	v_mov_b32_e32 v50, 0
	ds_read2_b64 v[54:57], v50 offset0:5 offset1:14
	s_waitcnt lgkmcnt(0)
	v_fma_f64 v[50:51], v[30:31], v[56:57], v[28:29]
	v_cndmask_b32_e64 v29, v29, v51, s[0:1]
	v_cndmask_b32_e64 v28, v28, v50, s[0:1]
	v_mul_f64 v[28:29], v[28:29], v[54:55]
.LBB7_17:
	s_or_b64 exec, exec, s[16:17]
	v_cmp_lt_u32_e64 s[0:1], 4, v0
	ds_write_b64 v53, v[26:27]
	s_waitcnt lgkmcnt(0)
	; wave barrier
	s_and_saveexec_b64 s[16:17], s[0:1]
	s_cbranch_execz .LBB7_33
; %bb.18:
	s_andn2_b64 vcc, exec, s[18:19]
	s_cbranch_vccnz .LBB7_20
; %bb.19:
	v_cmp_eq_u32_e32 vcc, 1, v0
	v_cmp_eq_u32_e64 s[4:5], 2, v0
	v_cmp_eq_u32_e64 s[6:7], 3, v0
	v_cndmask_b32_e32 v50, v19, v21, vcc
	v_cndmask_b32_e64 v50, v50, v23, s[4:5]
	v_cndmask_b32_e64 v50, v50, v25, s[6:7]
	v_cmp_eq_u32_e64 s[8:9], 4, v0
	v_cmp_eq_u32_e64 s[10:11], 5, v0
	;; [unrolled: 1-line block ×3, first 2 shown]
	v_cndmask_b32_e64 v50, v50, v27, s[8:9]
	v_cndmask_b32_e64 v50, v50, v29, s[10:11]
	;; [unrolled: 1-line block ×3, first 2 shown]
	v_cmp_eq_u32_e64 s[14:15], 7, v0
	ds_read_b64 v[54:55], v53
	s_nop 0
	v_cndmask_b32_e64 v51, v50, v33, s[14:15]
	v_cndmask_b32_e32 v50, v18, v20, vcc
	v_cndmask_b32_e64 v50, v50, v22, s[4:5]
	v_cndmask_b32_e64 v50, v50, v24, s[6:7]
	;; [unrolled: 1-line block ×6, first 2 shown]
	s_waitcnt lgkmcnt(0)
	v_mul_f64 v[50:51], v[50:51], v[54:55]
	s_cbranch_execz .LBB7_21
	s_branch .LBB7_22
.LBB7_20:
                                        ; implicit-def: $vgpr50_vgpr51
.LBB7_21:
	ds_read_b64 v[50:51], v53
.LBB7_22:
	s_and_saveexec_b64 s[6:7], s[2:3]
	s_cbranch_execz .LBB7_32
; %bb.23:
	v_add_u32_e32 v52, -6, v0
	v_add_u32_e32 v55, -5, v0
	v_cmp_lt_u32_e32 vcc, 6, v52
	v_mov_b32_e32 v54, 5
	s_and_saveexec_b64 s[2:3], vcc
	s_cbranch_execz .LBB7_27
; %bb.24:
	v_and_b32_e32 v52, -8, v55
	v_sub_u32_e32 v52, 0, v52
	s_mov_b64 s[4:5], 12
	s_movk_i32 s10, 0x68
	s_mov_b64 s[8:9], 0
.LBB7_25:                               ; =>This Inner Loop Header: Depth=1
	s_lshl_b32 s11, s4, 1
	s_add_i32 s12, s11, -13
	s_set_gpr_idx_on s12, gpr_idx(SRC0)
	v_mov_b32_e32 v61, v18
	s_set_gpr_idx_off
	s_add_i32 s12, s11, -14
	v_mov_b32_e32 v54, s10
	s_set_gpr_idx_on s12, gpr_idx(SRC0)
	v_mov_b32_e32 v60, v18
	s_set_gpr_idx_off
	ds_read2_b64 v[56:59], v54 offset1:1
	s_add_i32 s12, s11, -11
	s_waitcnt lgkmcnt(0)
	v_fmac_f64_e32 v[50:51], v[60:61], v[56:57]
	s_set_gpr_idx_on s12, gpr_idx(SRC0)
	v_mov_b32_e32 v57, v18
	s_set_gpr_idx_off
	s_add_i32 s12, s11, -12
	s_set_gpr_idx_on s12, gpr_idx(SRC0)
	v_mov_b32_e32 v56, v18
	s_set_gpr_idx_off
	s_add_i32 s12, s11, -9
	v_fmac_f64_e32 v[50:51], v[56:57], v[58:59]
	s_set_gpr_idx_on s12, gpr_idx(SRC0)
	v_mov_b32_e32 v61, v18
	s_set_gpr_idx_off
	s_add_i32 s12, s11, -10
	s_set_gpr_idx_on s12, gpr_idx(SRC0)
	v_mov_b32_e32 v60, v18
	s_set_gpr_idx_off
	ds_read2_b64 v[56:59], v54 offset0:2 offset1:3
	s_add_i32 s12, s11, -7
	s_waitcnt lgkmcnt(0)
	v_fmac_f64_e32 v[50:51], v[60:61], v[56:57]
	s_set_gpr_idx_on s12, gpr_idx(SRC0)
	v_mov_b32_e32 v57, v18
	s_set_gpr_idx_off
	s_add_i32 s12, s11, -8
	s_set_gpr_idx_on s12, gpr_idx(SRC0)
	v_mov_b32_e32 v56, v18
	s_set_gpr_idx_off
	s_add_i32 s12, s11, -5
	v_fmac_f64_e32 v[50:51], v[56:57], v[58:59]
	s_set_gpr_idx_on s12, gpr_idx(SRC0)
	v_mov_b32_e32 v61, v18
	s_set_gpr_idx_off
	s_add_i32 s12, s11, -6
	s_set_gpr_idx_on s12, gpr_idx(SRC0)
	v_mov_b32_e32 v60, v18
	s_set_gpr_idx_off
	ds_read2_b64 v[56:59], v54 offset0:4 offset1:5
	;; [unrolled: 20-line block ×3, first 2 shown]
	s_add_u32 s4, s4, 8
	v_add_u32_e32 v54, s4, v52
	s_addc_u32 s5, s5, 0
	s_add_i32 s10, s10, 64
	s_waitcnt lgkmcnt(0)
	v_fmac_f64_e32 v[50:51], v[60:61], v[56:57]
	s_set_gpr_idx_on s11, gpr_idx(SRC0)
	v_mov_b32_e32 v57, v19
	v_mov_b32_e32 v56, v18
	s_set_gpr_idx_off
	v_cmp_eq_u32_e32 vcc, 12, v54
	s_add_i32 s11, s4, -7
	v_fmac_f64_e32 v[50:51], v[56:57], v[58:59]
	s_or_b64 s[8:9], vcc, s[8:9]
	v_mov_b32_e32 v54, s11
	s_andn2_b64 exec, exec, s[8:9]
	s_cbranch_execnz .LBB7_25
; %bb.26:
	s_or_b64 exec, exec, s[8:9]
.LBB7_27:
	s_or_b64 exec, exec, s[2:3]
	v_and_b32_e32 v52, 7, v55
	v_cmp_ne_u32_e32 vcc, 0, v52
	s_and_saveexec_b64 s[8:9], vcc
	s_cbranch_execz .LBB7_31
; %bb.28:
	v_lshl_add_u32 v56, v54, 3, 64
	v_mov_b32_e32 v55, 0
	s_mov_b64 s[10:11], 0
.LBB7_29:                               ; =>This Inner Loop Header: Depth=1
	v_cmp_eq_u32_e32 vcc, 1, v54
	v_add_u32_e32 v52, -1, v52
	v_cmp_eq_u32_e64 s[2:3], 2, v54
	v_cndmask_b32_e32 v57, v19, v21, vcc
	v_cndmask_b32_e32 v60, v18, v20, vcc
	v_cndmask_b32_e64 v57, v57, v23, s[2:3]
	v_cmp_eq_u32_e32 vcc, 0, v52
	v_cmp_eq_u32_e64 s[4:5], 3, v54
	v_cndmask_b32_e64 v60, v60, v22, s[2:3]
	s_or_b64 s[10:11], vcc, s[10:11]
	v_cndmask_b32_e64 v57, v57, v25, s[4:5]
	v_cmp_eq_u32_e32 vcc, 4, v54
	ds_read_b64 v[58:59], v56
	v_cndmask_b32_e64 v60, v60, v24, s[4:5]
	v_cndmask_b32_e32 v57, v57, v27, vcc
	v_cmp_eq_u32_e64 s[2:3], 5, v54
	v_cndmask_b32_e32 v60, v60, v26, vcc
	v_cmp_eq_u32_e32 vcc, 6, v54
	v_cndmask_b32_e64 v57, v57, v29, s[2:3]
	v_cmp_eq_u32_e64 s[4:5], 7, v54
	v_cndmask_b32_e32 v57, v57, v31, vcc
	v_cndmask_b32_e64 v60, v60, v28, s[2:3]
	v_cndmask_b32_e64 v61, v57, v33, s[4:5]
	v_cndmask_b32_e32 v57, v60, v30, vcc
	v_cndmask_b32_e64 v60, v57, v32, s[4:5]
	v_add_u32_e32 v56, 8, v56
	v_lshl_add_u64 v[54:55], v[54:55], 0, 1
	s_waitcnt lgkmcnt(0)
	v_fmac_f64_e32 v[50:51], v[60:61], v[58:59]
	s_andn2_b64 exec, exec, s[10:11]
	s_cbranch_execnz .LBB7_29
; %bb.30:
	s_or_b64 exec, exec, s[10:11]
.LBB7_31:
	s_or_b64 exec, exec, s[8:9]
.LBB7_32:
	s_or_b64 exec, exec, s[6:7]
	v_mov_b32_e32 v26, 0
	ds_read_b64 v[26:27], v26 offset:32
	s_waitcnt lgkmcnt(0)
	v_mul_f64 v[26:27], v[50:51], v[26:27]
.LBB7_33:
	s_or_b64 exec, exec, s[16:17]
	v_cmp_lt_u32_e64 s[2:3], 3, v0
	ds_write_b64 v53, v[24:25]
	s_waitcnt lgkmcnt(0)
	; wave barrier
	s_and_saveexec_b64 s[16:17], s[2:3]
	s_cbranch_execz .LBB7_49
; %bb.34:
	s_andn2_b64 vcc, exec, s[18:19]
	s_cbranch_vccnz .LBB7_36
; %bb.35:
	v_cmp_eq_u32_e32 vcc, 1, v0
	v_cmp_eq_u32_e64 s[4:5], 2, v0
	v_cmp_eq_u32_e64 s[6:7], 3, v0
	v_cndmask_b32_e32 v50, v19, v21, vcc
	v_cndmask_b32_e64 v50, v50, v23, s[4:5]
	v_cndmask_b32_e64 v50, v50, v25, s[6:7]
	v_cmp_eq_u32_e64 s[8:9], 4, v0
	v_cmp_eq_u32_e64 s[10:11], 5, v0
	;; [unrolled: 1-line block ×3, first 2 shown]
	v_cndmask_b32_e64 v50, v50, v27, s[8:9]
	v_cndmask_b32_e64 v50, v50, v29, s[10:11]
	;; [unrolled: 1-line block ×3, first 2 shown]
	v_cmp_eq_u32_e64 s[14:15], 7, v0
	ds_read_b64 v[54:55], v53
	s_nop 0
	v_cndmask_b32_e64 v51, v50, v33, s[14:15]
	v_cndmask_b32_e32 v50, v18, v20, vcc
	v_cndmask_b32_e64 v50, v50, v22, s[4:5]
	v_cndmask_b32_e64 v50, v50, v24, s[6:7]
	;; [unrolled: 1-line block ×6, first 2 shown]
	s_waitcnt lgkmcnt(0)
	v_mul_f64 v[50:51], v[50:51], v[54:55]
	s_cbranch_execz .LBB7_37
	s_branch .LBB7_38
.LBB7_36:
                                        ; implicit-def: $vgpr50_vgpr51
.LBB7_37:
	ds_read_b64 v[50:51], v53
.LBB7_38:
	s_and_saveexec_b64 s[6:7], s[0:1]
	s_cbranch_execz .LBB7_48
; %bb.39:
	v_add_u32_e32 v52, -5, v0
	v_add_u32_e32 v55, -4, v0
	v_cmp_lt_u32_e32 vcc, 6, v52
	v_mov_b32_e32 v54, 4
	s_and_saveexec_b64 s[0:1], vcc
	s_cbranch_execz .LBB7_43
; %bb.40:
	v_and_b32_e32 v52, -8, v55
	v_sub_u32_e32 v52, 0, v52
	s_mov_b64 s[4:5], 5
	s_movk_i32 s10, 0x60
	s_mov_b64 s[8:9], 0
.LBB7_41:                               ; =>This Inner Loop Header: Depth=1
	s_lshl_b32 s11, s4, 1
	s_add_i32 s12, s11, -1
	s_add_i32 s13, s11, -2
	s_set_gpr_idx_on s12, gpr_idx(SRC0)
	v_mov_b32_e32 v73, v18
	s_set_gpr_idx_off
	v_mov_b32_e32 v54, s10
	s_set_gpr_idx_on s13, gpr_idx(SRC0)
	v_mov_b32_e32 v72, v18
	s_set_gpr_idx_off
	ds_read_b128 v[56:59], v54
	ds_read_b128 v[60:63], v54 offset:16
	ds_read_b128 v[64:67], v54 offset:32
	;; [unrolled: 1-line block ×3, first 2 shown]
	s_set_gpr_idx_on s11, gpr_idx(SRC0)
	v_mov_b32_e32 v75, v19
	s_add_i32 s14, s11, 3
	v_mov_b32_e32 v74, v18
	s_set_gpr_idx_off
	s_add_i32 s15, s11, 2
	s_set_gpr_idx_on s14, gpr_idx(SRC0)
	v_mov_b32_e32 v77, v18
	s_set_gpr_idx_off
	s_add_i32 s20, s11, 5
	s_set_gpr_idx_on s15, gpr_idx(SRC0)
	v_mov_b32_e32 v76, v18
	s_set_gpr_idx_off
	s_add_i32 s21, s11, 4
	s_waitcnt lgkmcnt(3)
	v_fmac_f64_e32 v[50:51], v[72:73], v[56:57]
	s_set_gpr_idx_on s20, gpr_idx(SRC0)
	v_mov_b32_e32 v57, v18
	s_set_gpr_idx_off
	s_add_i32 s22, s11, 7
	v_fmac_f64_e32 v[50:51], v[74:75], v[58:59]
	s_set_gpr_idx_on s21, gpr_idx(SRC0)
	v_mov_b32_e32 v56, v18
	s_set_gpr_idx_off
	s_add_i32 s23, s11, 6
	s_waitcnt lgkmcnt(2)
	v_fmac_f64_e32 v[50:51], v[76:77], v[60:61]
	s_set_gpr_idx_on s22, gpr_idx(SRC0)
	v_mov_b32_e32 v59, v18
	s_set_gpr_idx_off
	s_add_i32 s24, s11, 9
	v_fmac_f64_e32 v[50:51], v[56:57], v[62:63]
	s_set_gpr_idx_on s23, gpr_idx(SRC0)
	v_mov_b32_e32 v58, v18
	s_set_gpr_idx_off
	s_add_i32 s25, s11, 8
	s_waitcnt lgkmcnt(1)
	v_fmac_f64_e32 v[50:51], v[58:59], v[64:65]
	s_set_gpr_idx_on s24, gpr_idx(SRC0)
	v_mov_b32_e32 v57, v18
	s_set_gpr_idx_off
	s_add_i32 s26, s11, 11
	s_set_gpr_idx_on s25, gpr_idx(SRC0)
	v_mov_b32_e32 v56, v18
	s_set_gpr_idx_off
	s_add_i32 s27, s11, 10
	s_add_i32 s28, s11, 13
	;; [unrolled: 1-line block ×3, first 2 shown]
	v_fmac_f64_e32 v[50:51], v[56:57], v[66:67]
	s_set_gpr_idx_on s26, gpr_idx(SRC0)
	v_mov_b32_e32 v57, v18
	s_set_gpr_idx_off
	s_add_u32 s4, s4, 8
	s_set_gpr_idx_on s27, gpr_idx(SRC0)
	v_mov_b32_e32 v56, v18
	s_set_gpr_idx_off
	v_add_u32_e32 v54, s4, v52
	s_waitcnt lgkmcnt(0)
	v_fmac_f64_e32 v[50:51], v[56:57], v[68:69]
	s_set_gpr_idx_on s28, gpr_idx(SRC0)
	v_mov_b32_e32 v57, v18
	s_set_gpr_idx_off
	s_addc_u32 s5, s5, 0
	s_add_i32 s10, s10, 64
	s_add_i32 s12, s4, -1
	v_cmp_eq_u32_e32 vcc, 5, v54
	s_set_gpr_idx_on s29, gpr_idx(SRC0)
	v_mov_b32_e32 v56, v18
	s_set_gpr_idx_off
	v_mov_b32_e32 v54, s12
	s_or_b64 s[8:9], vcc, s[8:9]
	v_fmac_f64_e32 v[50:51], v[56:57], v[70:71]
	s_andn2_b64 exec, exec, s[8:9]
	s_cbranch_execnz .LBB7_41
; %bb.42:
	s_or_b64 exec, exec, s[8:9]
.LBB7_43:
	s_or_b64 exec, exec, s[0:1]
	v_and_b32_e32 v52, 7, v55
	v_cmp_ne_u32_e32 vcc, 0, v52
	s_and_saveexec_b64 s[8:9], vcc
	s_cbranch_execz .LBB7_47
; %bb.44:
	v_lshl_add_u32 v56, v54, 3, 64
	v_mov_b32_e32 v55, 0
	s_mov_b64 s[10:11], 0
.LBB7_45:                               ; =>This Inner Loop Header: Depth=1
	v_cmp_eq_u32_e32 vcc, 1, v54
	v_add_u32_e32 v52, -1, v52
	v_cmp_eq_u32_e64 s[0:1], 2, v54
	v_cndmask_b32_e32 v57, v19, v21, vcc
	v_cndmask_b32_e32 v60, v18, v20, vcc
	v_cndmask_b32_e64 v57, v57, v23, s[0:1]
	v_cmp_eq_u32_e32 vcc, 0, v52
	v_cmp_eq_u32_e64 s[4:5], 3, v54
	v_cndmask_b32_e64 v60, v60, v22, s[0:1]
	s_or_b64 s[10:11], vcc, s[10:11]
	v_cndmask_b32_e64 v57, v57, v25, s[4:5]
	v_cmp_eq_u32_e32 vcc, 4, v54
	ds_read_b64 v[58:59], v56
	v_cndmask_b32_e64 v60, v60, v24, s[4:5]
	v_cndmask_b32_e32 v57, v57, v27, vcc
	v_cmp_eq_u32_e64 s[0:1], 5, v54
	v_cndmask_b32_e32 v60, v60, v26, vcc
	v_cmp_eq_u32_e32 vcc, 6, v54
	v_cndmask_b32_e64 v57, v57, v29, s[0:1]
	v_cmp_eq_u32_e64 s[4:5], 7, v54
	v_cndmask_b32_e32 v57, v57, v31, vcc
	v_cndmask_b32_e64 v60, v60, v28, s[0:1]
	v_cndmask_b32_e64 v61, v57, v33, s[4:5]
	v_cndmask_b32_e32 v57, v60, v30, vcc
	v_cndmask_b32_e64 v60, v57, v32, s[4:5]
	v_add_u32_e32 v56, 8, v56
	v_lshl_add_u64 v[54:55], v[54:55], 0, 1
	s_waitcnt lgkmcnt(0)
	v_fmac_f64_e32 v[50:51], v[60:61], v[58:59]
	s_andn2_b64 exec, exec, s[10:11]
	s_cbranch_execnz .LBB7_45
; %bb.46:
	s_or_b64 exec, exec, s[10:11]
.LBB7_47:
	s_or_b64 exec, exec, s[8:9]
.LBB7_48:
	s_or_b64 exec, exec, s[6:7]
	v_mov_b32_e32 v24, 0
	ds_read_b64 v[24:25], v24 offset:24
	s_waitcnt lgkmcnt(0)
	v_mul_f64 v[24:25], v[50:51], v[24:25]
.LBB7_49:
	s_or_b64 exec, exec, s[16:17]
	v_cmp_lt_u32_e64 s[0:1], 2, v0
	ds_write_b64 v53, v[22:23]
	s_waitcnt lgkmcnt(0)
	; wave barrier
	s_and_saveexec_b64 s[16:17], s[0:1]
	s_cbranch_execz .LBB7_65
; %bb.50:
	s_andn2_b64 vcc, exec, s[18:19]
	s_cbranch_vccnz .LBB7_52
; %bb.51:
	v_cmp_eq_u32_e32 vcc, 1, v0
	v_cmp_eq_u32_e64 s[4:5], 2, v0
	v_cmp_eq_u32_e64 s[6:7], 3, v0
	v_cndmask_b32_e32 v50, v19, v21, vcc
	v_cndmask_b32_e64 v50, v50, v23, s[4:5]
	v_cndmask_b32_e64 v50, v50, v25, s[6:7]
	v_cmp_eq_u32_e64 s[8:9], 4, v0
	v_cmp_eq_u32_e64 s[10:11], 5, v0
	;; [unrolled: 1-line block ×3, first 2 shown]
	v_cndmask_b32_e64 v50, v50, v27, s[8:9]
	v_cndmask_b32_e64 v50, v50, v29, s[10:11]
	v_cndmask_b32_e64 v50, v50, v31, s[12:13]
	v_cmp_eq_u32_e64 s[14:15], 7, v0
	ds_read_b64 v[54:55], v53
	s_nop 0
	v_cndmask_b32_e64 v51, v50, v33, s[14:15]
	v_cndmask_b32_e32 v50, v18, v20, vcc
	v_cndmask_b32_e64 v50, v50, v22, s[4:5]
	v_cndmask_b32_e64 v50, v50, v24, s[6:7]
	;; [unrolled: 1-line block ×6, first 2 shown]
	s_waitcnt lgkmcnt(0)
	v_mul_f64 v[50:51], v[50:51], v[54:55]
	s_cbranch_execz .LBB7_53
	s_branch .LBB7_54
.LBB7_52:
                                        ; implicit-def: $vgpr50_vgpr51
.LBB7_53:
	ds_read_b64 v[50:51], v53
.LBB7_54:
	s_and_saveexec_b64 s[6:7], s[2:3]
	s_cbranch_execz .LBB7_64
; %bb.55:
	v_add_u32_e32 v52, -4, v0
	v_add_u32_e32 v55, -3, v0
	v_cmp_lt_u32_e32 vcc, 6, v52
	v_mov_b32_e32 v54, 3
	s_and_saveexec_b64 s[2:3], vcc
	s_cbranch_execz .LBB7_59
; %bb.56:
	v_and_b32_e32 v52, -8, v55
	v_sub_u32_e32 v52, 0, v52
	s_mov_b64 s[4:5], 10
	s_movk_i32 s10, 0x58
	s_mov_b64 s[8:9], 0
.LBB7_57:                               ; =>This Inner Loop Header: Depth=1
	s_lshl_b32 s11, s4, 1
	s_add_i32 s12, s11, -13
	v_mov_b32_e32 v70, s10
	s_add_i32 s13, s11, -14
	s_set_gpr_idx_on s12, gpr_idx(SRC0)
	v_mov_b32_e32 v65, v18
	s_set_gpr_idx_off
	s_add_i32 s14, s11, -11
	s_set_gpr_idx_on s13, gpr_idx(SRC0)
	v_mov_b32_e32 v64, v18
	s_set_gpr_idx_off
	ds_read2_b64 v[56:59], v70 offset1:1
	s_add_i32 s15, s11, -12
	s_set_gpr_idx_on s14, gpr_idx(SRC0)
	v_mov_b32_e32 v67, v18
	s_set_gpr_idx_off
	s_add_i32 s20, s11, -9
	s_set_gpr_idx_on s15, gpr_idx(SRC0)
	v_mov_b32_e32 v66, v18
	s_set_gpr_idx_off
	;; [unrolled: 4-line block ×4, first 2 shown]
	ds_read2_b64 v[60:63], v70 offset0:2 offset1:3
	s_add_i32 s23, s11, -8
	s_waitcnt lgkmcnt(1)
	v_fmac_f64_e32 v[50:51], v[64:65], v[56:57]
	s_set_gpr_idx_on s22, gpr_idx(SRC0)
	v_mov_b32_e32 v65, v18
	s_set_gpr_idx_off
	s_add_i32 s24, s11, -5
	v_fmac_f64_e32 v[50:51], v[66:67], v[58:59]
	s_set_gpr_idx_on s23, gpr_idx(SRC0)
	v_mov_b32_e32 v64, v18
	s_set_gpr_idx_off
	s_add_i32 s25, s11, -6
	s_set_gpr_idx_on s24, gpr_idx(SRC0)
	v_mov_b32_e32 v67, v18
	s_set_gpr_idx_off
	s_add_i32 s26, s11, -3
	s_set_gpr_idx_on s25, gpr_idx(SRC0)
	v_mov_b32_e32 v66, v18
	s_set_gpr_idx_off
	s_add_i32 s27, s11, -4
	ds_read2_b64 v[56:59], v70 offset0:4 offset1:5
	s_waitcnt lgkmcnt(1)
	v_fmac_f64_e32 v[50:51], v[68:69], v[60:61]
	s_set_gpr_idx_on s26, gpr_idx(SRC0)
	v_mov_b32_e32 v69, v18
	s_set_gpr_idx_off
	s_add_i32 s28, s11, -1
	v_fmac_f64_e32 v[50:51], v[64:65], v[62:63]
	s_set_gpr_idx_on s27, gpr_idx(SRC0)
	v_mov_b32_e32 v68, v18
	s_set_gpr_idx_off
	s_add_i32 s29, s11, -2
	s_set_gpr_idx_on s28, gpr_idx(SRC0)
	v_mov_b32_e32 v65, v18
	s_set_gpr_idx_off
	s_set_gpr_idx_on s29, gpr_idx(SRC0)
	v_mov_b32_e32 v64, v18
	s_set_gpr_idx_off
	ds_read2_b64 v[60:63], v70 offset0:6 offset1:7
	s_add_u32 s4, s4, 8
	s_waitcnt lgkmcnt(1)
	v_fmac_f64_e32 v[50:51], v[66:67], v[56:57]
	s_set_gpr_idx_on s11, gpr_idx(SRC0)
	v_mov_b32_e32 v57, v19
	s_set_gpr_idx_off
	v_add_u32_e32 v54, s4, v52
	v_fmac_f64_e32 v[50:51], v[68:69], v[58:59]
	s_set_gpr_idx_on s11, gpr_idx(SRC0)
	v_mov_b32_e32 v56, v18
	s_set_gpr_idx_off
	s_addc_u32 s5, s5, 0
	s_add_i32 s10, s10, 64
	s_add_i32 s12, s4, -7
	v_cmp_eq_u32_e32 vcc, 10, v54
	s_waitcnt lgkmcnt(0)
	v_fmac_f64_e32 v[50:51], v[64:65], v[60:61]
	v_mov_b32_e32 v54, s12
	s_or_b64 s[8:9], vcc, s[8:9]
	v_fmac_f64_e32 v[50:51], v[56:57], v[62:63]
	s_andn2_b64 exec, exec, s[8:9]
	s_cbranch_execnz .LBB7_57
; %bb.58:
	s_or_b64 exec, exec, s[8:9]
.LBB7_59:
	s_or_b64 exec, exec, s[2:3]
	v_and_b32_e32 v52, 7, v55
	v_cmp_ne_u32_e32 vcc, 0, v52
	s_and_saveexec_b64 s[8:9], vcc
	s_cbranch_execz .LBB7_63
; %bb.60:
	v_lshl_add_u32 v56, v54, 3, 64
	v_mov_b32_e32 v55, 0
	s_mov_b64 s[10:11], 0
.LBB7_61:                               ; =>This Inner Loop Header: Depth=1
	v_cmp_eq_u32_e32 vcc, 1, v54
	v_add_u32_e32 v52, -1, v52
	v_cmp_eq_u32_e64 s[2:3], 2, v54
	v_cndmask_b32_e32 v57, v19, v21, vcc
	v_cndmask_b32_e32 v60, v18, v20, vcc
	v_cndmask_b32_e64 v57, v57, v23, s[2:3]
	v_cmp_eq_u32_e32 vcc, 0, v52
	v_cmp_eq_u32_e64 s[4:5], 3, v54
	v_cndmask_b32_e64 v60, v60, v22, s[2:3]
	s_or_b64 s[10:11], vcc, s[10:11]
	v_cndmask_b32_e64 v57, v57, v25, s[4:5]
	v_cmp_eq_u32_e32 vcc, 4, v54
	ds_read_b64 v[58:59], v56
	v_cndmask_b32_e64 v60, v60, v24, s[4:5]
	v_cndmask_b32_e32 v57, v57, v27, vcc
	v_cmp_eq_u32_e64 s[2:3], 5, v54
	v_cndmask_b32_e32 v60, v60, v26, vcc
	v_cmp_eq_u32_e32 vcc, 6, v54
	v_cndmask_b32_e64 v57, v57, v29, s[2:3]
	v_cmp_eq_u32_e64 s[4:5], 7, v54
	v_cndmask_b32_e32 v57, v57, v31, vcc
	v_cndmask_b32_e64 v60, v60, v28, s[2:3]
	v_cndmask_b32_e64 v61, v57, v33, s[4:5]
	v_cndmask_b32_e32 v57, v60, v30, vcc
	v_cndmask_b32_e64 v60, v57, v32, s[4:5]
	v_add_u32_e32 v56, 8, v56
	v_lshl_add_u64 v[54:55], v[54:55], 0, 1
	s_waitcnt lgkmcnt(0)
	v_fmac_f64_e32 v[50:51], v[60:61], v[58:59]
	s_andn2_b64 exec, exec, s[10:11]
	s_cbranch_execnz .LBB7_61
; %bb.62:
	s_or_b64 exec, exec, s[10:11]
.LBB7_63:
	s_or_b64 exec, exec, s[8:9]
.LBB7_64:
	s_or_b64 exec, exec, s[6:7]
	v_mov_b32_e32 v22, 0
	ds_read_b64 v[22:23], v22 offset:16
	s_waitcnt lgkmcnt(0)
	v_mul_f64 v[22:23], v[50:51], v[22:23]
.LBB7_65:
	s_or_b64 exec, exec, s[16:17]
	v_cmp_lt_u32_e64 s[2:3], 1, v0
	ds_write_b64 v53, v[20:21]
	s_waitcnt lgkmcnt(0)
	; wave barrier
	s_and_saveexec_b64 s[16:17], s[2:3]
	s_cbranch_execz .LBB7_81
; %bb.66:
	s_andn2_b64 vcc, exec, s[18:19]
	s_cbranch_vccnz .LBB7_68
; %bb.67:
	v_cmp_eq_u32_e32 vcc, 1, v0
	v_cmp_eq_u32_e64 s[4:5], 2, v0
	v_cmp_eq_u32_e64 s[6:7], 3, v0
	v_cndmask_b32_e32 v50, v19, v21, vcc
	v_cndmask_b32_e64 v50, v50, v23, s[4:5]
	v_cndmask_b32_e64 v50, v50, v25, s[6:7]
	v_cmp_eq_u32_e64 s[8:9], 4, v0
	v_cmp_eq_u32_e64 s[10:11], 5, v0
	;; [unrolled: 1-line block ×3, first 2 shown]
	v_cndmask_b32_e64 v50, v50, v27, s[8:9]
	v_cndmask_b32_e64 v50, v50, v29, s[10:11]
	v_cndmask_b32_e64 v50, v50, v31, s[12:13]
	v_cmp_eq_u32_e64 s[14:15], 7, v0
	ds_read_b64 v[54:55], v53
	s_nop 0
	v_cndmask_b32_e64 v51, v50, v33, s[14:15]
	v_cndmask_b32_e32 v50, v18, v20, vcc
	v_cndmask_b32_e64 v50, v50, v22, s[4:5]
	v_cndmask_b32_e64 v50, v50, v24, s[6:7]
	v_cndmask_b32_e64 v50, v50, v26, s[8:9]
	v_cndmask_b32_e64 v50, v50, v28, s[10:11]
	v_cndmask_b32_e64 v50, v50, v30, s[12:13]
	v_cndmask_b32_e64 v50, v50, v32, s[14:15]
	s_waitcnt lgkmcnt(0)
	v_mul_f64 v[50:51], v[50:51], v[54:55]
	s_cbranch_execz .LBB7_69
	s_branch .LBB7_70
.LBB7_68:
                                        ; implicit-def: $vgpr50_vgpr51
.LBB7_69:
	ds_read_b64 v[50:51], v53
.LBB7_70:
	s_and_saveexec_b64 s[6:7], s[0:1]
	s_cbranch_execz .LBB7_80
; %bb.71:
	v_add_u32_e32 v52, -3, v0
	v_add_u32_e32 v55, -2, v0
	v_cmp_lt_u32_e32 vcc, 6, v52
	v_mov_b32_e32 v54, 2
	s_and_saveexec_b64 s[0:1], vcc
	s_cbranch_execz .LBB7_75
; %bb.72:
	v_and_b32_e32 v52, -8, v55
	v_sub_u32_e32 v52, 0, v52
	s_mov_b64 s[4:5], 9
	s_movk_i32 s10, 0x50
	s_mov_b64 s[8:9], 0
.LBB7_73:                               ; =>This Inner Loop Header: Depth=1
	s_lshl_b32 s11, s4, 1
	s_add_i32 s12, s11, -13
	s_add_i32 s13, s11, -14
	s_set_gpr_idx_on s12, gpr_idx(SRC0)
	v_mov_b32_e32 v73, v18
	s_set_gpr_idx_off
	v_mov_b32_e32 v54, s10
	s_add_i32 s14, s11, -11
	s_set_gpr_idx_on s13, gpr_idx(SRC0)
	v_mov_b32_e32 v72, v18
	s_set_gpr_idx_off
	s_add_i32 s15, s11, -12
	ds_read_b128 v[56:59], v54
	ds_read_b128 v[60:63], v54 offset:16
	ds_read_b128 v[64:67], v54 offset:32
	;; [unrolled: 1-line block ×3, first 2 shown]
	s_set_gpr_idx_on s14, gpr_idx(SRC0)
	v_mov_b32_e32 v75, v18
	s_set_gpr_idx_off
	s_add_i32 s20, s11, -9
	s_set_gpr_idx_on s15, gpr_idx(SRC0)
	v_mov_b32_e32 v74, v18
	s_set_gpr_idx_off
	s_add_i32 s21, s11, -10
	;; [unrolled: 4-line block ×4, first 2 shown]
	s_waitcnt lgkmcnt(3)
	v_fmac_f64_e32 v[50:51], v[72:73], v[56:57]
	s_set_gpr_idx_on s22, gpr_idx(SRC0)
	v_mov_b32_e32 v57, v18
	s_set_gpr_idx_off
	s_add_i32 s24, s11, -5
	v_fmac_f64_e32 v[50:51], v[74:75], v[58:59]
	s_set_gpr_idx_on s23, gpr_idx(SRC0)
	v_mov_b32_e32 v56, v18
	s_set_gpr_idx_off
	s_add_i32 s25, s11, -6
	s_waitcnt lgkmcnt(2)
	v_fmac_f64_e32 v[50:51], v[76:77], v[60:61]
	s_set_gpr_idx_on s24, gpr_idx(SRC0)
	v_mov_b32_e32 v59, v18
	s_set_gpr_idx_off
	s_add_i32 s26, s11, -3
	v_fmac_f64_e32 v[50:51], v[56:57], v[62:63]
	s_set_gpr_idx_on s25, gpr_idx(SRC0)
	v_mov_b32_e32 v58, v18
	s_set_gpr_idx_off
	s_add_i32 s27, s11, -4
	s_waitcnt lgkmcnt(1)
	v_fmac_f64_e32 v[50:51], v[58:59], v[64:65]
	s_set_gpr_idx_on s26, gpr_idx(SRC0)
	v_mov_b32_e32 v57, v18
	s_set_gpr_idx_off
	s_add_i32 s28, s11, -1
	s_set_gpr_idx_on s27, gpr_idx(SRC0)
	v_mov_b32_e32 v56, v18
	s_set_gpr_idx_off
	s_add_i32 s29, s11, -2
	v_fmac_f64_e32 v[50:51], v[56:57], v[66:67]
	s_set_gpr_idx_on s28, gpr_idx(SRC0)
	v_mov_b32_e32 v57, v18
	s_set_gpr_idx_off
	s_add_u32 s4, s4, 8
	s_set_gpr_idx_on s29, gpr_idx(SRC0)
	v_mov_b32_e32 v56, v18
	s_set_gpr_idx_off
	v_add_u32_e32 v54, s4, v52
	s_waitcnt lgkmcnt(0)
	v_fmac_f64_e32 v[50:51], v[56:57], v[68:69]
	s_set_gpr_idx_on s11, gpr_idx(SRC0)
	v_mov_b32_e32 v57, v19
	s_set_gpr_idx_off
	s_addc_u32 s5, s5, 0
	s_add_i32 s10, s10, 64
	s_add_i32 s12, s4, -7
	v_cmp_eq_u32_e32 vcc, 9, v54
	s_set_gpr_idx_on s11, gpr_idx(SRC0)
	v_mov_b32_e32 v56, v18
	s_set_gpr_idx_off
	v_mov_b32_e32 v54, s12
	s_or_b64 s[8:9], vcc, s[8:9]
	v_fmac_f64_e32 v[50:51], v[56:57], v[70:71]
	s_andn2_b64 exec, exec, s[8:9]
	s_cbranch_execnz .LBB7_73
; %bb.74:
	s_or_b64 exec, exec, s[8:9]
.LBB7_75:
	s_or_b64 exec, exec, s[0:1]
	v_and_b32_e32 v52, 7, v55
	v_cmp_ne_u32_e32 vcc, 0, v52
	s_and_saveexec_b64 s[8:9], vcc
	s_cbranch_execz .LBB7_79
; %bb.76:
	v_lshl_add_u32 v56, v54, 3, 64
	v_mov_b32_e32 v55, 0
	s_mov_b64 s[10:11], 0
.LBB7_77:                               ; =>This Inner Loop Header: Depth=1
	v_cmp_eq_u32_e32 vcc, 1, v54
	v_add_u32_e32 v52, -1, v52
	v_cmp_eq_u32_e64 s[0:1], 2, v54
	v_cndmask_b32_e32 v57, v19, v21, vcc
	v_cndmask_b32_e32 v60, v18, v20, vcc
	v_cndmask_b32_e64 v57, v57, v23, s[0:1]
	v_cmp_eq_u32_e32 vcc, 0, v52
	v_cmp_eq_u32_e64 s[4:5], 3, v54
	v_cndmask_b32_e64 v60, v60, v22, s[0:1]
	s_or_b64 s[10:11], vcc, s[10:11]
	v_cndmask_b32_e64 v57, v57, v25, s[4:5]
	v_cmp_eq_u32_e32 vcc, 4, v54
	ds_read_b64 v[58:59], v56
	v_cndmask_b32_e64 v60, v60, v24, s[4:5]
	v_cndmask_b32_e32 v57, v57, v27, vcc
	v_cmp_eq_u32_e64 s[0:1], 5, v54
	v_cndmask_b32_e32 v60, v60, v26, vcc
	v_cmp_eq_u32_e32 vcc, 6, v54
	v_cndmask_b32_e64 v57, v57, v29, s[0:1]
	v_cmp_eq_u32_e64 s[4:5], 7, v54
	v_cndmask_b32_e32 v57, v57, v31, vcc
	v_cndmask_b32_e64 v60, v60, v28, s[0:1]
	v_cndmask_b32_e64 v61, v57, v33, s[4:5]
	v_cndmask_b32_e32 v57, v60, v30, vcc
	v_cndmask_b32_e64 v60, v57, v32, s[4:5]
	v_add_u32_e32 v56, 8, v56
	v_lshl_add_u64 v[54:55], v[54:55], 0, 1
	s_waitcnt lgkmcnt(0)
	v_fmac_f64_e32 v[50:51], v[60:61], v[58:59]
	s_andn2_b64 exec, exec, s[10:11]
	s_cbranch_execnz .LBB7_77
; %bb.78:
	s_or_b64 exec, exec, s[10:11]
.LBB7_79:
	s_or_b64 exec, exec, s[8:9]
.LBB7_80:
	s_or_b64 exec, exec, s[6:7]
	v_mov_b32_e32 v20, 0
	ds_read_b64 v[20:21], v20 offset:8
	s_waitcnt lgkmcnt(0)
	v_mul_f64 v[20:21], v[50:51], v[20:21]
.LBB7_81:
	s_or_b64 exec, exec, s[16:17]
	v_cmp_ne_u32_e32 vcc, 0, v0
	ds_write_b64 v53, v[18:19]
	s_waitcnt lgkmcnt(0)
	; wave barrier
	s_and_saveexec_b64 s[14:15], vcc
	s_cbranch_execz .LBB7_97
; %bb.82:
	s_andn2_b64 vcc, exec, s[18:19]
	s_cbranch_vccnz .LBB7_84
; %bb.83:
	v_cmp_eq_u32_e32 vcc, 1, v0
	v_cmp_eq_u32_e64 s[0:1], 2, v0
	v_cmp_eq_u32_e64 s[4:5], 3, v0
	v_cndmask_b32_e32 v50, v19, v21, vcc
	v_cndmask_b32_e64 v50, v50, v23, s[0:1]
	v_cndmask_b32_e64 v50, v50, v25, s[4:5]
	v_cmp_eq_u32_e64 s[6:7], 4, v0
	v_cmp_eq_u32_e64 s[8:9], 5, v0
	v_cmp_eq_u32_e64 s[10:11], 6, v0
	v_cndmask_b32_e64 v50, v50, v27, s[6:7]
	v_cndmask_b32_e64 v50, v50, v29, s[8:9]
	;; [unrolled: 1-line block ×3, first 2 shown]
	v_cmp_eq_u32_e64 s[12:13], 7, v0
	ds_read_b64 v[54:55], v53
	s_nop 0
	v_cndmask_b32_e64 v51, v50, v33, s[12:13]
	v_cndmask_b32_e32 v50, v18, v20, vcc
	v_cndmask_b32_e64 v50, v50, v22, s[0:1]
	v_cndmask_b32_e64 v50, v50, v24, s[4:5]
	v_cndmask_b32_e64 v50, v50, v26, s[6:7]
	v_cndmask_b32_e64 v50, v50, v28, s[8:9]
	v_cndmask_b32_e64 v50, v50, v30, s[10:11]
	v_cndmask_b32_e64 v50, v50, v32, s[12:13]
	s_waitcnt lgkmcnt(0)
	v_mul_f64 v[50:51], v[50:51], v[54:55]
	s_cbranch_execz .LBB7_85
	s_branch .LBB7_86
.LBB7_84:
                                        ; implicit-def: $vgpr50_vgpr51
.LBB7_85:
	ds_read_b64 v[50:51], v53
.LBB7_86:
	s_and_saveexec_b64 s[4:5], s[2:3]
	s_cbranch_execz .LBB7_96
; %bb.87:
	v_add_u32_e32 v52, -2, v0
	v_add_u32_e32 v55, -1, v0
	v_cmp_lt_u32_e32 vcc, 6, v52
	v_mov_b32_e32 v54, 1
	s_and_saveexec_b64 s[0:1], vcc
	s_cbranch_execz .LBB7_91
; %bb.88:
	v_and_b32_e32 v52, -8, v55
	v_sub_u32_e32 v52, 0, v52
	s_mov_b64 s[2:3], 8
	s_movk_i32 s8, 0x48
	s_mov_b64 s[6:7], 0
.LBB7_89:                               ; =>This Inner Loop Header: Depth=1
	s_lshl_b32 s9, s2, 1
	s_add_i32 s10, s9, -13
	v_mov_b32_e32 v70, s8
	s_add_i32 s11, s9, -14
	s_set_gpr_idx_on s10, gpr_idx(SRC0)
	v_mov_b32_e32 v65, v18
	s_set_gpr_idx_off
	s_add_i32 s12, s9, -11
	s_set_gpr_idx_on s11, gpr_idx(SRC0)
	v_mov_b32_e32 v64, v18
	s_set_gpr_idx_off
	ds_read2_b64 v[56:59], v70 offset1:1
	s_add_i32 s13, s9, -12
	s_set_gpr_idx_on s12, gpr_idx(SRC0)
	v_mov_b32_e32 v67, v18
	s_set_gpr_idx_off
	s_add_i32 s16, s9, -9
	s_set_gpr_idx_on s13, gpr_idx(SRC0)
	v_mov_b32_e32 v66, v18
	s_set_gpr_idx_off
	;; [unrolled: 4-line block ×4, first 2 shown]
	ds_read2_b64 v[60:63], v70 offset0:2 offset1:3
	s_add_i32 s21, s9, -8
	s_waitcnt lgkmcnt(1)
	v_fmac_f64_e32 v[50:51], v[64:65], v[56:57]
	s_set_gpr_idx_on s20, gpr_idx(SRC0)
	v_mov_b32_e32 v65, v18
	s_set_gpr_idx_off
	s_add_i32 s22, s9, -5
	v_fmac_f64_e32 v[50:51], v[66:67], v[58:59]
	s_set_gpr_idx_on s21, gpr_idx(SRC0)
	v_mov_b32_e32 v64, v18
	s_set_gpr_idx_off
	s_add_i32 s23, s9, -6
	s_set_gpr_idx_on s22, gpr_idx(SRC0)
	v_mov_b32_e32 v67, v18
	s_set_gpr_idx_off
	s_add_i32 s24, s9, -3
	;; [unrolled: 4-line block ×3, first 2 shown]
	ds_read2_b64 v[56:59], v70 offset0:4 offset1:5
	s_waitcnt lgkmcnt(1)
	v_fmac_f64_e32 v[50:51], v[68:69], v[60:61]
	s_set_gpr_idx_on s24, gpr_idx(SRC0)
	v_mov_b32_e32 v69, v18
	s_set_gpr_idx_off
	s_add_i32 s26, s9, -1
	v_fmac_f64_e32 v[50:51], v[64:65], v[62:63]
	s_set_gpr_idx_on s25, gpr_idx(SRC0)
	v_mov_b32_e32 v68, v18
	s_set_gpr_idx_off
	s_add_i32 s27, s9, -2
	s_set_gpr_idx_on s26, gpr_idx(SRC0)
	v_mov_b32_e32 v65, v18
	s_set_gpr_idx_off
	s_set_gpr_idx_on s27, gpr_idx(SRC0)
	v_mov_b32_e32 v64, v18
	s_set_gpr_idx_off
	ds_read2_b64 v[60:63], v70 offset0:6 offset1:7
	s_add_u32 s2, s2, 8
	s_waitcnt lgkmcnt(1)
	v_fmac_f64_e32 v[50:51], v[66:67], v[56:57]
	s_set_gpr_idx_on s9, gpr_idx(SRC0)
	v_mov_b32_e32 v57, v19
	s_set_gpr_idx_off
	v_add_u32_e32 v54, s2, v52
	v_fmac_f64_e32 v[50:51], v[68:69], v[58:59]
	s_set_gpr_idx_on s9, gpr_idx(SRC0)
	v_mov_b32_e32 v56, v18
	s_set_gpr_idx_off
	s_addc_u32 s3, s3, 0
	s_add_i32 s8, s8, 64
	s_add_i32 s10, s2, -7
	v_cmp_eq_u32_e32 vcc, 8, v54
	s_waitcnt lgkmcnt(0)
	v_fmac_f64_e32 v[50:51], v[64:65], v[60:61]
	v_mov_b32_e32 v54, s10
	s_or_b64 s[6:7], vcc, s[6:7]
	v_fmac_f64_e32 v[50:51], v[56:57], v[62:63]
	s_andn2_b64 exec, exec, s[6:7]
	s_cbranch_execnz .LBB7_89
; %bb.90:
	s_or_b64 exec, exec, s[6:7]
.LBB7_91:
	s_or_b64 exec, exec, s[0:1]
	v_and_b32_e32 v52, 7, v55
	v_cmp_ne_u32_e32 vcc, 0, v52
	s_and_saveexec_b64 s[6:7], vcc
	s_cbranch_execz .LBB7_95
; %bb.92:
	v_lshl_add_u32 v56, v54, 3, 64
	v_mov_b32_e32 v55, 0
	s_mov_b64 s[8:9], 0
.LBB7_93:                               ; =>This Inner Loop Header: Depth=1
	v_cmp_eq_u32_e32 vcc, 1, v54
	v_add_u32_e32 v52, -1, v52
	v_cmp_eq_u32_e64 s[0:1], 2, v54
	v_cndmask_b32_e32 v57, v19, v21, vcc
	v_cndmask_b32_e32 v60, v18, v20, vcc
	v_cndmask_b32_e64 v57, v57, v23, s[0:1]
	v_cmp_eq_u32_e32 vcc, 0, v52
	v_cmp_eq_u32_e64 s[2:3], 3, v54
	v_cndmask_b32_e64 v60, v60, v22, s[0:1]
	s_or_b64 s[8:9], vcc, s[8:9]
	v_cndmask_b32_e64 v57, v57, v25, s[2:3]
	v_cmp_eq_u32_e32 vcc, 4, v54
	ds_read_b64 v[58:59], v56
	v_cndmask_b32_e64 v60, v60, v24, s[2:3]
	v_cndmask_b32_e32 v57, v57, v27, vcc
	v_cmp_eq_u32_e64 s[0:1], 5, v54
	v_cndmask_b32_e32 v60, v60, v26, vcc
	v_cmp_eq_u32_e32 vcc, 6, v54
	v_cndmask_b32_e64 v57, v57, v29, s[0:1]
	v_cmp_eq_u32_e64 s[2:3], 7, v54
	v_cndmask_b32_e32 v57, v57, v31, vcc
	v_cndmask_b32_e64 v60, v60, v28, s[0:1]
	v_cndmask_b32_e64 v61, v57, v33, s[2:3]
	v_cndmask_b32_e32 v57, v60, v30, vcc
	v_cndmask_b32_e64 v60, v57, v32, s[2:3]
	v_add_u32_e32 v56, 8, v56
	v_lshl_add_u64 v[54:55], v[54:55], 0, 1
	s_waitcnt lgkmcnt(0)
	v_fmac_f64_e32 v[50:51], v[60:61], v[58:59]
	s_andn2_b64 exec, exec, s[8:9]
	s_cbranch_execnz .LBB7_93
; %bb.94:
	s_or_b64 exec, exec, s[8:9]
.LBB7_95:
	s_or_b64 exec, exec, s[6:7]
.LBB7_96:
	s_or_b64 exec, exec, s[4:5]
	v_mov_b32_e32 v18, 0
	ds_read_b64 v[18:19], v18
	s_waitcnt lgkmcnt(0)
	v_mul_f64 v[18:19], v[50:51], v[18:19]
.LBB7_97:
	s_or_b64 exec, exec, s[14:15]
	s_branch .LBB7_159
.LBB7_98:
	v_cmp_eq_u32_e64 s[2:3], 0, v0
	s_waitcnt vmcnt(7)
	ds_write_b64 v53, v[4:5]
	s_waitcnt lgkmcnt(0)
	; wave barrier
	s_and_saveexec_b64 s[14:15], s[2:3]
	s_cbranch_execz .LBB7_104
; %bb.99:
	s_and_b64 vcc, exec, s[18:19]
	s_cbranch_vccz .LBB7_101
; %bb.100:
	v_cmp_eq_u32_e32 vcc, 1, v0
	v_cmp_eq_u32_e64 s[0:1], 2, v0
	v_cmp_eq_u32_e64 s[4:5], 3, v0
	s_waitcnt vmcnt(3)
	v_cndmask_b32_e32 v5, v3, v5, vcc
	v_cndmask_b32_e32 v4, v2, v4, vcc
	v_cndmask_b32_e64 v5, v5, v7, s[0:1]
	v_cndmask_b32_e64 v4, v4, v6, s[0:1]
	;; [unrolled: 1-line block ×3, first 2 shown]
	v_cmp_eq_u32_e64 s[6:7], 4, v0
	v_cndmask_b32_e64 v4, v4, v8, s[4:5]
	ds_read_b64 v[18:19], v53
	v_cndmask_b32_e64 v5, v5, v11, s[6:7]
	v_cmp_eq_u32_e64 s[8:9], 5, v0
	v_cndmask_b32_e64 v4, v4, v10, s[6:7]
	v_cmp_eq_u32_e64 s[10:11], 6, v0
	s_waitcnt vmcnt(2)
	v_cndmask_b32_e64 v5, v5, v13, s[8:9]
	v_cndmask_b32_e64 v4, v4, v12, s[8:9]
	s_waitcnt vmcnt(1)
	v_cndmask_b32_e64 v5, v5, v15, s[10:11]
	v_cmp_eq_u32_e64 s[12:13], 7, v0
	v_cndmask_b32_e64 v4, v4, v14, s[10:11]
	s_waitcnt vmcnt(0)
	v_cndmask_b32_e64 v5, v5, v17, s[12:13]
	v_cndmask_b32_e64 v4, v4, v16, s[12:13]
	s_waitcnt lgkmcnt(0)
	v_mul_f64 v[4:5], v[4:5], v[18:19]
	s_cbranch_execz .LBB7_102
	s_branch .LBB7_103
.LBB7_101:
                                        ; implicit-def: $vgpr4_vgpr5
.LBB7_102:
	ds_read_b64 v[4:5], v53
.LBB7_103:
	v_mov_b32_e32 v18, 0
	ds_read_b64 v[18:19], v18 offset:8
	s_waitcnt lgkmcnt(0)
	v_mul_f64 v[4:5], v[4:5], v[18:19]
.LBB7_104:
	s_or_b64 exec, exec, s[14:15]
	v_cndmask_b32_e64 v18, 0, 1, s[18:19]
	v_cmp_gt_u32_e32 vcc, 2, v0
	v_cmp_ne_u32_e64 s[0:1], 1, v18
	s_waitcnt vmcnt(6)
	ds_write_b64 v53, v[6:7]
	s_waitcnt lgkmcnt(0)
	; wave barrier
	s_and_saveexec_b64 s[16:17], vcc
	s_cbranch_execz .LBB7_110
; %bb.105:
	s_and_b64 vcc, exec, s[0:1]
	s_cbranch_vccnz .LBB7_107
; %bb.106:
	v_cmp_eq_u32_e32 vcc, 1, v0
	v_cmp_eq_u32_e64 s[4:5], 2, v0
	v_cmp_eq_u32_e64 s[6:7], 3, v0
	s_waitcnt vmcnt(3)
	v_cndmask_b32_e32 v18, v3, v5, vcc
	v_cndmask_b32_e64 v7, v18, v7, s[4:5]
	v_cndmask_b32_e32 v18, v2, v4, vcc
	v_cndmask_b32_e64 v6, v18, v6, s[4:5]
	v_cndmask_b32_e64 v7, v7, v9, s[6:7]
	v_cmp_eq_u32_e64 s[8:9], 4, v0
	v_cndmask_b32_e64 v6, v6, v8, s[6:7]
	ds_read_b64 v[18:19], v53
	v_cndmask_b32_e64 v7, v7, v11, s[8:9]
	v_cmp_eq_u32_e64 s[10:11], 5, v0
	v_cndmask_b32_e64 v6, v6, v10, s[8:9]
	v_cmp_eq_u32_e64 s[12:13], 6, v0
	s_waitcnt vmcnt(2)
	v_cndmask_b32_e64 v7, v7, v13, s[10:11]
	v_cndmask_b32_e64 v6, v6, v12, s[10:11]
	s_waitcnt vmcnt(1)
	v_cndmask_b32_e64 v7, v7, v15, s[12:13]
	v_cmp_eq_u32_e64 s[14:15], 7, v0
	v_cndmask_b32_e64 v6, v6, v14, s[12:13]
	s_waitcnt vmcnt(0)
	v_cndmask_b32_e64 v7, v7, v17, s[14:15]
	v_cndmask_b32_e64 v6, v6, v16, s[14:15]
	s_waitcnt lgkmcnt(0)
	v_mul_f64 v[6:7], v[6:7], v[18:19]
	s_cbranch_execz .LBB7_108
	s_branch .LBB7_109
.LBB7_107:
                                        ; implicit-def: $vgpr6_vgpr7
.LBB7_108:
	ds_read_b64 v[6:7], v53
.LBB7_109:
	v_mov_b32_e32 v18, 0
	ds_read2_b64 v[18:21], v18 offset0:2 offset1:9
	s_waitcnt lgkmcnt(0)
	v_fma_f64 v[20:21], v[4:5], v[20:21], v[6:7]
	v_cndmask_b32_e64 v7, v7, v21, s[2:3]
	v_cndmask_b32_e64 v6, v6, v20, s[2:3]
	v_mul_f64 v[6:7], v[6:7], v[18:19]
.LBB7_110:
	s_or_b64 exec, exec, s[16:17]
	v_cmp_gt_u32_e32 vcc, 3, v0
	s_waitcnt vmcnt(5)
	ds_write_b64 v53, v[8:9]
	s_waitcnt lgkmcnt(0)
	; wave barrier
	s_and_saveexec_b64 s[16:17], vcc
	s_cbranch_execz .LBB7_118
; %bb.111:
	s_and_b64 vcc, exec, s[0:1]
	s_cbranch_vccnz .LBB7_113
; %bb.112:
	v_cmp_eq_u32_e32 vcc, 1, v0
	v_cmp_eq_u32_e64 s[4:5], 2, v0
	v_cmp_eq_u32_e64 s[6:7], 3, v0
	s_waitcnt vmcnt(3)
	v_cndmask_b32_e32 v18, v3, v5, vcc
	v_cndmask_b32_e64 v18, v18, v7, s[4:5]
	v_cndmask_b32_e64 v18, v18, v9, s[6:7]
	v_cmp_eq_u32_e64 s[8:9], 4, v0
	v_cmp_eq_u32_e64 s[10:11], 5, v0
	;; [unrolled: 1-line block ×3, first 2 shown]
	v_cndmask_b32_e64 v18, v18, v11, s[8:9]
	s_waitcnt vmcnt(2)
	v_cndmask_b32_e64 v18, v18, v13, s[10:11]
	s_waitcnt vmcnt(1)
	v_cndmask_b32_e64 v18, v18, v15, s[12:13]
	v_cmp_eq_u32_e64 s[14:15], 7, v0
	ds_read_b64 v[20:21], v53
	s_waitcnt vmcnt(0)
	v_cndmask_b32_e64 v19, v18, v17, s[14:15]
	v_cndmask_b32_e32 v18, v2, v4, vcc
	v_cndmask_b32_e64 v18, v18, v6, s[4:5]
	v_cndmask_b32_e64 v18, v18, v8, s[6:7]
	;; [unrolled: 1-line block ×6, first 2 shown]
	s_waitcnt lgkmcnt(0)
	v_mul_f64 v[18:19], v[18:19], v[20:21]
	s_cbranch_execz .LBB7_114
	s_branch .LBB7_115
.LBB7_113:
                                        ; implicit-def: $vgpr18_vgpr19
.LBB7_114:
	ds_read_b64 v[18:19], v53
.LBB7_115:
	v_cmp_ne_u32_e32 vcc, 2, v0
	s_and_saveexec_b64 s[18:19], vcc
	s_cbranch_execz .LBB7_117
; %bb.116:
	v_add_u32_e32 v20, 1, v0
	v_cmp_eq_u32_e32 vcc, 1, v20
	v_cmp_eq_u32_e64 s[4:5], 2, v20
	v_cmp_eq_u32_e64 s[6:7], 3, v20
	s_waitcnt vmcnt(3)
	v_cndmask_b32_e32 v21, v3, v5, vcc
	v_cmp_eq_u32_e64 s[8:9], 4, v20
	v_cmp_eq_u32_e64 s[10:11], 5, v20
	;; [unrolled: 1-line block ×4, first 2 shown]
	v_cndmask_b32_e32 v20, v2, v4, vcc
	v_cndmask_b32_e64 v21, v21, v7, s[4:5]
	v_cndmask_b32_e64 v20, v20, v6, s[4:5]
	;; [unrolled: 1-line block ×4, first 2 shown]
	v_mov_b32_e32 v22, 0
	v_cndmask_b32_e64 v9, v9, v11, s[8:9]
	v_cndmask_b32_e64 v8, v8, v10, s[8:9]
	ds_read_b64 v[20:21], v53 offset:8
	ds_read_b64 v[22:23], v22 offset:80
	s_waitcnt vmcnt(2)
	v_cndmask_b32_e64 v9, v9, v13, s[10:11]
	v_cndmask_b32_e64 v8, v8, v12, s[10:11]
	s_waitcnt vmcnt(1)
	v_cndmask_b32_e64 v9, v9, v15, s[12:13]
	v_cndmask_b32_e64 v8, v8, v14, s[12:13]
	;; [unrolled: 3-line block ×3, first 2 shown]
	s_waitcnt lgkmcnt(1)
	v_fmac_f64_e32 v[18:19], v[8:9], v[20:21]
	s_waitcnt lgkmcnt(0)
	v_fma_f64 v[8:9], v[6:7], v[22:23], v[18:19]
	v_cndmask_b32_e64 v19, v19, v9, s[2:3]
	v_cndmask_b32_e64 v18, v18, v8, s[2:3]
.LBB7_117:
	s_or_b64 exec, exec, s[18:19]
	v_mov_b32_e32 v8, 0
	ds_read_b64 v[8:9], v8 offset:24
	s_waitcnt lgkmcnt(0)
	v_mul_f64 v[8:9], v[18:19], v[8:9]
.LBB7_118:
	s_or_b64 exec, exec, s[16:17]
	v_cmp_gt_u32_e32 vcc, 4, v0
	s_waitcnt vmcnt(4)
	ds_write_b64 v53, v[10:11]
	s_waitcnt lgkmcnt(0)
	; wave barrier
	s_and_saveexec_b64 s[14:15], vcc
	s_cbranch_execz .LBB7_128
; %bb.119:
	s_and_b64 vcc, exec, s[0:1]
	s_cbranch_vccnz .LBB7_121
; %bb.120:
	v_cmp_eq_u32_e32 vcc, 1, v0
	v_cmp_eq_u32_e64 s[2:3], 2, v0
	v_cmp_eq_u32_e64 s[4:5], 3, v0
	s_waitcnt vmcnt(3)
	v_cndmask_b32_e32 v18, v3, v5, vcc
	v_cndmask_b32_e64 v18, v18, v7, s[2:3]
	v_cndmask_b32_e64 v18, v18, v9, s[4:5]
	v_cmp_eq_u32_e64 s[6:7], 4, v0
	v_cmp_eq_u32_e64 s[8:9], 5, v0
	;; [unrolled: 1-line block ×3, first 2 shown]
	v_cndmask_b32_e64 v18, v18, v11, s[6:7]
	s_waitcnt vmcnt(2)
	v_cndmask_b32_e64 v18, v18, v13, s[8:9]
	s_waitcnt vmcnt(1)
	v_cndmask_b32_e64 v18, v18, v15, s[10:11]
	v_cmp_eq_u32_e64 s[12:13], 7, v0
	ds_read_b64 v[20:21], v53
	s_waitcnt vmcnt(0)
	v_cndmask_b32_e64 v19, v18, v17, s[12:13]
	v_cndmask_b32_e32 v18, v2, v4, vcc
	v_cndmask_b32_e64 v18, v18, v6, s[2:3]
	v_cndmask_b32_e64 v18, v18, v8, s[4:5]
	;; [unrolled: 1-line block ×6, first 2 shown]
	s_waitcnt lgkmcnt(0)
	v_mul_f64 v[18:19], v[18:19], v[20:21]
	s_cbranch_execz .LBB7_122
	s_branch .LBB7_123
.LBB7_121:
                                        ; implicit-def: $vgpr18_vgpr19
.LBB7_122:
	ds_read_b64 v[18:19], v53
.LBB7_123:
	v_cmp_ne_u32_e32 vcc, 3, v0
	s_and_saveexec_b64 s[6:7], vcc
	s_cbranch_execz .LBB7_127
; %bb.124:
	v_mov_b32_e32 v20, 0x48
	v_lshl_add_u32 v22, v0, 3, v20
	s_mov_b64 s[8:9], 0
	v_mov_b64_e32 v[20:21], v[0:1]
.LBB7_125:                              ; =>This Inner Loop Header: Depth=1
	v_lshl_add_u64 v[20:21], v[20:21], 0, 1
	v_cmp_eq_u32_e32 vcc, 1, v20
	v_cmp_eq_u32_e64 s[4:5], 2, v20
	v_cmp_lt_u32_e64 s[2:3], 2, v20
	s_waitcnt vmcnt(3)
	v_cndmask_b32_e32 v23, v3, v5, vcc
	v_cndmask_b32_e64 v23, v23, v7, s[4:5]
	v_cndmask_b32_e32 v26, v2, v4, vcc
	v_cmp_eq_u32_e32 vcc, 3, v20
	s_or_b64 s[8:9], s[2:3], s[8:9]
	v_cndmask_b32_e64 v26, v26, v6, s[4:5]
	v_cndmask_b32_e32 v23, v23, v9, vcc
	v_cmp_eq_u32_e64 s[2:3], 4, v20
	ds_read_b64 v[24:25], v22
	v_cndmask_b32_e32 v26, v26, v8, vcc
	v_cndmask_b32_e64 v23, v23, v11, s[2:3]
	v_cmp_eq_u32_e32 vcc, 5, v20
	v_cndmask_b32_e64 v26, v26, v10, s[2:3]
	v_cmp_eq_u32_e64 s[2:3], 6, v20
	s_waitcnt vmcnt(2)
	v_cndmask_b32_e32 v23, v23, v13, vcc
	v_cndmask_b32_e32 v26, v26, v12, vcc
	s_waitcnt vmcnt(1)
	v_cndmask_b32_e64 v23, v23, v15, s[2:3]
	v_cmp_eq_u32_e32 vcc, 7, v20
	v_add_u32_e32 v22, 8, v22
	s_waitcnt vmcnt(0)
	v_cndmask_b32_e32 v27, v23, v17, vcc
	v_cndmask_b32_e64 v23, v26, v14, s[2:3]
	v_cndmask_b32_e32 v26, v23, v16, vcc
	s_waitcnt lgkmcnt(0)
	v_fmac_f64_e32 v[18:19], v[26:27], v[24:25]
	s_andn2_b64 exec, exec, s[8:9]
	s_cbranch_execnz .LBB7_125
; %bb.126:
	s_or_b64 exec, exec, s[8:9]
.LBB7_127:
	s_or_b64 exec, exec, s[6:7]
	v_mov_b32_e32 v10, 0
	ds_read_b64 v[10:11], v10 offset:32
	s_waitcnt lgkmcnt(0)
	v_mul_f64 v[10:11], v[18:19], v[10:11]
.LBB7_128:
	s_or_b64 exec, exec, s[14:15]
	v_cmp_gt_u32_e32 vcc, 5, v0
	s_waitcnt vmcnt(2)
	ds_write_b64 v53, v[12:13]
	s_waitcnt lgkmcnt(0)
	; wave barrier
	s_and_saveexec_b64 s[14:15], vcc
	s_cbranch_execz .LBB7_138
; %bb.129:
	s_and_b64 vcc, exec, s[0:1]
	s_cbranch_vccnz .LBB7_131
; %bb.130:
	v_cmp_eq_u32_e32 vcc, 1, v0
	v_cmp_eq_u32_e64 s[2:3], 2, v0
	v_cmp_eq_u32_e64 s[4:5], 3, v0
	v_cndmask_b32_e32 v18, v3, v5, vcc
	v_cndmask_b32_e64 v18, v18, v7, s[2:3]
	v_cndmask_b32_e64 v18, v18, v9, s[4:5]
	v_cmp_eq_u32_e64 s[6:7], 4, v0
	v_cmp_eq_u32_e64 s[8:9], 5, v0
	;; [unrolled: 1-line block ×3, first 2 shown]
	v_cndmask_b32_e64 v18, v18, v11, s[6:7]
	v_cndmask_b32_e64 v18, v18, v13, s[8:9]
	s_waitcnt vmcnt(1)
	v_cndmask_b32_e64 v18, v18, v15, s[10:11]
	v_cmp_eq_u32_e64 s[12:13], 7, v0
	ds_read_b64 v[20:21], v53
	s_waitcnt vmcnt(0)
	v_cndmask_b32_e64 v19, v18, v17, s[12:13]
	v_cndmask_b32_e32 v18, v2, v4, vcc
	v_cndmask_b32_e64 v18, v18, v6, s[2:3]
	v_cndmask_b32_e64 v18, v18, v8, s[4:5]
	;; [unrolled: 1-line block ×6, first 2 shown]
	s_waitcnt lgkmcnt(0)
	v_mul_f64 v[18:19], v[18:19], v[20:21]
	s_cbranch_execz .LBB7_132
	s_branch .LBB7_133
.LBB7_131:
                                        ; implicit-def: $vgpr18_vgpr19
.LBB7_132:
	ds_read_b64 v[18:19], v53
.LBB7_133:
	v_cmp_ne_u32_e32 vcc, 4, v0
	s_and_saveexec_b64 s[6:7], vcc
	s_cbranch_execz .LBB7_137
; %bb.134:
	v_mov_b32_e32 v20, 0x48
	v_lshl_add_u32 v22, v0, 3, v20
	s_mov_b64 s[8:9], 0
	v_mov_b64_e32 v[20:21], v[0:1]
.LBB7_135:                              ; =>This Inner Loop Header: Depth=1
	v_lshl_add_u64 v[20:21], v[20:21], 0, 1
	v_cmp_eq_u32_e32 vcc, 1, v20
	v_cmp_eq_u32_e64 s[4:5], 2, v20
	v_cmp_lt_u32_e64 s[2:3], 3, v20
	v_cndmask_b32_e32 v23, v3, v5, vcc
	v_cndmask_b32_e64 v23, v23, v7, s[4:5]
	v_cndmask_b32_e32 v26, v2, v4, vcc
	v_cmp_eq_u32_e32 vcc, 3, v20
	s_or_b64 s[8:9], s[2:3], s[8:9]
	v_cndmask_b32_e64 v26, v26, v6, s[4:5]
	v_cndmask_b32_e32 v23, v23, v9, vcc
	v_cmp_eq_u32_e64 s[2:3], 4, v20
	ds_read_b64 v[24:25], v22
	v_cndmask_b32_e32 v26, v26, v8, vcc
	v_cndmask_b32_e64 v23, v23, v11, s[2:3]
	v_cmp_eq_u32_e32 vcc, 5, v20
	v_cndmask_b32_e64 v26, v26, v10, s[2:3]
	v_cmp_eq_u32_e64 s[2:3], 6, v20
	v_cndmask_b32_e32 v23, v23, v13, vcc
	v_cndmask_b32_e32 v26, v26, v12, vcc
	s_waitcnt vmcnt(1)
	v_cndmask_b32_e64 v23, v23, v15, s[2:3]
	v_cmp_eq_u32_e32 vcc, 7, v20
	v_add_u32_e32 v22, 8, v22
	s_waitcnt vmcnt(0)
	v_cndmask_b32_e32 v27, v23, v17, vcc
	v_cndmask_b32_e64 v23, v26, v14, s[2:3]
	v_cndmask_b32_e32 v26, v23, v16, vcc
	s_waitcnt lgkmcnt(0)
	v_fmac_f64_e32 v[18:19], v[26:27], v[24:25]
	s_andn2_b64 exec, exec, s[8:9]
	s_cbranch_execnz .LBB7_135
; %bb.136:
	s_or_b64 exec, exec, s[8:9]
.LBB7_137:
	s_or_b64 exec, exec, s[6:7]
	v_mov_b32_e32 v12, 0
	ds_read_b64 v[12:13], v12 offset:40
	s_waitcnt lgkmcnt(0)
	v_mul_f64 v[12:13], v[18:19], v[12:13]
.LBB7_138:
	s_or_b64 exec, exec, s[14:15]
	v_cmp_gt_u32_e64 s[2:3], 6, v0
	s_waitcnt vmcnt(1)
	ds_write_b64 v53, v[14:15]
	s_waitcnt lgkmcnt(0)
	; wave barrier
	s_and_saveexec_b64 s[16:17], s[2:3]
	s_cbranch_execz .LBB7_148
; %bb.139:
	s_and_b64 vcc, exec, s[0:1]
	s_cbranch_vccnz .LBB7_141
; %bb.140:
	v_cmp_eq_u32_e32 vcc, 1, v0
	v_cmp_eq_u32_e64 s[4:5], 2, v0
	v_cmp_eq_u32_e64 s[6:7], 3, v0
	v_cndmask_b32_e32 v18, v3, v5, vcc
	v_cndmask_b32_e64 v18, v18, v7, s[4:5]
	v_cndmask_b32_e64 v18, v18, v9, s[6:7]
	v_cmp_eq_u32_e64 s[8:9], 4, v0
	v_cmp_eq_u32_e64 s[10:11], 5, v0
	;; [unrolled: 1-line block ×3, first 2 shown]
	v_cndmask_b32_e64 v18, v18, v11, s[8:9]
	v_cndmask_b32_e64 v18, v18, v13, s[10:11]
	;; [unrolled: 1-line block ×3, first 2 shown]
	v_cmp_eq_u32_e64 s[14:15], 7, v0
	ds_read_b64 v[20:21], v53
	s_waitcnt vmcnt(0)
	v_cndmask_b32_e64 v19, v18, v17, s[14:15]
	v_cndmask_b32_e32 v18, v2, v4, vcc
	v_cndmask_b32_e64 v18, v18, v6, s[4:5]
	v_cndmask_b32_e64 v18, v18, v8, s[6:7]
	;; [unrolled: 1-line block ×6, first 2 shown]
	s_waitcnt lgkmcnt(0)
	v_mul_f64 v[18:19], v[18:19], v[20:21]
	s_cbranch_execz .LBB7_142
	s_branch .LBB7_143
.LBB7_141:
                                        ; implicit-def: $vgpr18_vgpr19
.LBB7_142:
	ds_read_b64 v[18:19], v53
.LBB7_143:
	v_cmp_ne_u32_e32 vcc, 5, v0
	s_and_saveexec_b64 s[8:9], vcc
	s_cbranch_execz .LBB7_147
; %bb.144:
	v_mov_b32_e32 v20, 0x48
	v_lshl_add_u32 v22, v0, 3, v20
	s_mov_b64 s[10:11], 0
	v_mov_b64_e32 v[20:21], v[0:1]
.LBB7_145:                              ; =>This Inner Loop Header: Depth=1
	v_lshl_add_u64 v[20:21], v[20:21], 0, 1
	v_cmp_eq_u32_e32 vcc, 1, v20
	v_cmp_eq_u32_e64 s[6:7], 2, v20
	v_cmp_lt_u32_e64 s[4:5], 4, v20
	v_cndmask_b32_e32 v23, v3, v5, vcc
	v_cndmask_b32_e64 v23, v23, v7, s[6:7]
	v_cndmask_b32_e32 v26, v2, v4, vcc
	v_cmp_eq_u32_e32 vcc, 3, v20
	s_or_b64 s[10:11], s[4:5], s[10:11]
	v_cndmask_b32_e64 v26, v26, v6, s[6:7]
	v_cndmask_b32_e32 v23, v23, v9, vcc
	v_cmp_eq_u32_e64 s[4:5], 4, v20
	ds_read_b64 v[24:25], v22
	v_cndmask_b32_e32 v26, v26, v8, vcc
	v_cndmask_b32_e64 v23, v23, v11, s[4:5]
	v_cmp_eq_u32_e32 vcc, 5, v20
	v_cndmask_b32_e64 v26, v26, v10, s[4:5]
	v_cmp_eq_u32_e64 s[4:5], 6, v20
	v_cndmask_b32_e32 v23, v23, v13, vcc
	v_cndmask_b32_e32 v26, v26, v12, vcc
	v_cndmask_b32_e64 v23, v23, v15, s[4:5]
	v_cmp_eq_u32_e32 vcc, 7, v20
	v_add_u32_e32 v22, 8, v22
	s_waitcnt vmcnt(0)
	v_cndmask_b32_e32 v27, v23, v17, vcc
	v_cndmask_b32_e64 v23, v26, v14, s[4:5]
	v_cndmask_b32_e32 v26, v23, v16, vcc
	s_waitcnt lgkmcnt(0)
	v_fmac_f64_e32 v[18:19], v[26:27], v[24:25]
	s_andn2_b64 exec, exec, s[10:11]
	s_cbranch_execnz .LBB7_145
; %bb.146:
	s_or_b64 exec, exec, s[10:11]
.LBB7_147:
	s_or_b64 exec, exec, s[8:9]
	v_mov_b32_e32 v14, 0
	ds_read_b64 v[14:15], v14 offset:48
	s_waitcnt lgkmcnt(0)
	v_mul_f64 v[14:15], v[18:19], v[14:15]
.LBB7_148:
	s_or_b64 exec, exec, s[16:17]
	v_cmp_ne_u32_e32 vcc, 7, v0
	s_waitcnt vmcnt(0)
	ds_write_b64 v53, v[16:17]
	s_waitcnt lgkmcnt(0)
	; wave barrier
	s_and_saveexec_b64 s[14:15], vcc
	s_cbranch_execz .LBB7_158
; %bb.149:
	s_and_b64 vcc, exec, s[0:1]
	s_cbranch_vccnz .LBB7_151
; %bb.150:
	v_cmp_eq_u32_e32 vcc, 1, v0
	v_cmp_eq_u32_e64 s[0:1], 2, v0
	v_cmp_eq_u32_e64 s[4:5], 3, v0
	v_cndmask_b32_e32 v18, v3, v5, vcc
	v_cndmask_b32_e64 v18, v18, v7, s[0:1]
	v_cndmask_b32_e64 v18, v18, v9, s[4:5]
	v_cmp_eq_u32_e64 s[6:7], 4, v0
	v_cmp_eq_u32_e64 s[8:9], 5, v0
	;; [unrolled: 1-line block ×3, first 2 shown]
	v_cndmask_b32_e64 v18, v18, v11, s[6:7]
	v_cndmask_b32_e64 v18, v18, v13, s[8:9]
	;; [unrolled: 1-line block ×3, first 2 shown]
	v_cmp_eq_u32_e64 s[12:13], 7, v0
	ds_read_b64 v[20:21], v53
	s_nop 0
	v_cndmask_b32_e64 v19, v18, v17, s[12:13]
	v_cndmask_b32_e32 v18, v2, v4, vcc
	v_cndmask_b32_e64 v18, v18, v6, s[0:1]
	v_cndmask_b32_e64 v18, v18, v8, s[4:5]
	;; [unrolled: 1-line block ×6, first 2 shown]
	s_waitcnt lgkmcnt(0)
	v_mul_f64 v[18:19], v[18:19], v[20:21]
	s_cbranch_execz .LBB7_152
	s_branch .LBB7_153
.LBB7_151:
                                        ; implicit-def: $vgpr18_vgpr19
.LBB7_152:
	ds_read_b64 v[18:19], v53
.LBB7_153:
	s_and_saveexec_b64 s[4:5], s[2:3]
	s_cbranch_execz .LBB7_157
; %bb.154:
	v_mov_b32_e32 v20, 0x48
	v_lshl_add_u32 v20, v0, 3, v20
	s_mov_b64 s[6:7], 0
.LBB7_155:                              ; =>This Inner Loop Header: Depth=1
	v_lshl_add_u64 v[0:1], v[0:1], 0, 1
	v_cmp_eq_u32_e32 vcc, 1, v0
	v_cmp_eq_u32_e64 s[2:3], 2, v0
	v_cmp_lt_u32_e64 s[0:1], 5, v0
	v_cndmask_b32_e32 v21, v3, v5, vcc
	v_cndmask_b32_e64 v21, v21, v7, s[2:3]
	v_cndmask_b32_e32 v24, v2, v4, vcc
	v_cmp_eq_u32_e32 vcc, 3, v0
	s_or_b64 s[6:7], s[0:1], s[6:7]
	v_cndmask_b32_e64 v24, v24, v6, s[2:3]
	v_cndmask_b32_e32 v21, v21, v9, vcc
	v_cmp_eq_u32_e64 s[0:1], 4, v0
	ds_read_b64 v[22:23], v20
	v_cndmask_b32_e32 v24, v24, v8, vcc
	v_cndmask_b32_e64 v21, v21, v11, s[0:1]
	v_cmp_eq_u32_e32 vcc, 5, v0
	v_cndmask_b32_e64 v24, v24, v10, s[0:1]
	v_cmp_eq_u32_e64 s[0:1], 6, v0
	v_cndmask_b32_e32 v21, v21, v13, vcc
	v_cndmask_b32_e32 v24, v24, v12, vcc
	v_cndmask_b32_e64 v21, v21, v15, s[0:1]
	v_cmp_eq_u32_e32 vcc, 7, v0
	v_add_u32_e32 v20, 8, v20
	s_nop 0
	v_cndmask_b32_e32 v25, v21, v17, vcc
	v_cndmask_b32_e64 v21, v24, v14, s[0:1]
	v_cndmask_b32_e32 v24, v21, v16, vcc
	s_waitcnt lgkmcnt(0)
	v_fmac_f64_e32 v[18:19], v[24:25], v[22:23]
	s_andn2_b64 exec, exec, s[6:7]
	s_cbranch_execnz .LBB7_155
; %bb.156:
	s_or_b64 exec, exec, s[6:7]
.LBB7_157:
	s_or_b64 exec, exec, s[4:5]
	v_mov_b32_e32 v0, 0
	ds_read_b64 v[0:1], v0 offset:56
	s_waitcnt lgkmcnt(0)
	v_mul_f64 v[16:17], v[18:19], v[0:1]
.LBB7_158:
	s_or_b64 exec, exec, s[14:15]
	v_mov_b64_e32 v[32:33], v[16:17]
	v_mov_b64_e32 v[30:31], v[14:15]
	;; [unrolled: 1-line block ×8, first 2 shown]
.LBB7_159:
	global_store_dwordx2 v[34:35], v[18:19], off
	global_store_dwordx2 v[36:37], v[20:21], off
	;; [unrolled: 1-line block ×8, first 2 shown]
.LBB7_160:
	s_endpgm
	.section	.rodata,"a",@progbits
	.p2align	6, 0x0
	.amdhsa_kernel _ZN9rocsolver6v33100L18trti2_kernel_smallILi8EdPdEEv13rocblas_fill_17rocblas_diagonal_T1_iil
		.amdhsa_group_segment_fixed_size 128
		.amdhsa_private_segment_fixed_size 0
		.amdhsa_kernarg_size 32
		.amdhsa_user_sgpr_count 2
		.amdhsa_user_sgpr_dispatch_ptr 0
		.amdhsa_user_sgpr_queue_ptr 0
		.amdhsa_user_sgpr_kernarg_segment_ptr 1
		.amdhsa_user_sgpr_dispatch_id 0
		.amdhsa_user_sgpr_kernarg_preload_length 0
		.amdhsa_user_sgpr_kernarg_preload_offset 0
		.amdhsa_user_sgpr_private_segment_size 0
		.amdhsa_uses_dynamic_stack 0
		.amdhsa_enable_private_segment 0
		.amdhsa_system_sgpr_workgroup_id_x 1
		.amdhsa_system_sgpr_workgroup_id_y 0
		.amdhsa_system_sgpr_workgroup_id_z 0
		.amdhsa_system_sgpr_workgroup_info 0
		.amdhsa_system_vgpr_workitem_id 0
		.amdhsa_next_free_vgpr 78
		.amdhsa_next_free_sgpr 30
		.amdhsa_accum_offset 80
		.amdhsa_reserve_vcc 1
		.amdhsa_float_round_mode_32 0
		.amdhsa_float_round_mode_16_64 0
		.amdhsa_float_denorm_mode_32 3
		.amdhsa_float_denorm_mode_16_64 3
		.amdhsa_dx10_clamp 1
		.amdhsa_ieee_mode 1
		.amdhsa_fp16_overflow 0
		.amdhsa_tg_split 0
		.amdhsa_exception_fp_ieee_invalid_op 0
		.amdhsa_exception_fp_denorm_src 0
		.amdhsa_exception_fp_ieee_div_zero 0
		.amdhsa_exception_fp_ieee_overflow 0
		.amdhsa_exception_fp_ieee_underflow 0
		.amdhsa_exception_fp_ieee_inexact 0
		.amdhsa_exception_int_div_zero 0
	.end_amdhsa_kernel
	.section	.text._ZN9rocsolver6v33100L18trti2_kernel_smallILi8EdPdEEv13rocblas_fill_17rocblas_diagonal_T1_iil,"axG",@progbits,_ZN9rocsolver6v33100L18trti2_kernel_smallILi8EdPdEEv13rocblas_fill_17rocblas_diagonal_T1_iil,comdat
.Lfunc_end7:
	.size	_ZN9rocsolver6v33100L18trti2_kernel_smallILi8EdPdEEv13rocblas_fill_17rocblas_diagonal_T1_iil, .Lfunc_end7-_ZN9rocsolver6v33100L18trti2_kernel_smallILi8EdPdEEv13rocblas_fill_17rocblas_diagonal_T1_iil
                                        ; -- End function
	.set _ZN9rocsolver6v33100L18trti2_kernel_smallILi8EdPdEEv13rocblas_fill_17rocblas_diagonal_T1_iil.num_vgpr, 78
	.set _ZN9rocsolver6v33100L18trti2_kernel_smallILi8EdPdEEv13rocblas_fill_17rocblas_diagonal_T1_iil.num_agpr, 0
	.set _ZN9rocsolver6v33100L18trti2_kernel_smallILi8EdPdEEv13rocblas_fill_17rocblas_diagonal_T1_iil.numbered_sgpr, 30
	.set _ZN9rocsolver6v33100L18trti2_kernel_smallILi8EdPdEEv13rocblas_fill_17rocblas_diagonal_T1_iil.num_named_barrier, 0
	.set _ZN9rocsolver6v33100L18trti2_kernel_smallILi8EdPdEEv13rocblas_fill_17rocblas_diagonal_T1_iil.private_seg_size, 0
	.set _ZN9rocsolver6v33100L18trti2_kernel_smallILi8EdPdEEv13rocblas_fill_17rocblas_diagonal_T1_iil.uses_vcc, 1
	.set _ZN9rocsolver6v33100L18trti2_kernel_smallILi8EdPdEEv13rocblas_fill_17rocblas_diagonal_T1_iil.uses_flat_scratch, 0
	.set _ZN9rocsolver6v33100L18trti2_kernel_smallILi8EdPdEEv13rocblas_fill_17rocblas_diagonal_T1_iil.has_dyn_sized_stack, 0
	.set _ZN9rocsolver6v33100L18trti2_kernel_smallILi8EdPdEEv13rocblas_fill_17rocblas_diagonal_T1_iil.has_recursion, 0
	.set _ZN9rocsolver6v33100L18trti2_kernel_smallILi8EdPdEEv13rocblas_fill_17rocblas_diagonal_T1_iil.has_indirect_call, 0
	.section	.AMDGPU.csdata,"",@progbits
; Kernel info:
; codeLenInByte = 9072
; TotalNumSgprs: 36
; NumVgprs: 78
; NumAgprs: 0
; TotalNumVgprs: 78
; ScratchSize: 0
; MemoryBound: 0
; FloatMode: 240
; IeeeMode: 1
; LDSByteSize: 128 bytes/workgroup (compile time only)
; SGPRBlocks: 4
; VGPRBlocks: 9
; NumSGPRsForWavesPerEU: 36
; NumVGPRsForWavesPerEU: 78
; AccumOffset: 80
; Occupancy: 6
; WaveLimiterHint : 0
; COMPUTE_PGM_RSRC2:SCRATCH_EN: 0
; COMPUTE_PGM_RSRC2:USER_SGPR: 2
; COMPUTE_PGM_RSRC2:TRAP_HANDLER: 0
; COMPUTE_PGM_RSRC2:TGID_X_EN: 1
; COMPUTE_PGM_RSRC2:TGID_Y_EN: 0
; COMPUTE_PGM_RSRC2:TGID_Z_EN: 0
; COMPUTE_PGM_RSRC2:TIDIG_COMP_CNT: 0
; COMPUTE_PGM_RSRC3_GFX90A:ACCUM_OFFSET: 19
; COMPUTE_PGM_RSRC3_GFX90A:TG_SPLIT: 0
	.section	.text._ZN9rocsolver6v33100L18trti2_kernel_smallILi9EdPdEEv13rocblas_fill_17rocblas_diagonal_T1_iil,"axG",@progbits,_ZN9rocsolver6v33100L18trti2_kernel_smallILi9EdPdEEv13rocblas_fill_17rocblas_diagonal_T1_iil,comdat
	.globl	_ZN9rocsolver6v33100L18trti2_kernel_smallILi9EdPdEEv13rocblas_fill_17rocblas_diagonal_T1_iil ; -- Begin function _ZN9rocsolver6v33100L18trti2_kernel_smallILi9EdPdEEv13rocblas_fill_17rocblas_diagonal_T1_iil
	.p2align	8
	.type	_ZN9rocsolver6v33100L18trti2_kernel_smallILi9EdPdEEv13rocblas_fill_17rocblas_diagonal_T1_iil,@function
_ZN9rocsolver6v33100L18trti2_kernel_smallILi9EdPdEEv13rocblas_fill_17rocblas_diagonal_T1_iil: ; @_ZN9rocsolver6v33100L18trti2_kernel_smallILi9EdPdEEv13rocblas_fill_17rocblas_diagonal_T1_iil
; %bb.0:
	v_cmp_gt_u32_e32 vcc, 9, v0
	s_and_saveexec_b64 s[4:5], vcc
	s_cbranch_execz .LBB8_186
; %bb.1:
	s_load_dwordx8 s[16:23], s[0:1], 0x0
	s_ashr_i32 s3, s2, 31
	v_mov_b32_e32 v1, 0
	v_lshlrev_b32_e32 v34, 3, v0
	v_mov_b32_e32 v35, v1
	s_waitcnt lgkmcnt(0)
	s_mul_hi_u32 s4, s22, s2
	s_mul_i32 s3, s22, s3
	s_add_i32 s3, s4, s3
	s_mul_i32 s4, s23, s2
	s_add_i32 s3, s3, s4
	s_mul_i32 s2, s22, s2
	s_ashr_i32 s1, s20, 31
	s_lshl_b64 s[2:3], s[2:3], 3
	s_mov_b32 s0, s20
	s_add_u32 s2, s18, s2
	s_addc_u32 s3, s19, s3
	s_lshl_b64 s[0:1], s[0:1], 3
	s_add_u32 s0, s2, s0
	s_addc_u32 s1, s3, s1
	v_lshl_add_u64 v[66:67], s[0:1], 0, v[34:35]
	s_ashr_i32 s3, s21, 31
	s_mov_b32 s2, s21
	v_lshl_add_u64 v[68:69], s[2:3], 3, v[66:67]
	s_add_i32 s2, s21, s21
	v_add_u32_e32 v4, s2, v0
	v_ashrrev_i32_e32 v5, 31, v4
	v_lshl_add_u64 v[70:71], v[4:5], 3, s[0:1]
	v_add_u32_e32 v4, s21, v4
	v_add_u32_e32 v12, s21, v4
	v_ashrrev_i32_e32 v13, 31, v12
	v_lshl_add_u64 v[74:75], v[12:13], 3, s[0:1]
	v_add_u32_e32 v12, s21, v12
	v_ashrrev_i32_e32 v13, 31, v12
	v_lshl_add_u64 v[76:77], v[12:13], 3, s[0:1]
	;; [unrolled: 3-line block ×4, first 2 shown]
	v_add_u32_e32 v12, s21, v12
	v_ashrrev_i32_e32 v5, 31, v4
	v_ashrrev_i32_e32 v13, 31, v12
	global_load_dwordx2 v[2:3], v34, s[0:1]
	v_lshl_add_u64 v[72:73], v[4:5], 3, s[0:1]
	global_load_dwordx2 v[4:5], v[68:69], off
	global_load_dwordx2 v[6:7], v[70:71], off
	;; [unrolled: 1-line block ×4, first 2 shown]
	v_lshl_add_u64 v[82:83], v[12:13], 3, s[0:1]
	global_load_dwordx2 v[12:13], v[76:77], off
	global_load_dwordx2 v[14:15], v[78:79], off
	;; [unrolled: 1-line block ×4, first 2 shown]
	s_cmpk_lg_i32 s17, 0x84
	s_cselect_b64 s[18:19], -1, 0
	s_cmpk_eq_i32 s17, 0x84
	v_mov_b64_e32 v[36:37], -1.0
	s_cbranch_scc1 .LBB8_3
; %bb.2:
	v_cmp_eq_u32_e64 s[0:1], 1, v0
	v_cmp_eq_u32_e64 s[2:3], 2, v0
	;; [unrolled: 1-line block ×3, first 2 shown]
	s_waitcnt vmcnt(7)
	v_cndmask_b32_e64 v20, v3, v5, s[0:1]
	s_waitcnt vmcnt(6)
	v_cndmask_b32_e64 v20, v20, v7, s[2:3]
	;; [unrolled: 2-line block ×3, first 2 shown]
	v_cmp_eq_u32_e64 s[6:7], 4, v0
	v_cmp_eq_u32_e64 s[8:9], 5, v0
	;; [unrolled: 1-line block ×3, first 2 shown]
	s_waitcnt vmcnt(4)
	v_cndmask_b32_e64 v20, v20, v11, s[6:7]
	s_waitcnt vmcnt(3)
	v_cndmask_b32_e64 v20, v20, v13, s[8:9]
	;; [unrolled: 2-line block ×3, first 2 shown]
	v_cmp_eq_u32_e64 s[12:13], 7, v0
	v_cmp_eq_u32_e64 s[14:15], 8, v0
	s_waitcnt vmcnt(1)
	v_cndmask_b32_e64 v20, v20, v17, s[12:13]
	s_waitcnt vmcnt(0)
	v_cndmask_b32_e64 v21, v20, v19, s[14:15]
	v_cndmask_b32_e64 v20, v2, v4, s[0:1]
	v_cndmask_b32_e64 v20, v20, v6, s[2:3]
	v_cndmask_b32_e64 v20, v20, v8, s[4:5]
	v_cndmask_b32_e64 v20, v20, v10, s[6:7]
	v_cndmask_b32_e64 v20, v20, v12, s[8:9]
	v_cndmask_b32_e64 v20, v20, v14, s[10:11]
	v_cndmask_b32_e64 v20, v20, v16, s[12:13]
	v_cndmask_b32_e64 v20, v20, v18, s[14:15]
	v_div_scale_f64 v[22:23], s[20:21], v[20:21], v[20:21], 1.0
	v_rcp_f64_e32 v[24:25], v[22:23]
	s_nop 0
	v_fma_f64 v[26:27], -v[22:23], v[24:25], 1.0
	v_fmac_f64_e32 v[24:25], v[24:25], v[26:27]
	v_fma_f64 v[26:27], -v[22:23], v[24:25], 1.0
	v_fmac_f64_e32 v[24:25], v[24:25], v[26:27]
	v_div_scale_f64 v[26:27], vcc, 1.0, v[20:21], 1.0
	v_mul_f64 v[28:29], v[26:27], v[24:25]
	v_fma_f64 v[22:23], -v[22:23], v[28:29], v[26:27]
	s_nop 1
	v_div_fmas_f64 v[22:23], v[22:23], v[24:25], v[28:29]
	v_div_fixup_f64 v[36:37], v[22:23], v[20:21], 1.0
	v_cmp_eq_u32_e32 vcc, 0, v0
	v_cndmask_b32_e64 v19, v19, v37, s[14:15]
	v_cndmask_b32_e64 v18, v18, v36, s[14:15]
	;; [unrolled: 1-line block ×16, first 2 shown]
	v_cndmask_b32_e32 v3, v3, v37, vcc
	v_cndmask_b32_e32 v2, v2, v36, vcc
	v_xor_b32_e32 v37, 0x80000000, v37
.LBB8_3:
	s_cmpk_eq_i32 s16, 0x79
	v_add_u32_e32 v90, 0x50, v34
	ds_write_b64 v34, v[36:37]
	s_cbranch_scc1 .LBB8_7
; %bb.4:
	s_waitcnt vmcnt(0)
	v_mov_b64_e32 v[64:65], v[32:33]
	v_cmp_eq_u32_e64 s[0:1], 8, v0
	v_mov_b64_e32 v[62:63], v[30:31]
	v_mov_b64_e32 v[60:61], v[28:29]
	;; [unrolled: 1-line block ×15, first 2 shown]
	ds_write_b64 v90, v[16:17]
	s_waitcnt lgkmcnt(0)
	; wave barrier
	s_and_saveexec_b64 s[16:17], s[0:1]
	s_cbranch_execz .LBB8_11
; %bb.5:
	s_and_b64 vcc, exec, s[18:19]
	s_cbranch_vccz .LBB8_8
; %bb.6:
	v_cmp_eq_u32_e32 vcc, 1, v0
	v_cmp_eq_u32_e64 s[2:3], 2, v0
	v_cmp_eq_u32_e64 s[4:5], 3, v0
	v_cndmask_b32_e32 v34, v3, v5, vcc
	v_cndmask_b32_e64 v34, v34, v7, s[2:3]
	v_cndmask_b32_e64 v34, v34, v9, s[4:5]
	v_cmp_eq_u32_e64 s[6:7], 4, v0
	v_cmp_eq_u32_e64 s[8:9], 5, v0
	;; [unrolled: 1-line block ×3, first 2 shown]
	v_cndmask_b32_e64 v34, v34, v11, s[6:7]
	v_cndmask_b32_e64 v34, v34, v13, s[8:9]
	v_cndmask_b32_e64 v34, v34, v15, s[10:11]
	v_cmp_eq_u32_e64 s[12:13], 7, v0
	v_cmp_eq_u32_e64 s[14:15], 8, v0
	ds_read_b64 v[36:37], v90
	v_cndmask_b32_e64 v34, v34, v17, s[12:13]
	v_cndmask_b32_e64 v35, v34, v19, s[14:15]
	v_cndmask_b32_e32 v34, v2, v4, vcc
	v_cndmask_b32_e64 v34, v34, v6, s[2:3]
	v_cndmask_b32_e64 v34, v34, v8, s[4:5]
	;; [unrolled: 1-line block ×7, first 2 shown]
	s_waitcnt lgkmcnt(0)
	v_mul_f64 v[38:39], v[34:35], v[36:37]
	s_cbranch_execz .LBB8_9
	s_branch .LBB8_10
.LBB8_7:
                                        ; implicit-def: $vgpr34_vgpr35_vgpr36_vgpr37_vgpr38_vgpr39_vgpr40_vgpr41_vgpr42_vgpr43_vgpr44_vgpr45_vgpr46_vgpr47_vgpr48_vgpr49_vgpr50_vgpr51_vgpr52_vgpr53_vgpr54_vgpr55_vgpr56_vgpr57_vgpr58_vgpr59_vgpr60_vgpr61_vgpr62_vgpr63_vgpr64_vgpr65
	s_cbranch_execnz .LBB8_114
	s_branch .LBB8_185
.LBB8_8:
                                        ; implicit-def: $vgpr38_vgpr39
.LBB8_9:
	ds_read_b64 v[38:39], v90
.LBB8_10:
	v_mov_b32_e32 v34, 0
	ds_read_b64 v[40:41], v34 offset:56
	v_mov_b32_e32 v34, v2
	v_mov_b32_e32 v35, v3
	;; [unrolled: 1-line block ×4, first 2 shown]
	s_waitcnt lgkmcnt(0)
	v_mul_f64 v[48:49], v[38:39], v[40:41]
	v_mov_b32_e32 v38, v6
	v_mov_b32_e32 v39, v7
	;; [unrolled: 1-line block ×12, first 2 shown]
.LBB8_11:
	s_or_b64 exec, exec, s[16:17]
	v_cmp_lt_u32_e64 s[2:3], 6, v0
	ds_write_b64 v90, v[46:47]
	s_waitcnt lgkmcnt(0)
	; wave barrier
	s_and_saveexec_b64 s[20:21], s[2:3]
	s_cbranch_execz .LBB8_17
; %bb.12:
	s_andn2_b64 vcc, exec, s[18:19]
	s_cbranch_vccnz .LBB8_14
; %bb.13:
	v_cmp_eq_u32_e32 vcc, 1, v0
	v_cmp_eq_u32_e64 s[4:5], 2, v0
	v_cmp_eq_u32_e64 s[6:7], 3, v0
	v_cndmask_b32_e32 v52, v35, v37, vcc
	v_cndmask_b32_e64 v52, v52, v39, s[4:5]
	v_cndmask_b32_e64 v52, v52, v41, s[6:7]
	v_cmp_eq_u32_e64 s[8:9], 4, v0
	v_cmp_eq_u32_e64 s[10:11], 5, v0
	;; [unrolled: 1-line block ×3, first 2 shown]
	v_cndmask_b32_e64 v52, v52, v43, s[8:9]
	v_cndmask_b32_e64 v52, v52, v45, s[10:11]
	;; [unrolled: 1-line block ×3, first 2 shown]
	v_cndmask_b32_e32 v52, v34, v36, vcc
	v_cndmask_b32_e64 v52, v52, v38, s[4:5]
	v_cndmask_b32_e64 v52, v52, v40, s[6:7]
	;; [unrolled: 1-line block ×3, first 2 shown]
	ds_read_b64 v[52:53], v90
	v_cndmask_b32_e64 v54, v54, v44, s[10:11]
	v_cmp_eq_u32_e64 s[14:15], 7, v0
	v_cndmask_b32_e64 v46, v54, v46, s[12:13]
	v_cmp_eq_u32_e64 s[16:17], 8, v0
	v_cndmask_b32_e64 v47, v47, v49, s[14:15]
	v_cndmask_b32_e64 v46, v46, v48, s[14:15]
	;; [unrolled: 1-line block ×4, first 2 shown]
	s_waitcnt lgkmcnt(0)
	v_mul_f64 v[46:47], v[46:47], v[52:53]
	s_cbranch_execz .LBB8_15
	s_branch .LBB8_16
.LBB8_14:
                                        ; implicit-def: $vgpr46_vgpr47
.LBB8_15:
	ds_read_b64 v[46:47], v90
.LBB8_16:
	v_mov_b32_e32 v52, 0
	ds_read2_b64 v[52:55], v52 offset0:6 offset1:17
	s_waitcnt lgkmcnt(0)
	v_fma_f64 v[54:55], v[48:49], v[54:55], v[46:47]
	v_cndmask_b32_e64 v47, v47, v55, s[0:1]
	v_cndmask_b32_e64 v46, v46, v54, s[0:1]
	v_mul_f64 v[46:47], v[46:47], v[52:53]
.LBB8_17:
	s_or_b64 exec, exec, s[20:21]
	v_cmp_lt_u32_e64 s[0:1], 5, v0
	ds_write_b64 v90, v[44:45]
	s_waitcnt lgkmcnt(0)
	; wave barrier
	s_and_saveexec_b64 s[20:21], s[0:1]
	s_cbranch_execz .LBB8_33
; %bb.18:
	s_andn2_b64 vcc, exec, s[18:19]
	s_cbranch_vccnz .LBB8_20
; %bb.19:
	v_cmp_eq_u32_e32 vcc, 1, v0
	v_cmp_eq_u32_e64 s[4:5], 2, v0
	v_cmp_eq_u32_e64 s[6:7], 3, v0
	v_cndmask_b32_e32 v84, v35, v37, vcc
	v_cndmask_b32_e64 v84, v84, v39, s[4:5]
	v_cndmask_b32_e64 v84, v84, v41, s[6:7]
	v_cmp_eq_u32_e64 s[8:9], 4, v0
	v_cmp_eq_u32_e64 s[10:11], 5, v0
	;; [unrolled: 1-line block ×3, first 2 shown]
	v_cndmask_b32_e64 v84, v84, v43, s[8:9]
	v_cndmask_b32_e64 v84, v84, v45, s[10:11]
	;; [unrolled: 1-line block ×3, first 2 shown]
	v_cmp_eq_u32_e64 s[14:15], 7, v0
	v_cmp_eq_u32_e64 s[16:17], 8, v0
	ds_read_b64 v[86:87], v90
	v_cndmask_b32_e64 v84, v84, v49, s[14:15]
	v_cndmask_b32_e64 v85, v84, v51, s[16:17]
	v_cndmask_b32_e32 v84, v34, v36, vcc
	v_cndmask_b32_e64 v84, v84, v38, s[4:5]
	v_cndmask_b32_e64 v84, v84, v40, s[6:7]
	;; [unrolled: 1-line block ×7, first 2 shown]
	s_waitcnt lgkmcnt(0)
	v_mul_f64 v[84:85], v[84:85], v[86:87]
	s_cbranch_execz .LBB8_21
	s_branch .LBB8_22
.LBB8_20:
                                        ; implicit-def: $vgpr84_vgpr85
.LBB8_21:
	ds_read_b64 v[84:85], v90
.LBB8_22:
	s_and_saveexec_b64 s[6:7], s[2:3]
	s_cbranch_execz .LBB8_32
; %bb.23:
	v_add_u32_e32 v86, -7, v0
	v_add_u32_e32 v87, -6, v0
	v_mov_b32_e32 v88, 6
	v_cmp_lt_u32_e32 vcc, 6, v86
	s_and_saveexec_b64 s[2:3], vcc
	s_cbranch_execz .LBB8_27
; %bb.24:
	v_and_b32_e32 v86, -8, v87
	v_sub_u32_e32 v86, 0, v86
	s_mov_b64 s[4:5], 13
	s_movk_i32 s10, 0x80
	s_mov_b64 s[8:9], 0
.LBB8_25:                               ; =>This Inner Loop Header: Depth=1
	s_lshl_b32 s11, s4, 1
	s_add_i32 s12, s11, -13
	s_add_i32 s13, s11, -14
	s_set_gpr_idx_on s12, gpr_idx(SRC0)
	v_mov_b32_e32 v109, v34
	s_set_gpr_idx_off
	v_mov_b32_e32 v88, s10
	s_add_i32 s14, s11, -11
	s_set_gpr_idx_on s13, gpr_idx(SRC0)
	v_mov_b32_e32 v108, v34
	s_set_gpr_idx_off
	s_add_i32 s15, s11, -12
	ds_read_b128 v[92:95], v88
	ds_read_b128 v[96:99], v88 offset:16
	ds_read_b128 v[100:103], v88 offset:32
	;; [unrolled: 1-line block ×3, first 2 shown]
	s_set_gpr_idx_on s14, gpr_idx(SRC0)
	v_mov_b32_e32 v111, v34
	s_set_gpr_idx_off
	s_add_i32 s16, s11, -9
	s_set_gpr_idx_on s15, gpr_idx(SRC0)
	v_mov_b32_e32 v110, v34
	s_set_gpr_idx_off
	s_add_i32 s17, s11, -10
	;; [unrolled: 4-line block ×4, first 2 shown]
	s_waitcnt lgkmcnt(3)
	v_fmac_f64_e32 v[84:85], v[108:109], v[92:93]
	s_set_gpr_idx_on s22, gpr_idx(SRC0)
	v_mov_b32_e32 v93, v34
	s_set_gpr_idx_off
	s_add_i32 s24, s11, -5
	v_fmac_f64_e32 v[84:85], v[110:111], v[94:95]
	s_set_gpr_idx_on s23, gpr_idx(SRC0)
	v_mov_b32_e32 v92, v34
	s_set_gpr_idx_off
	s_add_i32 s25, s11, -6
	s_waitcnt lgkmcnt(2)
	v_fmac_f64_e32 v[84:85], v[112:113], v[96:97]
	s_set_gpr_idx_on s24, gpr_idx(SRC0)
	v_mov_b32_e32 v95, v34
	s_set_gpr_idx_off
	s_add_i32 s26, s11, -3
	v_fmac_f64_e32 v[84:85], v[92:93], v[98:99]
	s_set_gpr_idx_on s25, gpr_idx(SRC0)
	v_mov_b32_e32 v94, v34
	s_set_gpr_idx_off
	s_add_i32 s27, s11, -4
	s_waitcnt lgkmcnt(1)
	v_fmac_f64_e32 v[84:85], v[94:95], v[100:101]
	s_set_gpr_idx_on s26, gpr_idx(SRC0)
	v_mov_b32_e32 v93, v34
	s_set_gpr_idx_off
	s_add_i32 s28, s11, -1
	s_set_gpr_idx_on s27, gpr_idx(SRC0)
	v_mov_b32_e32 v92, v34
	s_set_gpr_idx_off
	s_add_i32 s29, s11, -2
	v_fmac_f64_e32 v[84:85], v[92:93], v[102:103]
	s_set_gpr_idx_on s28, gpr_idx(SRC0)
	v_mov_b32_e32 v93, v34
	s_set_gpr_idx_off
	s_add_u32 s4, s4, 8
	s_set_gpr_idx_on s29, gpr_idx(SRC0)
	v_mov_b32_e32 v92, v34
	s_set_gpr_idx_off
	v_add_u32_e32 v88, s4, v86
	s_waitcnt lgkmcnt(0)
	v_fmac_f64_e32 v[84:85], v[92:93], v[104:105]
	s_set_gpr_idx_on s11, gpr_idx(SRC0)
	v_mov_b32_e32 v93, v35
	s_set_gpr_idx_off
	s_addc_u32 s5, s5, 0
	s_add_i32 s10, s10, 64
	s_add_i32 s12, s4, -7
	v_cmp_eq_u32_e32 vcc, 13, v88
	s_set_gpr_idx_on s11, gpr_idx(SRC0)
	v_mov_b32_e32 v92, v34
	s_set_gpr_idx_off
	v_mov_b32_e32 v88, s12
	s_or_b64 s[8:9], vcc, s[8:9]
	v_fmac_f64_e32 v[84:85], v[92:93], v[106:107]
	s_andn2_b64 exec, exec, s[8:9]
	s_cbranch_execnz .LBB8_25
; %bb.26:
	s_or_b64 exec, exec, s[8:9]
.LBB8_27:
	s_or_b64 exec, exec, s[2:3]
	v_and_b32_e32 v52, 7, v87
	v_cmp_ne_u32_e32 vcc, 0, v52
	s_and_saveexec_b64 s[8:9], vcc
	s_cbranch_execz .LBB8_31
; %bb.28:
	v_mov_b32_e32 v53, 0x50
	v_lshl_add_u32 v53, v88, 3, v53
	v_mov_b32_e32 v89, 0
	s_mov_b64 s[10:11], 0
.LBB8_29:                               ; =>This Inner Loop Header: Depth=1
	v_cmp_eq_u32_e32 vcc, 1, v88
	v_add_u32_e32 v52, -1, v52
	v_cmp_eq_u32_e64 s[2:3], 2, v88
	v_cndmask_b32_e32 v56, v35, v37, vcc
	v_cndmask_b32_e32 v57, v34, v36, vcc
	v_cndmask_b32_e64 v56, v56, v39, s[2:3]
	v_cmp_eq_u32_e32 vcc, 0, v52
	v_cmp_eq_u32_e64 s[4:5], 3, v88
	v_cndmask_b32_e64 v57, v57, v38, s[2:3]
	s_or_b64 s[10:11], vcc, s[10:11]
	v_cndmask_b32_e64 v56, v56, v41, s[4:5]
	v_cmp_eq_u32_e32 vcc, 4, v88
	v_cndmask_b32_e64 v57, v57, v40, s[4:5]
	v_cmp_eq_u32_e64 s[2:3], 5, v88
	v_cndmask_b32_e32 v56, v56, v43, vcc
	ds_read_b64 v[54:55], v53
	v_cndmask_b32_e64 v56, v56, v45, s[2:3]
	v_cndmask_b32_e32 v57, v57, v42, vcc
	v_cmp_eq_u32_e32 vcc, 6, v88
	v_cndmask_b32_e64 v57, v57, v44, s[2:3]
	v_cmp_eq_u32_e64 s[2:3], 7, v88
	v_cndmask_b32_e32 v56, v56, v47, vcc
	v_cmp_eq_u32_e64 s[4:5], 8, v88
	v_cndmask_b32_e64 v56, v56, v49, s[2:3]
	v_cndmask_b32_e32 v58, v57, v46, vcc
	v_cndmask_b32_e64 v57, v56, v51, s[4:5]
	v_cndmask_b32_e64 v56, v58, v48, s[2:3]
	;; [unrolled: 1-line block ×3, first 2 shown]
	v_add_u32_e32 v53, 8, v53
	v_lshl_add_u64 v[88:89], v[88:89], 0, 1
	s_waitcnt lgkmcnt(0)
	v_fmac_f64_e32 v[84:85], v[56:57], v[54:55]
	s_andn2_b64 exec, exec, s[10:11]
	s_cbranch_execnz .LBB8_29
; %bb.30:
	s_or_b64 exec, exec, s[10:11]
.LBB8_31:
	s_or_b64 exec, exec, s[8:9]
.LBB8_32:
	s_or_b64 exec, exec, s[6:7]
	v_mov_b32_e32 v44, 0
	ds_read_b64 v[44:45], v44 offset:40
	s_waitcnt lgkmcnt(0)
	v_mul_f64 v[44:45], v[84:85], v[44:45]
.LBB8_33:
	s_or_b64 exec, exec, s[20:21]
	v_cmp_lt_u32_e64 s[2:3], 4, v0
	ds_write_b64 v90, v[42:43]
	s_waitcnt lgkmcnt(0)
	; wave barrier
	s_and_saveexec_b64 s[20:21], s[2:3]
	s_cbranch_execz .LBB8_49
; %bb.34:
	s_andn2_b64 vcc, exec, s[18:19]
	s_cbranch_vccnz .LBB8_36
; %bb.35:
	v_cmp_eq_u32_e32 vcc, 1, v0
	v_cmp_eq_u32_e64 s[4:5], 2, v0
	v_cmp_eq_u32_e64 s[6:7], 3, v0
	v_cndmask_b32_e32 v84, v35, v37, vcc
	v_cndmask_b32_e64 v84, v84, v39, s[4:5]
	v_cndmask_b32_e64 v84, v84, v41, s[6:7]
	v_cmp_eq_u32_e64 s[8:9], 4, v0
	v_cmp_eq_u32_e64 s[10:11], 5, v0
	;; [unrolled: 1-line block ×3, first 2 shown]
	v_cndmask_b32_e64 v84, v84, v43, s[8:9]
	v_cndmask_b32_e64 v84, v84, v45, s[10:11]
	v_cndmask_b32_e64 v84, v84, v47, s[12:13]
	v_cmp_eq_u32_e64 s[14:15], 7, v0
	v_cmp_eq_u32_e64 s[16:17], 8, v0
	ds_read_b64 v[86:87], v90
	v_cndmask_b32_e64 v84, v84, v49, s[14:15]
	v_cndmask_b32_e64 v85, v84, v51, s[16:17]
	v_cndmask_b32_e32 v84, v34, v36, vcc
	v_cndmask_b32_e64 v84, v84, v38, s[4:5]
	v_cndmask_b32_e64 v84, v84, v40, s[6:7]
	v_cndmask_b32_e64 v84, v84, v42, s[8:9]
	v_cndmask_b32_e64 v84, v84, v44, s[10:11]
	v_cndmask_b32_e64 v84, v84, v46, s[12:13]
	v_cndmask_b32_e64 v84, v84, v48, s[14:15]
	v_cndmask_b32_e64 v84, v84, v50, s[16:17]
	s_waitcnt lgkmcnt(0)
	v_mul_f64 v[84:85], v[84:85], v[86:87]
	s_cbranch_execz .LBB8_37
	s_branch .LBB8_38
.LBB8_36:
                                        ; implicit-def: $vgpr84_vgpr85
.LBB8_37:
	ds_read_b64 v[84:85], v90
.LBB8_38:
	s_and_saveexec_b64 s[6:7], s[0:1]
	s_cbranch_execz .LBB8_48
; %bb.39:
	v_add_u32_e32 v86, -6, v0
	v_add_u32_e32 v87, -5, v0
	v_cmp_lt_u32_e32 vcc, 6, v86
	v_mov_b32_e32 v86, 5
	s_and_saveexec_b64 s[0:1], vcc
	s_cbranch_execz .LBB8_43
; %bb.40:
	v_and_b32_e32 v86, -8, v87
	v_sub_u32_e32 v88, 0, v86
	s_mov_b64 s[4:5], 12
	s_movk_i32 s10, 0x78
	s_mov_b64 s[8:9], 0
.LBB8_41:                               ; =>This Inner Loop Header: Depth=1
	s_lshl_b32 s11, s4, 1
	s_add_i32 s12, s11, -13
	v_mov_b32_e32 v89, s10
	s_add_i32 s13, s11, -14
	s_set_gpr_idx_on s12, gpr_idx(SRC0)
	v_mov_b32_e32 v101, v34
	s_set_gpr_idx_off
	s_add_i32 s14, s11, -11
	s_set_gpr_idx_on s13, gpr_idx(SRC0)
	v_mov_b32_e32 v100, v34
	s_set_gpr_idx_off
	ds_read2_b64 v[92:95], v89 offset1:1
	s_add_i32 s15, s11, -12
	s_set_gpr_idx_on s14, gpr_idx(SRC0)
	v_mov_b32_e32 v103, v34
	s_set_gpr_idx_off
	s_add_i32 s16, s11, -9
	s_set_gpr_idx_on s15, gpr_idx(SRC0)
	v_mov_b32_e32 v102, v34
	s_set_gpr_idx_off
	;; [unrolled: 4-line block ×4, first 2 shown]
	ds_read2_b64 v[96:99], v89 offset0:2 offset1:3
	s_add_i32 s23, s11, -8
	s_waitcnt lgkmcnt(1)
	v_fmac_f64_e32 v[84:85], v[100:101], v[92:93]
	s_set_gpr_idx_on s22, gpr_idx(SRC0)
	v_mov_b32_e32 v101, v34
	s_set_gpr_idx_off
	s_add_i32 s24, s11, -5
	v_fmac_f64_e32 v[84:85], v[102:103], v[94:95]
	s_set_gpr_idx_on s23, gpr_idx(SRC0)
	v_mov_b32_e32 v100, v34
	s_set_gpr_idx_off
	s_add_i32 s25, s11, -6
	s_set_gpr_idx_on s24, gpr_idx(SRC0)
	v_mov_b32_e32 v103, v34
	s_set_gpr_idx_off
	s_add_i32 s26, s11, -3
	;; [unrolled: 4-line block ×3, first 2 shown]
	ds_read2_b64 v[92:95], v89 offset0:4 offset1:5
	s_waitcnt lgkmcnt(1)
	v_fmac_f64_e32 v[84:85], v[104:105], v[96:97]
	s_set_gpr_idx_on s26, gpr_idx(SRC0)
	v_mov_b32_e32 v105, v34
	s_set_gpr_idx_off
	s_add_i32 s28, s11, -1
	v_fmac_f64_e32 v[84:85], v[100:101], v[98:99]
	s_set_gpr_idx_on s27, gpr_idx(SRC0)
	v_mov_b32_e32 v104, v34
	s_set_gpr_idx_off
	s_add_i32 s29, s11, -2
	s_set_gpr_idx_on s28, gpr_idx(SRC0)
	v_mov_b32_e32 v101, v34
	s_set_gpr_idx_off
	s_set_gpr_idx_on s29, gpr_idx(SRC0)
	v_mov_b32_e32 v100, v34
	s_set_gpr_idx_off
	ds_read2_b64 v[96:99], v89 offset0:6 offset1:7
	s_add_u32 s4, s4, 8
	s_waitcnt lgkmcnt(1)
	v_fmac_f64_e32 v[84:85], v[102:103], v[92:93]
	s_set_gpr_idx_on s11, gpr_idx(SRC0)
	v_mov_b32_e32 v93, v35
	s_set_gpr_idx_off
	v_add_u32_e32 v86, s4, v88
	v_fmac_f64_e32 v[84:85], v[104:105], v[94:95]
	s_set_gpr_idx_on s11, gpr_idx(SRC0)
	v_mov_b32_e32 v92, v34
	s_set_gpr_idx_off
	s_addc_u32 s5, s5, 0
	s_add_i32 s10, s10, 64
	s_add_i32 s12, s4, -7
	v_cmp_eq_u32_e32 vcc, 12, v86
	s_waitcnt lgkmcnt(0)
	v_fmac_f64_e32 v[84:85], v[100:101], v[96:97]
	v_mov_b32_e32 v86, s12
	s_or_b64 s[8:9], vcc, s[8:9]
	v_fmac_f64_e32 v[84:85], v[92:93], v[98:99]
	s_andn2_b64 exec, exec, s[8:9]
	s_cbranch_execnz .LBB8_41
; %bb.42:
	s_or_b64 exec, exec, s[8:9]
.LBB8_43:
	s_or_b64 exec, exec, s[0:1]
	v_and_b32_e32 v52, 7, v87
	v_cmp_ne_u32_e32 vcc, 0, v52
	s_and_saveexec_b64 s[8:9], vcc
	s_cbranch_execz .LBB8_47
; %bb.44:
	v_mov_b32_e32 v53, 0x50
	v_lshl_add_u32 v53, v86, 3, v53
	v_mov_b32_e32 v87, 0
	s_mov_b64 s[10:11], 0
.LBB8_45:                               ; =>This Inner Loop Header: Depth=1
	v_cmp_eq_u32_e32 vcc, 1, v86
	v_add_u32_e32 v52, -1, v52
	v_cmp_eq_u32_e64 s[0:1], 2, v86
	v_cndmask_b32_e32 v56, v35, v37, vcc
	v_cndmask_b32_e32 v57, v34, v36, vcc
	v_cndmask_b32_e64 v56, v56, v39, s[0:1]
	v_cmp_eq_u32_e32 vcc, 0, v52
	v_cmp_eq_u32_e64 s[4:5], 3, v86
	v_cndmask_b32_e64 v57, v57, v38, s[0:1]
	s_or_b64 s[10:11], vcc, s[10:11]
	v_cndmask_b32_e64 v56, v56, v41, s[4:5]
	v_cmp_eq_u32_e32 vcc, 4, v86
	v_cndmask_b32_e64 v57, v57, v40, s[4:5]
	v_cmp_eq_u32_e64 s[0:1], 5, v86
	v_cndmask_b32_e32 v56, v56, v43, vcc
	ds_read_b64 v[54:55], v53
	v_cndmask_b32_e64 v56, v56, v45, s[0:1]
	v_cndmask_b32_e32 v57, v57, v42, vcc
	v_cmp_eq_u32_e32 vcc, 6, v86
	v_cndmask_b32_e64 v57, v57, v44, s[0:1]
	v_cmp_eq_u32_e64 s[0:1], 7, v86
	v_cndmask_b32_e32 v56, v56, v47, vcc
	v_cmp_eq_u32_e64 s[4:5], 8, v86
	v_cndmask_b32_e64 v56, v56, v49, s[0:1]
	v_cndmask_b32_e32 v58, v57, v46, vcc
	v_cndmask_b32_e64 v57, v56, v51, s[4:5]
	v_cndmask_b32_e64 v56, v58, v48, s[0:1]
	;; [unrolled: 1-line block ×3, first 2 shown]
	v_add_u32_e32 v53, 8, v53
	v_lshl_add_u64 v[86:87], v[86:87], 0, 1
	s_waitcnt lgkmcnt(0)
	v_fmac_f64_e32 v[84:85], v[56:57], v[54:55]
	s_andn2_b64 exec, exec, s[10:11]
	s_cbranch_execnz .LBB8_45
; %bb.46:
	s_or_b64 exec, exec, s[10:11]
.LBB8_47:
	s_or_b64 exec, exec, s[8:9]
.LBB8_48:
	s_or_b64 exec, exec, s[6:7]
	v_mov_b32_e32 v42, 0
	ds_read_b64 v[42:43], v42 offset:32
	s_waitcnt lgkmcnt(0)
	v_mul_f64 v[42:43], v[84:85], v[42:43]
.LBB8_49:
	s_or_b64 exec, exec, s[20:21]
	v_cmp_lt_u32_e64 s[0:1], 3, v0
	ds_write_b64 v90, v[40:41]
	s_waitcnt lgkmcnt(0)
	; wave barrier
	s_and_saveexec_b64 s[20:21], s[0:1]
	s_cbranch_execz .LBB8_65
; %bb.50:
	s_andn2_b64 vcc, exec, s[18:19]
	s_cbranch_vccnz .LBB8_52
; %bb.51:
	v_cmp_eq_u32_e32 vcc, 1, v0
	v_cmp_eq_u32_e64 s[4:5], 2, v0
	v_cmp_eq_u32_e64 s[6:7], 3, v0
	v_cndmask_b32_e32 v84, v35, v37, vcc
	v_cndmask_b32_e64 v84, v84, v39, s[4:5]
	v_cndmask_b32_e64 v84, v84, v41, s[6:7]
	v_cmp_eq_u32_e64 s[8:9], 4, v0
	v_cmp_eq_u32_e64 s[10:11], 5, v0
	;; [unrolled: 1-line block ×3, first 2 shown]
	v_cndmask_b32_e64 v84, v84, v43, s[8:9]
	v_cndmask_b32_e64 v84, v84, v45, s[10:11]
	;; [unrolled: 1-line block ×3, first 2 shown]
	v_cmp_eq_u32_e64 s[14:15], 7, v0
	v_cmp_eq_u32_e64 s[16:17], 8, v0
	ds_read_b64 v[86:87], v90
	v_cndmask_b32_e64 v84, v84, v49, s[14:15]
	v_cndmask_b32_e64 v85, v84, v51, s[16:17]
	v_cndmask_b32_e32 v84, v34, v36, vcc
	v_cndmask_b32_e64 v84, v84, v38, s[4:5]
	v_cndmask_b32_e64 v84, v84, v40, s[6:7]
	;; [unrolled: 1-line block ×7, first 2 shown]
	s_waitcnt lgkmcnt(0)
	v_mul_f64 v[84:85], v[84:85], v[86:87]
	s_cbranch_execz .LBB8_53
	s_branch .LBB8_54
.LBB8_52:
                                        ; implicit-def: $vgpr84_vgpr85
.LBB8_53:
	ds_read_b64 v[84:85], v90
.LBB8_54:
	s_and_saveexec_b64 s[6:7], s[2:3]
	s_cbranch_execz .LBB8_64
; %bb.55:
	v_add_u32_e32 v86, -5, v0
	v_add_u32_e32 v87, -4, v0
	v_cmp_lt_u32_e32 vcc, 6, v86
	v_mov_b32_e32 v88, 4
	s_and_saveexec_b64 s[2:3], vcc
	s_cbranch_execz .LBB8_59
; %bb.56:
	v_and_b32_e32 v86, -8, v87
	v_sub_u32_e32 v86, 0, v86
	s_mov_b64 s[4:5], 5
	s_movk_i32 s10, 0x70
	s_mov_b64 s[8:9], 0
.LBB8_57:                               ; =>This Inner Loop Header: Depth=1
	s_lshl_b32 s11, s4, 1
	s_add_i32 s12, s11, -1
	s_add_i32 s13, s11, -2
	s_set_gpr_idx_on s12, gpr_idx(SRC0)
	v_mov_b32_e32 v109, v34
	s_set_gpr_idx_off
	v_mov_b32_e32 v88, s10
	s_set_gpr_idx_on s13, gpr_idx(SRC0)
	v_mov_b32_e32 v108, v34
	s_set_gpr_idx_off
	ds_read_b128 v[92:95], v88
	ds_read_b128 v[96:99], v88 offset:16
	ds_read_b128 v[100:103], v88 offset:32
	;; [unrolled: 1-line block ×3, first 2 shown]
	s_set_gpr_idx_on s11, gpr_idx(SRC0)
	v_mov_b32_e32 v111, v35
	s_add_i32 s14, s11, 3
	v_mov_b32_e32 v110, v34
	s_set_gpr_idx_off
	s_add_i32 s15, s11, 2
	s_set_gpr_idx_on s14, gpr_idx(SRC0)
	v_mov_b32_e32 v113, v34
	s_set_gpr_idx_off
	s_add_i32 s16, s11, 5
	s_set_gpr_idx_on s15, gpr_idx(SRC0)
	v_mov_b32_e32 v112, v34
	s_set_gpr_idx_off
	s_add_i32 s17, s11, 4
	s_waitcnt lgkmcnt(3)
	v_fmac_f64_e32 v[84:85], v[108:109], v[92:93]
	s_set_gpr_idx_on s16, gpr_idx(SRC0)
	v_mov_b32_e32 v93, v34
	s_set_gpr_idx_off
	s_add_i32 s22, s11, 7
	v_fmac_f64_e32 v[84:85], v[110:111], v[94:95]
	s_set_gpr_idx_on s17, gpr_idx(SRC0)
	v_mov_b32_e32 v92, v34
	s_set_gpr_idx_off
	s_add_i32 s23, s11, 6
	s_waitcnt lgkmcnt(2)
	v_fmac_f64_e32 v[84:85], v[112:113], v[96:97]
	s_set_gpr_idx_on s22, gpr_idx(SRC0)
	v_mov_b32_e32 v95, v34
	s_set_gpr_idx_off
	s_add_i32 s24, s11, 9
	v_fmac_f64_e32 v[84:85], v[92:93], v[98:99]
	s_set_gpr_idx_on s23, gpr_idx(SRC0)
	v_mov_b32_e32 v94, v34
	s_set_gpr_idx_off
	s_add_i32 s25, s11, 8
	s_waitcnt lgkmcnt(1)
	v_fmac_f64_e32 v[84:85], v[94:95], v[100:101]
	s_set_gpr_idx_on s24, gpr_idx(SRC0)
	v_mov_b32_e32 v93, v34
	s_set_gpr_idx_off
	s_add_i32 s26, s11, 11
	s_set_gpr_idx_on s25, gpr_idx(SRC0)
	v_mov_b32_e32 v92, v34
	s_set_gpr_idx_off
	s_add_i32 s27, s11, 10
	s_add_i32 s28, s11, 13
	;; [unrolled: 1-line block ×3, first 2 shown]
	v_fmac_f64_e32 v[84:85], v[92:93], v[102:103]
	s_set_gpr_idx_on s26, gpr_idx(SRC0)
	v_mov_b32_e32 v93, v34
	s_set_gpr_idx_off
	s_add_u32 s4, s4, 8
	s_set_gpr_idx_on s27, gpr_idx(SRC0)
	v_mov_b32_e32 v92, v34
	s_set_gpr_idx_off
	v_add_u32_e32 v88, s4, v86
	s_waitcnt lgkmcnt(0)
	v_fmac_f64_e32 v[84:85], v[92:93], v[104:105]
	s_set_gpr_idx_on s28, gpr_idx(SRC0)
	v_mov_b32_e32 v93, v34
	s_set_gpr_idx_off
	s_addc_u32 s5, s5, 0
	s_add_i32 s10, s10, 64
	s_add_i32 s12, s4, -1
	v_cmp_eq_u32_e32 vcc, 5, v88
	s_set_gpr_idx_on s29, gpr_idx(SRC0)
	v_mov_b32_e32 v92, v34
	s_set_gpr_idx_off
	v_mov_b32_e32 v88, s12
	s_or_b64 s[8:9], vcc, s[8:9]
	v_fmac_f64_e32 v[84:85], v[92:93], v[106:107]
	s_andn2_b64 exec, exec, s[8:9]
	s_cbranch_execnz .LBB8_57
; %bb.58:
	s_or_b64 exec, exec, s[8:9]
.LBB8_59:
	s_or_b64 exec, exec, s[2:3]
	v_and_b32_e32 v52, 7, v87
	v_cmp_ne_u32_e32 vcc, 0, v52
	s_and_saveexec_b64 s[8:9], vcc
	s_cbranch_execz .LBB8_63
; %bb.60:
	v_mov_b32_e32 v53, 0x50
	v_lshl_add_u32 v53, v88, 3, v53
	v_mov_b32_e32 v89, 0
	s_mov_b64 s[10:11], 0
.LBB8_61:                               ; =>This Inner Loop Header: Depth=1
	v_cmp_eq_u32_e32 vcc, 1, v88
	v_add_u32_e32 v52, -1, v52
	v_cmp_eq_u32_e64 s[2:3], 2, v88
	v_cndmask_b32_e32 v56, v35, v37, vcc
	v_cndmask_b32_e32 v57, v34, v36, vcc
	v_cndmask_b32_e64 v56, v56, v39, s[2:3]
	v_cmp_eq_u32_e32 vcc, 0, v52
	v_cmp_eq_u32_e64 s[4:5], 3, v88
	v_cndmask_b32_e64 v57, v57, v38, s[2:3]
	s_or_b64 s[10:11], vcc, s[10:11]
	v_cndmask_b32_e64 v56, v56, v41, s[4:5]
	v_cmp_eq_u32_e32 vcc, 4, v88
	v_cndmask_b32_e64 v57, v57, v40, s[4:5]
	v_cmp_eq_u32_e64 s[2:3], 5, v88
	v_cndmask_b32_e32 v56, v56, v43, vcc
	ds_read_b64 v[54:55], v53
	v_cndmask_b32_e64 v56, v56, v45, s[2:3]
	v_cndmask_b32_e32 v57, v57, v42, vcc
	v_cmp_eq_u32_e32 vcc, 6, v88
	v_cndmask_b32_e64 v57, v57, v44, s[2:3]
	v_cmp_eq_u32_e64 s[2:3], 7, v88
	v_cndmask_b32_e32 v56, v56, v47, vcc
	v_cmp_eq_u32_e64 s[4:5], 8, v88
	v_cndmask_b32_e64 v56, v56, v49, s[2:3]
	v_cndmask_b32_e32 v58, v57, v46, vcc
	v_cndmask_b32_e64 v57, v56, v51, s[4:5]
	v_cndmask_b32_e64 v56, v58, v48, s[2:3]
	;; [unrolled: 1-line block ×3, first 2 shown]
	v_add_u32_e32 v53, 8, v53
	v_lshl_add_u64 v[88:89], v[88:89], 0, 1
	s_waitcnt lgkmcnt(0)
	v_fmac_f64_e32 v[84:85], v[56:57], v[54:55]
	s_andn2_b64 exec, exec, s[10:11]
	s_cbranch_execnz .LBB8_61
; %bb.62:
	s_or_b64 exec, exec, s[10:11]
.LBB8_63:
	s_or_b64 exec, exec, s[8:9]
.LBB8_64:
	s_or_b64 exec, exec, s[6:7]
	v_mov_b32_e32 v40, 0
	ds_read_b64 v[40:41], v40 offset:24
	s_waitcnt lgkmcnt(0)
	v_mul_f64 v[40:41], v[84:85], v[40:41]
.LBB8_65:
	s_or_b64 exec, exec, s[20:21]
	v_cmp_lt_u32_e64 s[2:3], 2, v0
	ds_write_b64 v90, v[38:39]
	s_waitcnt lgkmcnt(0)
	; wave barrier
	s_and_saveexec_b64 s[20:21], s[2:3]
	s_cbranch_execz .LBB8_81
; %bb.66:
	s_andn2_b64 vcc, exec, s[18:19]
	s_cbranch_vccnz .LBB8_68
; %bb.67:
	v_cmp_eq_u32_e32 vcc, 1, v0
	v_cmp_eq_u32_e64 s[4:5], 2, v0
	v_cmp_eq_u32_e64 s[6:7], 3, v0
	v_cndmask_b32_e32 v84, v35, v37, vcc
	v_cndmask_b32_e64 v84, v84, v39, s[4:5]
	v_cndmask_b32_e64 v84, v84, v41, s[6:7]
	v_cmp_eq_u32_e64 s[8:9], 4, v0
	v_cmp_eq_u32_e64 s[10:11], 5, v0
	;; [unrolled: 1-line block ×3, first 2 shown]
	v_cndmask_b32_e64 v84, v84, v43, s[8:9]
	v_cndmask_b32_e64 v84, v84, v45, s[10:11]
	;; [unrolled: 1-line block ×3, first 2 shown]
	v_cmp_eq_u32_e64 s[14:15], 7, v0
	v_cmp_eq_u32_e64 s[16:17], 8, v0
	ds_read_b64 v[86:87], v90
	v_cndmask_b32_e64 v84, v84, v49, s[14:15]
	v_cndmask_b32_e64 v85, v84, v51, s[16:17]
	v_cndmask_b32_e32 v84, v34, v36, vcc
	v_cndmask_b32_e64 v84, v84, v38, s[4:5]
	v_cndmask_b32_e64 v84, v84, v40, s[6:7]
	;; [unrolled: 1-line block ×7, first 2 shown]
	s_waitcnt lgkmcnt(0)
	v_mul_f64 v[84:85], v[84:85], v[86:87]
	s_cbranch_execz .LBB8_69
	s_branch .LBB8_70
.LBB8_68:
                                        ; implicit-def: $vgpr84_vgpr85
.LBB8_69:
	ds_read_b64 v[84:85], v90
.LBB8_70:
	s_and_saveexec_b64 s[6:7], s[0:1]
	s_cbranch_execz .LBB8_80
; %bb.71:
	v_add_u32_e32 v86, -4, v0
	v_add_u32_e32 v87, -3, v0
	v_cmp_lt_u32_e32 vcc, 6, v86
	v_mov_b32_e32 v86, 3
	s_and_saveexec_b64 s[0:1], vcc
	s_cbranch_execz .LBB8_75
; %bb.72:
	v_and_b32_e32 v86, -8, v87
	v_sub_u32_e32 v88, 0, v86
	s_mov_b64 s[4:5], 10
	s_movk_i32 s10, 0x68
	s_mov_b64 s[8:9], 0
.LBB8_73:                               ; =>This Inner Loop Header: Depth=1
	s_lshl_b32 s11, s4, 1
	s_add_i32 s12, s11, -13
	v_mov_b32_e32 v89, s10
	s_add_i32 s13, s11, -14
	s_set_gpr_idx_on s12, gpr_idx(SRC0)
	v_mov_b32_e32 v101, v34
	s_set_gpr_idx_off
	s_add_i32 s14, s11, -11
	s_set_gpr_idx_on s13, gpr_idx(SRC0)
	v_mov_b32_e32 v100, v34
	s_set_gpr_idx_off
	ds_read2_b64 v[92:95], v89 offset1:1
	s_add_i32 s15, s11, -12
	s_set_gpr_idx_on s14, gpr_idx(SRC0)
	v_mov_b32_e32 v103, v34
	s_set_gpr_idx_off
	s_add_i32 s16, s11, -9
	s_set_gpr_idx_on s15, gpr_idx(SRC0)
	v_mov_b32_e32 v102, v34
	s_set_gpr_idx_off
	;; [unrolled: 4-line block ×4, first 2 shown]
	ds_read2_b64 v[96:99], v89 offset0:2 offset1:3
	s_add_i32 s23, s11, -8
	s_waitcnt lgkmcnt(1)
	v_fmac_f64_e32 v[84:85], v[100:101], v[92:93]
	s_set_gpr_idx_on s22, gpr_idx(SRC0)
	v_mov_b32_e32 v101, v34
	s_set_gpr_idx_off
	s_add_i32 s24, s11, -5
	v_fmac_f64_e32 v[84:85], v[102:103], v[94:95]
	s_set_gpr_idx_on s23, gpr_idx(SRC0)
	v_mov_b32_e32 v100, v34
	s_set_gpr_idx_off
	s_add_i32 s25, s11, -6
	s_set_gpr_idx_on s24, gpr_idx(SRC0)
	v_mov_b32_e32 v103, v34
	s_set_gpr_idx_off
	s_add_i32 s26, s11, -3
	s_set_gpr_idx_on s25, gpr_idx(SRC0)
	v_mov_b32_e32 v102, v34
	s_set_gpr_idx_off
	s_add_i32 s27, s11, -4
	ds_read2_b64 v[92:95], v89 offset0:4 offset1:5
	s_waitcnt lgkmcnt(1)
	v_fmac_f64_e32 v[84:85], v[104:105], v[96:97]
	s_set_gpr_idx_on s26, gpr_idx(SRC0)
	v_mov_b32_e32 v105, v34
	s_set_gpr_idx_off
	s_add_i32 s28, s11, -1
	v_fmac_f64_e32 v[84:85], v[100:101], v[98:99]
	s_set_gpr_idx_on s27, gpr_idx(SRC0)
	v_mov_b32_e32 v104, v34
	s_set_gpr_idx_off
	s_add_i32 s29, s11, -2
	s_set_gpr_idx_on s28, gpr_idx(SRC0)
	v_mov_b32_e32 v101, v34
	s_set_gpr_idx_off
	s_set_gpr_idx_on s29, gpr_idx(SRC0)
	v_mov_b32_e32 v100, v34
	s_set_gpr_idx_off
	ds_read2_b64 v[96:99], v89 offset0:6 offset1:7
	s_add_u32 s4, s4, 8
	s_waitcnt lgkmcnt(1)
	v_fmac_f64_e32 v[84:85], v[102:103], v[92:93]
	s_set_gpr_idx_on s11, gpr_idx(SRC0)
	v_mov_b32_e32 v93, v35
	s_set_gpr_idx_off
	v_add_u32_e32 v86, s4, v88
	v_fmac_f64_e32 v[84:85], v[104:105], v[94:95]
	s_set_gpr_idx_on s11, gpr_idx(SRC0)
	v_mov_b32_e32 v92, v34
	s_set_gpr_idx_off
	s_addc_u32 s5, s5, 0
	s_add_i32 s10, s10, 64
	s_add_i32 s12, s4, -7
	v_cmp_eq_u32_e32 vcc, 10, v86
	s_waitcnt lgkmcnt(0)
	v_fmac_f64_e32 v[84:85], v[100:101], v[96:97]
	v_mov_b32_e32 v86, s12
	s_or_b64 s[8:9], vcc, s[8:9]
	v_fmac_f64_e32 v[84:85], v[92:93], v[98:99]
	s_andn2_b64 exec, exec, s[8:9]
	s_cbranch_execnz .LBB8_73
; %bb.74:
	s_or_b64 exec, exec, s[8:9]
.LBB8_75:
	s_or_b64 exec, exec, s[0:1]
	v_and_b32_e32 v52, 7, v87
	v_cmp_ne_u32_e32 vcc, 0, v52
	s_and_saveexec_b64 s[8:9], vcc
	s_cbranch_execz .LBB8_79
; %bb.76:
	v_mov_b32_e32 v53, 0x50
	v_lshl_add_u32 v53, v86, 3, v53
	v_mov_b32_e32 v87, 0
	s_mov_b64 s[10:11], 0
.LBB8_77:                               ; =>This Inner Loop Header: Depth=1
	v_cmp_eq_u32_e32 vcc, 1, v86
	v_add_u32_e32 v52, -1, v52
	v_cmp_eq_u32_e64 s[0:1], 2, v86
	v_cndmask_b32_e32 v56, v35, v37, vcc
	v_cndmask_b32_e32 v57, v34, v36, vcc
	v_cndmask_b32_e64 v56, v56, v39, s[0:1]
	v_cmp_eq_u32_e32 vcc, 0, v52
	v_cmp_eq_u32_e64 s[4:5], 3, v86
	v_cndmask_b32_e64 v57, v57, v38, s[0:1]
	s_or_b64 s[10:11], vcc, s[10:11]
	v_cndmask_b32_e64 v56, v56, v41, s[4:5]
	v_cmp_eq_u32_e32 vcc, 4, v86
	v_cndmask_b32_e64 v57, v57, v40, s[4:5]
	v_cmp_eq_u32_e64 s[0:1], 5, v86
	v_cndmask_b32_e32 v56, v56, v43, vcc
	ds_read_b64 v[54:55], v53
	v_cndmask_b32_e64 v56, v56, v45, s[0:1]
	v_cndmask_b32_e32 v57, v57, v42, vcc
	v_cmp_eq_u32_e32 vcc, 6, v86
	v_cndmask_b32_e64 v57, v57, v44, s[0:1]
	v_cmp_eq_u32_e64 s[0:1], 7, v86
	v_cndmask_b32_e32 v56, v56, v47, vcc
	v_cmp_eq_u32_e64 s[4:5], 8, v86
	v_cndmask_b32_e64 v56, v56, v49, s[0:1]
	v_cndmask_b32_e32 v58, v57, v46, vcc
	v_cndmask_b32_e64 v57, v56, v51, s[4:5]
	v_cndmask_b32_e64 v56, v58, v48, s[0:1]
	;; [unrolled: 1-line block ×3, first 2 shown]
	v_add_u32_e32 v53, 8, v53
	v_lshl_add_u64 v[86:87], v[86:87], 0, 1
	s_waitcnt lgkmcnt(0)
	v_fmac_f64_e32 v[84:85], v[56:57], v[54:55]
	s_andn2_b64 exec, exec, s[10:11]
	s_cbranch_execnz .LBB8_77
; %bb.78:
	s_or_b64 exec, exec, s[10:11]
.LBB8_79:
	s_or_b64 exec, exec, s[8:9]
.LBB8_80:
	s_or_b64 exec, exec, s[6:7]
	v_mov_b32_e32 v38, 0
	ds_read_b64 v[38:39], v38 offset:16
	s_waitcnt lgkmcnt(0)
	v_mul_f64 v[38:39], v[84:85], v[38:39]
.LBB8_81:
	s_or_b64 exec, exec, s[20:21]
	v_cmp_lt_u32_e64 s[0:1], 1, v0
	ds_write_b64 v90, v[36:37]
	s_waitcnt lgkmcnt(0)
	; wave barrier
	s_and_saveexec_b64 s[20:21], s[0:1]
	s_cbranch_execz .LBB8_97
; %bb.82:
	s_andn2_b64 vcc, exec, s[18:19]
	s_cbranch_vccnz .LBB8_84
; %bb.83:
	v_cmp_eq_u32_e32 vcc, 1, v0
	v_cmp_eq_u32_e64 s[4:5], 2, v0
	v_cmp_eq_u32_e64 s[6:7], 3, v0
	v_cndmask_b32_e32 v84, v35, v37, vcc
	v_cndmask_b32_e64 v84, v84, v39, s[4:5]
	v_cndmask_b32_e64 v84, v84, v41, s[6:7]
	v_cmp_eq_u32_e64 s[8:9], 4, v0
	v_cmp_eq_u32_e64 s[10:11], 5, v0
	;; [unrolled: 1-line block ×3, first 2 shown]
	v_cndmask_b32_e64 v84, v84, v43, s[8:9]
	v_cndmask_b32_e64 v84, v84, v45, s[10:11]
	;; [unrolled: 1-line block ×3, first 2 shown]
	v_cmp_eq_u32_e64 s[14:15], 7, v0
	v_cmp_eq_u32_e64 s[16:17], 8, v0
	ds_read_b64 v[86:87], v90
	v_cndmask_b32_e64 v84, v84, v49, s[14:15]
	v_cndmask_b32_e64 v85, v84, v51, s[16:17]
	v_cndmask_b32_e32 v84, v34, v36, vcc
	v_cndmask_b32_e64 v84, v84, v38, s[4:5]
	v_cndmask_b32_e64 v84, v84, v40, s[6:7]
	;; [unrolled: 1-line block ×7, first 2 shown]
	s_waitcnt lgkmcnt(0)
	v_mul_f64 v[84:85], v[84:85], v[86:87]
	s_cbranch_execz .LBB8_85
	s_branch .LBB8_86
.LBB8_84:
                                        ; implicit-def: $vgpr84_vgpr85
.LBB8_85:
	ds_read_b64 v[84:85], v90
.LBB8_86:
	s_and_saveexec_b64 s[6:7], s[2:3]
	s_cbranch_execz .LBB8_96
; %bb.87:
	v_add_u32_e32 v86, -3, v0
	v_add_u32_e32 v87, -2, v0
	v_cmp_lt_u32_e32 vcc, 6, v86
	v_mov_b32_e32 v88, 2
	s_and_saveexec_b64 s[2:3], vcc
	s_cbranch_execz .LBB8_91
; %bb.88:
	v_and_b32_e32 v86, -8, v87
	v_sub_u32_e32 v86, 0, v86
	s_mov_b64 s[4:5], 9
	s_movk_i32 s10, 0x60
	s_mov_b64 s[8:9], 0
.LBB8_89:                               ; =>This Inner Loop Header: Depth=1
	s_lshl_b32 s11, s4, 1
	s_add_i32 s12, s11, -13
	s_add_i32 s13, s11, -14
	s_set_gpr_idx_on s12, gpr_idx(SRC0)
	v_mov_b32_e32 v109, v34
	s_set_gpr_idx_off
	v_mov_b32_e32 v88, s10
	s_add_i32 s14, s11, -11
	s_set_gpr_idx_on s13, gpr_idx(SRC0)
	v_mov_b32_e32 v108, v34
	s_set_gpr_idx_off
	s_add_i32 s15, s11, -12
	ds_read_b128 v[92:95], v88
	ds_read_b128 v[96:99], v88 offset:16
	ds_read_b128 v[100:103], v88 offset:32
	;; [unrolled: 1-line block ×3, first 2 shown]
	s_set_gpr_idx_on s14, gpr_idx(SRC0)
	v_mov_b32_e32 v111, v34
	s_set_gpr_idx_off
	s_add_i32 s16, s11, -9
	s_set_gpr_idx_on s15, gpr_idx(SRC0)
	v_mov_b32_e32 v110, v34
	s_set_gpr_idx_off
	s_add_i32 s17, s11, -10
	;; [unrolled: 4-line block ×4, first 2 shown]
	s_waitcnt lgkmcnt(3)
	v_fmac_f64_e32 v[84:85], v[108:109], v[92:93]
	s_set_gpr_idx_on s22, gpr_idx(SRC0)
	v_mov_b32_e32 v93, v34
	s_set_gpr_idx_off
	s_add_i32 s24, s11, -5
	v_fmac_f64_e32 v[84:85], v[110:111], v[94:95]
	s_set_gpr_idx_on s23, gpr_idx(SRC0)
	v_mov_b32_e32 v92, v34
	s_set_gpr_idx_off
	s_add_i32 s25, s11, -6
	s_waitcnt lgkmcnt(2)
	v_fmac_f64_e32 v[84:85], v[112:113], v[96:97]
	s_set_gpr_idx_on s24, gpr_idx(SRC0)
	v_mov_b32_e32 v95, v34
	s_set_gpr_idx_off
	s_add_i32 s26, s11, -3
	v_fmac_f64_e32 v[84:85], v[92:93], v[98:99]
	s_set_gpr_idx_on s25, gpr_idx(SRC0)
	v_mov_b32_e32 v94, v34
	s_set_gpr_idx_off
	s_add_i32 s27, s11, -4
	s_waitcnt lgkmcnt(1)
	v_fmac_f64_e32 v[84:85], v[94:95], v[100:101]
	s_set_gpr_idx_on s26, gpr_idx(SRC0)
	v_mov_b32_e32 v93, v34
	s_set_gpr_idx_off
	s_add_i32 s28, s11, -1
	s_set_gpr_idx_on s27, gpr_idx(SRC0)
	v_mov_b32_e32 v92, v34
	s_set_gpr_idx_off
	s_add_i32 s29, s11, -2
	v_fmac_f64_e32 v[84:85], v[92:93], v[102:103]
	s_set_gpr_idx_on s28, gpr_idx(SRC0)
	v_mov_b32_e32 v93, v34
	s_set_gpr_idx_off
	s_add_u32 s4, s4, 8
	s_set_gpr_idx_on s29, gpr_idx(SRC0)
	v_mov_b32_e32 v92, v34
	s_set_gpr_idx_off
	v_add_u32_e32 v88, s4, v86
	s_waitcnt lgkmcnt(0)
	v_fmac_f64_e32 v[84:85], v[92:93], v[104:105]
	s_set_gpr_idx_on s11, gpr_idx(SRC0)
	v_mov_b32_e32 v93, v35
	s_set_gpr_idx_off
	s_addc_u32 s5, s5, 0
	s_add_i32 s10, s10, 64
	s_add_i32 s12, s4, -7
	v_cmp_eq_u32_e32 vcc, 9, v88
	s_set_gpr_idx_on s11, gpr_idx(SRC0)
	v_mov_b32_e32 v92, v34
	s_set_gpr_idx_off
	v_mov_b32_e32 v88, s12
	s_or_b64 s[8:9], vcc, s[8:9]
	v_fmac_f64_e32 v[84:85], v[92:93], v[106:107]
	s_andn2_b64 exec, exec, s[8:9]
	s_cbranch_execnz .LBB8_89
; %bb.90:
	s_or_b64 exec, exec, s[8:9]
.LBB8_91:
	s_or_b64 exec, exec, s[2:3]
	v_and_b32_e32 v52, 7, v87
	v_cmp_ne_u32_e32 vcc, 0, v52
	s_and_saveexec_b64 s[8:9], vcc
	s_cbranch_execz .LBB8_95
; %bb.92:
	v_mov_b32_e32 v53, 0x50
	v_lshl_add_u32 v53, v88, 3, v53
	v_mov_b32_e32 v89, 0
	s_mov_b64 s[10:11], 0
.LBB8_93:                               ; =>This Inner Loop Header: Depth=1
	v_cmp_eq_u32_e32 vcc, 1, v88
	v_add_u32_e32 v52, -1, v52
	v_cmp_eq_u32_e64 s[2:3], 2, v88
	v_cndmask_b32_e32 v56, v35, v37, vcc
	v_cndmask_b32_e32 v57, v34, v36, vcc
	v_cndmask_b32_e64 v56, v56, v39, s[2:3]
	v_cmp_eq_u32_e32 vcc, 0, v52
	v_cmp_eq_u32_e64 s[4:5], 3, v88
	v_cndmask_b32_e64 v57, v57, v38, s[2:3]
	s_or_b64 s[10:11], vcc, s[10:11]
	v_cndmask_b32_e64 v56, v56, v41, s[4:5]
	v_cmp_eq_u32_e32 vcc, 4, v88
	v_cndmask_b32_e64 v57, v57, v40, s[4:5]
	v_cmp_eq_u32_e64 s[2:3], 5, v88
	v_cndmask_b32_e32 v56, v56, v43, vcc
	ds_read_b64 v[54:55], v53
	v_cndmask_b32_e64 v56, v56, v45, s[2:3]
	v_cndmask_b32_e32 v57, v57, v42, vcc
	v_cmp_eq_u32_e32 vcc, 6, v88
	v_cndmask_b32_e64 v57, v57, v44, s[2:3]
	v_cmp_eq_u32_e64 s[2:3], 7, v88
	v_cndmask_b32_e32 v56, v56, v47, vcc
	v_cmp_eq_u32_e64 s[4:5], 8, v88
	v_cndmask_b32_e64 v56, v56, v49, s[2:3]
	v_cndmask_b32_e32 v58, v57, v46, vcc
	v_cndmask_b32_e64 v57, v56, v51, s[4:5]
	v_cndmask_b32_e64 v56, v58, v48, s[2:3]
	;; [unrolled: 1-line block ×3, first 2 shown]
	v_add_u32_e32 v53, 8, v53
	v_lshl_add_u64 v[88:89], v[88:89], 0, 1
	s_waitcnt lgkmcnt(0)
	v_fmac_f64_e32 v[84:85], v[56:57], v[54:55]
	s_andn2_b64 exec, exec, s[10:11]
	s_cbranch_execnz .LBB8_93
; %bb.94:
	s_or_b64 exec, exec, s[10:11]
.LBB8_95:
	s_or_b64 exec, exec, s[8:9]
.LBB8_96:
	s_or_b64 exec, exec, s[6:7]
	v_mov_b32_e32 v36, 0
	ds_read_b64 v[36:37], v36 offset:8
	s_waitcnt lgkmcnt(0)
	v_mul_f64 v[36:37], v[84:85], v[36:37]
.LBB8_97:
	s_or_b64 exec, exec, s[20:21]
	v_cmp_ne_u32_e32 vcc, 0, v0
	ds_write_b64 v90, v[34:35]
	s_waitcnt lgkmcnt(0)
	; wave barrier
	s_and_saveexec_b64 s[16:17], vcc
	s_cbranch_execz .LBB8_113
; %bb.98:
	s_andn2_b64 vcc, exec, s[18:19]
	s_cbranch_vccnz .LBB8_100
; %bb.99:
	v_cmp_eq_u32_e32 vcc, 1, v0
	v_cmp_eq_u32_e64 s[2:3], 2, v0
	v_cmp_eq_u32_e64 s[4:5], 3, v0
	v_cndmask_b32_e32 v84, v35, v37, vcc
	v_cndmask_b32_e64 v84, v84, v39, s[2:3]
	v_cndmask_b32_e64 v84, v84, v41, s[4:5]
	v_cmp_eq_u32_e64 s[6:7], 4, v0
	v_cmp_eq_u32_e64 s[8:9], 5, v0
	;; [unrolled: 1-line block ×3, first 2 shown]
	v_cndmask_b32_e64 v84, v84, v43, s[6:7]
	v_cndmask_b32_e64 v84, v84, v45, s[8:9]
	;; [unrolled: 1-line block ×3, first 2 shown]
	v_cmp_eq_u32_e64 s[12:13], 7, v0
	v_cmp_eq_u32_e64 s[14:15], 8, v0
	ds_read_b64 v[86:87], v90
	v_cndmask_b32_e64 v84, v84, v49, s[12:13]
	v_cndmask_b32_e64 v85, v84, v51, s[14:15]
	v_cndmask_b32_e32 v84, v34, v36, vcc
	v_cndmask_b32_e64 v84, v84, v38, s[2:3]
	v_cndmask_b32_e64 v84, v84, v40, s[4:5]
	v_cndmask_b32_e64 v84, v84, v42, s[6:7]
	v_cndmask_b32_e64 v84, v84, v44, s[8:9]
	v_cndmask_b32_e64 v84, v84, v46, s[10:11]
	v_cndmask_b32_e64 v84, v84, v48, s[12:13]
	v_cndmask_b32_e64 v84, v84, v50, s[14:15]
	s_waitcnt lgkmcnt(0)
	v_mul_f64 v[84:85], v[84:85], v[86:87]
	s_cbranch_execz .LBB8_101
	s_branch .LBB8_102
.LBB8_100:
                                        ; implicit-def: $vgpr84_vgpr85
.LBB8_101:
	ds_read_b64 v[84:85], v90
.LBB8_102:
	s_and_saveexec_b64 s[4:5], s[0:1]
	s_cbranch_execz .LBB8_112
; %bb.103:
	v_add_u32_e32 v86, -2, v0
	v_add_u32_e32 v87, -1, v0
	v_cmp_lt_u32_e32 vcc, 6, v86
	v_mov_b32_e32 v86, 1
	s_and_saveexec_b64 s[0:1], vcc
	s_cbranch_execz .LBB8_107
; %bb.104:
	v_and_b32_e32 v86, -8, v87
	v_sub_u32_e32 v88, 0, v86
	s_mov_b64 s[2:3], 8
	s_movk_i32 s8, 0x58
	s_mov_b64 s[6:7], 0
.LBB8_105:                              ; =>This Inner Loop Header: Depth=1
	s_lshl_b32 s9, s2, 1
	s_add_i32 s10, s9, -13
	v_mov_b32_e32 v89, s8
	s_add_i32 s11, s9, -14
	s_set_gpr_idx_on s10, gpr_idx(SRC0)
	v_mov_b32_e32 v101, v34
	s_set_gpr_idx_off
	s_add_i32 s12, s9, -11
	s_set_gpr_idx_on s11, gpr_idx(SRC0)
	v_mov_b32_e32 v100, v34
	s_set_gpr_idx_off
	ds_read2_b64 v[92:95], v89 offset1:1
	s_add_i32 s13, s9, -12
	s_set_gpr_idx_on s12, gpr_idx(SRC0)
	v_mov_b32_e32 v103, v34
	s_set_gpr_idx_off
	s_add_i32 s14, s9, -9
	s_set_gpr_idx_on s13, gpr_idx(SRC0)
	v_mov_b32_e32 v102, v34
	s_set_gpr_idx_off
	;; [unrolled: 4-line block ×4, first 2 shown]
	ds_read2_b64 v[96:99], v89 offset0:2 offset1:3
	s_add_i32 s21, s9, -8
	s_waitcnt lgkmcnt(1)
	v_fmac_f64_e32 v[84:85], v[100:101], v[92:93]
	s_set_gpr_idx_on s20, gpr_idx(SRC0)
	v_mov_b32_e32 v101, v34
	s_set_gpr_idx_off
	s_add_i32 s22, s9, -5
	v_fmac_f64_e32 v[84:85], v[102:103], v[94:95]
	s_set_gpr_idx_on s21, gpr_idx(SRC0)
	v_mov_b32_e32 v100, v34
	s_set_gpr_idx_off
	s_add_i32 s23, s9, -6
	s_set_gpr_idx_on s22, gpr_idx(SRC0)
	v_mov_b32_e32 v103, v34
	s_set_gpr_idx_off
	s_add_i32 s24, s9, -3
	s_set_gpr_idx_on s23, gpr_idx(SRC0)
	v_mov_b32_e32 v102, v34
	s_set_gpr_idx_off
	s_add_i32 s25, s9, -4
	ds_read2_b64 v[92:95], v89 offset0:4 offset1:5
	s_waitcnt lgkmcnt(1)
	v_fmac_f64_e32 v[84:85], v[104:105], v[96:97]
	s_set_gpr_idx_on s24, gpr_idx(SRC0)
	v_mov_b32_e32 v105, v34
	s_set_gpr_idx_off
	s_add_i32 s26, s9, -1
	v_fmac_f64_e32 v[84:85], v[100:101], v[98:99]
	s_set_gpr_idx_on s25, gpr_idx(SRC0)
	v_mov_b32_e32 v104, v34
	s_set_gpr_idx_off
	s_add_i32 s27, s9, -2
	s_set_gpr_idx_on s26, gpr_idx(SRC0)
	v_mov_b32_e32 v101, v34
	s_set_gpr_idx_off
	s_set_gpr_idx_on s27, gpr_idx(SRC0)
	v_mov_b32_e32 v100, v34
	s_set_gpr_idx_off
	ds_read2_b64 v[96:99], v89 offset0:6 offset1:7
	s_add_u32 s2, s2, 8
	s_waitcnt lgkmcnt(1)
	v_fmac_f64_e32 v[84:85], v[102:103], v[92:93]
	s_set_gpr_idx_on s9, gpr_idx(SRC0)
	v_mov_b32_e32 v93, v35
	s_set_gpr_idx_off
	v_add_u32_e32 v86, s2, v88
	v_fmac_f64_e32 v[84:85], v[104:105], v[94:95]
	s_set_gpr_idx_on s9, gpr_idx(SRC0)
	v_mov_b32_e32 v92, v34
	s_set_gpr_idx_off
	s_addc_u32 s3, s3, 0
	s_add_i32 s8, s8, 64
	s_add_i32 s10, s2, -7
	v_cmp_eq_u32_e32 vcc, 8, v86
	s_waitcnt lgkmcnt(0)
	v_fmac_f64_e32 v[84:85], v[100:101], v[96:97]
	v_mov_b32_e32 v86, s10
	s_or_b64 s[6:7], vcc, s[6:7]
	v_fmac_f64_e32 v[84:85], v[92:93], v[98:99]
	s_andn2_b64 exec, exec, s[6:7]
	s_cbranch_execnz .LBB8_105
; %bb.106:
	s_or_b64 exec, exec, s[6:7]
.LBB8_107:
	s_or_b64 exec, exec, s[0:1]
	v_and_b32_e32 v52, 7, v87
	v_cmp_ne_u32_e32 vcc, 0, v52
	s_and_saveexec_b64 s[6:7], vcc
	s_cbranch_execz .LBB8_111
; %bb.108:
	v_mov_b32_e32 v53, 0x50
	v_lshl_add_u32 v53, v86, 3, v53
	v_mov_b32_e32 v87, 0
	s_mov_b64 s[8:9], 0
.LBB8_109:                              ; =>This Inner Loop Header: Depth=1
	v_cmp_eq_u32_e32 vcc, 1, v86
	v_add_u32_e32 v52, -1, v52
	v_cmp_eq_u32_e64 s[0:1], 2, v86
	v_cndmask_b32_e32 v56, v35, v37, vcc
	v_cndmask_b32_e32 v57, v34, v36, vcc
	v_cndmask_b32_e64 v56, v56, v39, s[0:1]
	v_cmp_eq_u32_e32 vcc, 0, v52
	v_cmp_eq_u32_e64 s[2:3], 3, v86
	v_cndmask_b32_e64 v57, v57, v38, s[0:1]
	s_or_b64 s[8:9], vcc, s[8:9]
	v_cndmask_b32_e64 v56, v56, v41, s[2:3]
	v_cmp_eq_u32_e32 vcc, 4, v86
	v_cndmask_b32_e64 v57, v57, v40, s[2:3]
	v_cmp_eq_u32_e64 s[0:1], 5, v86
	v_cndmask_b32_e32 v56, v56, v43, vcc
	ds_read_b64 v[54:55], v53
	v_cndmask_b32_e64 v56, v56, v45, s[0:1]
	v_cndmask_b32_e32 v57, v57, v42, vcc
	v_cmp_eq_u32_e32 vcc, 6, v86
	v_cndmask_b32_e64 v57, v57, v44, s[0:1]
	v_cmp_eq_u32_e64 s[0:1], 7, v86
	v_cndmask_b32_e32 v56, v56, v47, vcc
	v_cmp_eq_u32_e64 s[2:3], 8, v86
	v_cndmask_b32_e64 v56, v56, v49, s[0:1]
	v_cndmask_b32_e32 v58, v57, v46, vcc
	v_cndmask_b32_e64 v57, v56, v51, s[2:3]
	v_cndmask_b32_e64 v56, v58, v48, s[0:1]
	;; [unrolled: 1-line block ×3, first 2 shown]
	v_add_u32_e32 v53, 8, v53
	v_lshl_add_u64 v[86:87], v[86:87], 0, 1
	s_waitcnt lgkmcnt(0)
	v_fmac_f64_e32 v[84:85], v[56:57], v[54:55]
	s_andn2_b64 exec, exec, s[8:9]
	s_cbranch_execnz .LBB8_109
; %bb.110:
	s_or_b64 exec, exec, s[8:9]
.LBB8_111:
	s_or_b64 exec, exec, s[6:7]
.LBB8_112:
	s_or_b64 exec, exec, s[4:5]
	v_mov_b32_e32 v34, 0
	ds_read_b64 v[34:35], v34
	s_waitcnt lgkmcnt(0)
	v_mul_f64 v[34:35], v[84:85], v[34:35]
.LBB8_113:
	s_or_b64 exec, exec, s[16:17]
	s_branch .LBB8_185
.LBB8_114:
	v_cmp_eq_u32_e64 s[2:3], 0, v0
	s_waitcnt vmcnt(7)
	ds_write_b64 v90, v[4:5]
	s_waitcnt lgkmcnt(0)
	; wave barrier
	s_and_saveexec_b64 s[16:17], s[2:3]
	s_cbranch_execz .LBB8_120
; %bb.115:
	s_and_b64 vcc, exec, s[18:19]
	s_cbranch_vccz .LBB8_117
; %bb.116:
	v_cmp_eq_u32_e32 vcc, 1, v0
	v_cmp_eq_u32_e64 s[0:1], 2, v0
	v_cmp_eq_u32_e64 s[4:5], 3, v0
	v_cndmask_b32_e32 v5, v3, v5, vcc
	v_cndmask_b32_e32 v4, v2, v4, vcc
	s_waitcnt vmcnt(6)
	v_cndmask_b32_e64 v5, v5, v7, s[0:1]
	v_cndmask_b32_e64 v4, v4, v6, s[0:1]
	s_waitcnt vmcnt(5)
	v_cndmask_b32_e64 v5, v5, v9, s[4:5]
	v_cmp_eq_u32_e64 s[6:7], 4, v0
	v_cndmask_b32_e64 v4, v4, v8, s[4:5]
	v_cmp_eq_u32_e64 s[8:9], 5, v0
	s_waitcnt vmcnt(4)
	v_cndmask_b32_e64 v5, v5, v11, s[6:7]
	v_cndmask_b32_e64 v4, v4, v10, s[6:7]
	ds_read_b64 v[20:21], v90
	s_waitcnt vmcnt(3)
	v_cndmask_b32_e64 v5, v5, v13, s[8:9]
	v_cmp_eq_u32_e64 s[10:11], 6, v0
	v_cndmask_b32_e64 v4, v4, v12, s[8:9]
	v_cmp_eq_u32_e64 s[12:13], 7, v0
	s_waitcnt vmcnt(2)
	v_cndmask_b32_e64 v5, v5, v15, s[10:11]
	v_cndmask_b32_e64 v4, v4, v14, s[10:11]
	s_waitcnt vmcnt(1)
	v_cndmask_b32_e64 v5, v5, v17, s[12:13]
	v_cmp_eq_u32_e64 s[14:15], 8, v0
	v_cndmask_b32_e64 v4, v4, v16, s[12:13]
	s_waitcnt vmcnt(0)
	v_cndmask_b32_e64 v5, v5, v19, s[14:15]
	v_cndmask_b32_e64 v4, v4, v18, s[14:15]
	s_waitcnt lgkmcnt(0)
	v_mul_f64 v[4:5], v[4:5], v[20:21]
	s_cbranch_execz .LBB8_118
	s_branch .LBB8_119
.LBB8_117:
                                        ; implicit-def: $vgpr4_vgpr5
.LBB8_118:
	ds_read_b64 v[4:5], v90
.LBB8_119:
	v_mov_b32_e32 v20, 0
	ds_read_b64 v[20:21], v20 offset:8
	s_waitcnt lgkmcnt(0)
	v_mul_f64 v[4:5], v[4:5], v[20:21]
.LBB8_120:
	s_or_b64 exec, exec, s[16:17]
	v_cndmask_b32_e64 v34, 0, 1, s[18:19]
	v_cmp_gt_u32_e32 vcc, 2, v0
	v_cmp_ne_u32_e64 s[0:1], 1, v34
	s_waitcnt vmcnt(6)
	ds_write_b64 v90, v[6:7]
	s_waitcnt lgkmcnt(0)
	; wave barrier
	s_and_saveexec_b64 s[18:19], vcc
	s_cbranch_execz .LBB8_126
; %bb.121:
	s_and_b64 vcc, exec, s[0:1]
	s_cbranch_vccnz .LBB8_123
; %bb.122:
	v_cmp_eq_u32_e32 vcc, 1, v0
	v_cmp_eq_u32_e64 s[4:5], 2, v0
	v_cmp_eq_u32_e64 s[6:7], 3, v0
	v_cndmask_b32_e32 v20, v3, v5, vcc
	v_cndmask_b32_e64 v7, v20, v7, s[4:5]
	v_cndmask_b32_e32 v20, v2, v4, vcc
	v_cndmask_b32_e64 v6, v20, v6, s[4:5]
	s_waitcnt vmcnt(5)
	v_cndmask_b32_e64 v7, v7, v9, s[6:7]
	v_cmp_eq_u32_e64 s[8:9], 4, v0
	v_cndmask_b32_e64 v6, v6, v8, s[6:7]
	v_cmp_eq_u32_e64 s[10:11], 5, v0
	s_waitcnt vmcnt(4)
	v_cndmask_b32_e64 v7, v7, v11, s[8:9]
	v_cndmask_b32_e64 v6, v6, v10, s[8:9]
	ds_read_b64 v[20:21], v90
	s_waitcnt vmcnt(3)
	v_cndmask_b32_e64 v7, v7, v13, s[10:11]
	v_cmp_eq_u32_e64 s[12:13], 6, v0
	v_cndmask_b32_e64 v6, v6, v12, s[10:11]
	v_cmp_eq_u32_e64 s[14:15], 7, v0
	s_waitcnt vmcnt(2)
	v_cndmask_b32_e64 v7, v7, v15, s[12:13]
	v_cndmask_b32_e64 v6, v6, v14, s[12:13]
	s_waitcnt vmcnt(1)
	v_cndmask_b32_e64 v7, v7, v17, s[14:15]
	v_cmp_eq_u32_e64 s[16:17], 8, v0
	v_cndmask_b32_e64 v6, v6, v16, s[14:15]
	s_waitcnt vmcnt(0)
	v_cndmask_b32_e64 v7, v7, v19, s[16:17]
	v_cndmask_b32_e64 v6, v6, v18, s[16:17]
	s_waitcnt lgkmcnt(0)
	v_mul_f64 v[6:7], v[6:7], v[20:21]
	s_cbranch_execz .LBB8_124
	s_branch .LBB8_125
.LBB8_123:
                                        ; implicit-def: $vgpr6_vgpr7
.LBB8_124:
	ds_read_b64 v[6:7], v90
.LBB8_125:
	v_mov_b32_e32 v20, 0
	ds_read2_b64 v[20:23], v20 offset0:2 offset1:11
	s_waitcnt lgkmcnt(0)
	v_fma_f64 v[22:23], v[4:5], v[22:23], v[6:7]
	v_cndmask_b32_e64 v7, v7, v23, s[2:3]
	v_cndmask_b32_e64 v6, v6, v22, s[2:3]
	v_mul_f64 v[6:7], v[6:7], v[20:21]
.LBB8_126:
	s_or_b64 exec, exec, s[18:19]
	v_cmp_gt_u32_e32 vcc, 3, v0
	s_waitcnt vmcnt(5)
	ds_write_b64 v90, v[8:9]
	s_waitcnt lgkmcnt(0)
	; wave barrier
	s_and_saveexec_b64 s[18:19], vcc
	s_cbranch_execz .LBB8_134
; %bb.127:
	s_and_b64 vcc, exec, s[0:1]
	s_cbranch_vccnz .LBB8_129
; %bb.128:
	v_cmp_eq_u32_e32 vcc, 1, v0
	v_cmp_eq_u32_e64 s[4:5], 2, v0
	v_cmp_eq_u32_e64 s[6:7], 3, v0
	v_cndmask_b32_e32 v20, v3, v5, vcc
	v_cndmask_b32_e64 v20, v20, v7, s[4:5]
	v_cndmask_b32_e64 v20, v20, v9, s[6:7]
	v_cmp_eq_u32_e64 s[8:9], 4, v0
	v_cmp_eq_u32_e64 s[10:11], 5, v0
	;; [unrolled: 1-line block ×3, first 2 shown]
	s_waitcnt vmcnt(4)
	v_cndmask_b32_e64 v20, v20, v11, s[8:9]
	s_waitcnt vmcnt(3)
	v_cndmask_b32_e64 v20, v20, v13, s[10:11]
	;; [unrolled: 2-line block ×3, first 2 shown]
	v_cmp_eq_u32_e64 s[14:15], 7, v0
	v_cmp_eq_u32_e64 s[16:17], 8, v0
	ds_read_b64 v[22:23], v90
	s_waitcnt vmcnt(1)
	v_cndmask_b32_e64 v20, v20, v17, s[14:15]
	s_waitcnt vmcnt(0)
	v_cndmask_b32_e64 v21, v20, v19, s[16:17]
	v_cndmask_b32_e32 v20, v2, v4, vcc
	v_cndmask_b32_e64 v20, v20, v6, s[4:5]
	v_cndmask_b32_e64 v20, v20, v8, s[6:7]
	;; [unrolled: 1-line block ×7, first 2 shown]
	s_waitcnt lgkmcnt(0)
	v_mul_f64 v[20:21], v[20:21], v[22:23]
	s_cbranch_execz .LBB8_130
	s_branch .LBB8_131
.LBB8_129:
                                        ; implicit-def: $vgpr20_vgpr21
.LBB8_130:
	ds_read_b64 v[20:21], v90
.LBB8_131:
	v_cmp_ne_u32_e32 vcc, 2, v0
	s_and_saveexec_b64 s[20:21], vcc
	s_cbranch_execz .LBB8_133
; %bb.132:
	v_add_u32_e32 v22, 1, v0
	v_cmp_eq_u32_e32 vcc, 1, v22
	v_cmp_eq_u32_e64 s[4:5], 2, v22
	v_cmp_eq_u32_e64 s[6:7], 3, v22
	v_cndmask_b32_e32 v23, v3, v5, vcc
	v_cmp_eq_u32_e64 s[8:9], 4, v22
	v_cmp_eq_u32_e64 s[10:11], 5, v22
	;; [unrolled: 1-line block ×5, first 2 shown]
	v_cndmask_b32_e32 v22, v2, v4, vcc
	v_cndmask_b32_e64 v23, v23, v7, s[4:5]
	v_cndmask_b32_e64 v22, v22, v6, s[4:5]
	;; [unrolled: 1-line block ×4, first 2 shown]
	s_waitcnt vmcnt(4)
	v_cndmask_b32_e64 v9, v9, v11, s[8:9]
	v_cndmask_b32_e64 v8, v8, v10, s[8:9]
	v_mov_b32_e32 v24, 0
	s_waitcnt vmcnt(3)
	v_cndmask_b32_e64 v9, v9, v13, s[10:11]
	v_cndmask_b32_e64 v8, v8, v12, s[10:11]
	ds_read_b64 v[22:23], v90 offset:8
	ds_read_b64 v[24:25], v24 offset:96
	s_waitcnt vmcnt(2)
	v_cndmask_b32_e64 v9, v9, v15, s[12:13]
	v_cndmask_b32_e64 v8, v8, v14, s[12:13]
	s_waitcnt vmcnt(1)
	v_cndmask_b32_e64 v9, v9, v17, s[14:15]
	v_cndmask_b32_e64 v8, v8, v16, s[14:15]
	;; [unrolled: 3-line block ×3, first 2 shown]
	s_waitcnt lgkmcnt(1)
	v_fmac_f64_e32 v[20:21], v[8:9], v[22:23]
	s_waitcnt lgkmcnt(0)
	v_fma_f64 v[8:9], v[6:7], v[24:25], v[20:21]
	v_cndmask_b32_e64 v21, v21, v9, s[2:3]
	v_cndmask_b32_e64 v20, v20, v8, s[2:3]
.LBB8_133:
	s_or_b64 exec, exec, s[20:21]
	v_mov_b32_e32 v8, 0
	ds_read_b64 v[8:9], v8 offset:24
	s_waitcnt lgkmcnt(0)
	v_mul_f64 v[8:9], v[20:21], v[8:9]
.LBB8_134:
	s_or_b64 exec, exec, s[18:19]
	v_cmp_gt_u32_e32 vcc, 4, v0
	s_waitcnt vmcnt(4)
	ds_write_b64 v90, v[10:11]
	s_waitcnt lgkmcnt(0)
	; wave barrier
	s_and_saveexec_b64 s[16:17], vcc
	s_cbranch_execz .LBB8_144
; %bb.135:
	s_and_b64 vcc, exec, s[0:1]
	s_cbranch_vccnz .LBB8_137
; %bb.136:
	v_cmp_eq_u32_e32 vcc, 1, v0
	v_cmp_eq_u32_e64 s[2:3], 2, v0
	v_cmp_eq_u32_e64 s[4:5], 3, v0
	v_cndmask_b32_e32 v20, v3, v5, vcc
	v_cndmask_b32_e64 v20, v20, v7, s[2:3]
	v_cndmask_b32_e64 v20, v20, v9, s[4:5]
	v_cmp_eq_u32_e64 s[6:7], 4, v0
	v_cmp_eq_u32_e64 s[8:9], 5, v0
	;; [unrolled: 1-line block ×3, first 2 shown]
	v_cndmask_b32_e64 v20, v20, v11, s[6:7]
	s_waitcnt vmcnt(3)
	v_cndmask_b32_e64 v20, v20, v13, s[8:9]
	s_waitcnt vmcnt(2)
	v_cndmask_b32_e64 v20, v20, v15, s[10:11]
	v_cmp_eq_u32_e64 s[12:13], 7, v0
	v_cmp_eq_u32_e64 s[14:15], 8, v0
	ds_read_b64 v[22:23], v90
	s_waitcnt vmcnt(1)
	v_cndmask_b32_e64 v20, v20, v17, s[12:13]
	s_waitcnt vmcnt(0)
	v_cndmask_b32_e64 v21, v20, v19, s[14:15]
	v_cndmask_b32_e32 v20, v2, v4, vcc
	v_cndmask_b32_e64 v20, v20, v6, s[2:3]
	v_cndmask_b32_e64 v20, v20, v8, s[4:5]
	;; [unrolled: 1-line block ×7, first 2 shown]
	s_waitcnt lgkmcnt(0)
	v_mul_f64 v[20:21], v[20:21], v[22:23]
	s_cbranch_execz .LBB8_138
	s_branch .LBB8_139
.LBB8_137:
                                        ; implicit-def: $vgpr20_vgpr21
.LBB8_138:
	ds_read_b64 v[20:21], v90
.LBB8_139:
	v_cmp_ne_u32_e32 vcc, 3, v0
	s_and_saveexec_b64 s[6:7], vcc
	s_cbranch_execz .LBB8_143
; %bb.140:
	v_mov_b32_e32 v22, 0x58
	v_lshl_add_u32 v24, v0, 3, v22
	s_mov_b64 s[8:9], 0
	v_mov_b64_e32 v[22:23], v[0:1]
.LBB8_141:                              ; =>This Inner Loop Header: Depth=1
	v_lshl_add_u64 v[22:23], v[22:23], 0, 1
	v_cmp_eq_u32_e32 vcc, 1, v22
	v_cmp_eq_u32_e64 s[4:5], 2, v22
	v_cmp_lt_u32_e64 s[2:3], 2, v22
	v_cndmask_b32_e32 v25, v3, v5, vcc
	v_cndmask_b32_e64 v25, v25, v7, s[4:5]
	v_cndmask_b32_e32 v28, v2, v4, vcc
	v_cmp_eq_u32_e32 vcc, 3, v22
	s_or_b64 s[8:9], s[2:3], s[8:9]
	v_cndmask_b32_e64 v28, v28, v6, s[4:5]
	v_cndmask_b32_e32 v25, v25, v9, vcc
	v_cmp_eq_u32_e64 s[2:3], 4, v22
	v_cndmask_b32_e32 v28, v28, v8, vcc
	v_cmp_eq_u32_e32 vcc, 5, v22
	v_cndmask_b32_e64 v25, v25, v11, s[2:3]
	ds_read_b64 v[26:27], v24
	s_waitcnt vmcnt(3)
	v_cndmask_b32_e32 v25, v25, v13, vcc
	v_cndmask_b32_e64 v28, v28, v10, s[2:3]
	v_cmp_eq_u32_e64 s[2:3], 6, v22
	v_cndmask_b32_e32 v28, v28, v12, vcc
	v_cmp_eq_u32_e32 vcc, 7, v22
	s_waitcnt vmcnt(2)
	v_cndmask_b32_e64 v25, v25, v15, s[2:3]
	v_cndmask_b32_e64 v28, v28, v14, s[2:3]
	s_waitcnt vmcnt(1)
	v_cndmask_b32_e32 v25, v25, v17, vcc
	v_cmp_eq_u32_e64 s[2:3], 8, v22
	v_add_u32_e32 v24, 8, v24
	s_waitcnt vmcnt(0)
	v_cndmask_b32_e64 v29, v25, v19, s[2:3]
	v_cndmask_b32_e32 v25, v28, v16, vcc
	v_cndmask_b32_e64 v28, v25, v18, s[2:3]
	s_waitcnt lgkmcnt(0)
	v_fmac_f64_e32 v[20:21], v[28:29], v[26:27]
	s_andn2_b64 exec, exec, s[8:9]
	s_cbranch_execnz .LBB8_141
; %bb.142:
	s_or_b64 exec, exec, s[8:9]
.LBB8_143:
	s_or_b64 exec, exec, s[6:7]
	v_mov_b32_e32 v10, 0
	ds_read_b64 v[10:11], v10 offset:32
	s_waitcnt lgkmcnt(0)
	v_mul_f64 v[10:11], v[20:21], v[10:11]
.LBB8_144:
	s_or_b64 exec, exec, s[16:17]
	v_cmp_gt_u32_e32 vcc, 5, v0
	s_waitcnt vmcnt(3)
	ds_write_b64 v90, v[12:13]
	s_waitcnt lgkmcnt(0)
	; wave barrier
	s_and_saveexec_b64 s[16:17], vcc
	s_cbranch_execz .LBB8_154
; %bb.145:
	s_and_b64 vcc, exec, s[0:1]
	s_cbranch_vccnz .LBB8_147
; %bb.146:
	v_cmp_eq_u32_e32 vcc, 1, v0
	v_cmp_eq_u32_e64 s[2:3], 2, v0
	v_cmp_eq_u32_e64 s[4:5], 3, v0
	v_cndmask_b32_e32 v20, v3, v5, vcc
	v_cndmask_b32_e64 v20, v20, v7, s[2:3]
	v_cndmask_b32_e64 v20, v20, v9, s[4:5]
	v_cmp_eq_u32_e64 s[6:7], 4, v0
	v_cmp_eq_u32_e64 s[8:9], 5, v0
	;; [unrolled: 1-line block ×3, first 2 shown]
	v_cndmask_b32_e64 v20, v20, v11, s[6:7]
	v_cndmask_b32_e64 v20, v20, v13, s[8:9]
	s_waitcnt vmcnt(2)
	v_cndmask_b32_e64 v20, v20, v15, s[10:11]
	v_cmp_eq_u32_e64 s[12:13], 7, v0
	v_cmp_eq_u32_e64 s[14:15], 8, v0
	ds_read_b64 v[22:23], v90
	s_waitcnt vmcnt(1)
	v_cndmask_b32_e64 v20, v20, v17, s[12:13]
	s_waitcnt vmcnt(0)
	v_cndmask_b32_e64 v21, v20, v19, s[14:15]
	v_cndmask_b32_e32 v20, v2, v4, vcc
	v_cndmask_b32_e64 v20, v20, v6, s[2:3]
	v_cndmask_b32_e64 v20, v20, v8, s[4:5]
	;; [unrolled: 1-line block ×7, first 2 shown]
	s_waitcnt lgkmcnt(0)
	v_mul_f64 v[20:21], v[20:21], v[22:23]
	s_cbranch_execz .LBB8_148
	s_branch .LBB8_149
.LBB8_147:
                                        ; implicit-def: $vgpr20_vgpr21
.LBB8_148:
	ds_read_b64 v[20:21], v90
.LBB8_149:
	v_cmp_ne_u32_e32 vcc, 4, v0
	s_and_saveexec_b64 s[6:7], vcc
	s_cbranch_execz .LBB8_153
; %bb.150:
	v_mov_b32_e32 v22, 0x58
	v_lshl_add_u32 v24, v0, 3, v22
	s_mov_b64 s[8:9], 0
	v_mov_b64_e32 v[22:23], v[0:1]
.LBB8_151:                              ; =>This Inner Loop Header: Depth=1
	v_lshl_add_u64 v[22:23], v[22:23], 0, 1
	v_cmp_eq_u32_e32 vcc, 1, v22
	v_cmp_eq_u32_e64 s[4:5], 2, v22
	v_cmp_lt_u32_e64 s[2:3], 3, v22
	v_cndmask_b32_e32 v25, v3, v5, vcc
	v_cndmask_b32_e64 v25, v25, v7, s[4:5]
	v_cndmask_b32_e32 v28, v2, v4, vcc
	v_cmp_eq_u32_e32 vcc, 3, v22
	s_or_b64 s[8:9], s[2:3], s[8:9]
	v_cndmask_b32_e64 v28, v28, v6, s[4:5]
	v_cndmask_b32_e32 v25, v25, v9, vcc
	v_cmp_eq_u32_e64 s[2:3], 4, v22
	v_cndmask_b32_e32 v28, v28, v8, vcc
	v_cmp_eq_u32_e32 vcc, 5, v22
	v_cndmask_b32_e64 v25, v25, v11, s[2:3]
	ds_read_b64 v[26:27], v24
	v_cndmask_b32_e32 v25, v25, v13, vcc
	v_cndmask_b32_e64 v28, v28, v10, s[2:3]
	v_cmp_eq_u32_e64 s[2:3], 6, v22
	v_cndmask_b32_e32 v28, v28, v12, vcc
	v_cmp_eq_u32_e32 vcc, 7, v22
	s_waitcnt vmcnt(2)
	v_cndmask_b32_e64 v25, v25, v15, s[2:3]
	v_cndmask_b32_e64 v28, v28, v14, s[2:3]
	s_waitcnt vmcnt(1)
	v_cndmask_b32_e32 v25, v25, v17, vcc
	v_cmp_eq_u32_e64 s[2:3], 8, v22
	v_add_u32_e32 v24, 8, v24
	s_waitcnt vmcnt(0)
	v_cndmask_b32_e64 v29, v25, v19, s[2:3]
	v_cndmask_b32_e32 v25, v28, v16, vcc
	v_cndmask_b32_e64 v28, v25, v18, s[2:3]
	s_waitcnt lgkmcnt(0)
	v_fmac_f64_e32 v[20:21], v[28:29], v[26:27]
	s_andn2_b64 exec, exec, s[8:9]
	s_cbranch_execnz .LBB8_151
; %bb.152:
	s_or_b64 exec, exec, s[8:9]
.LBB8_153:
	s_or_b64 exec, exec, s[6:7]
	v_mov_b32_e32 v12, 0
	ds_read_b64 v[12:13], v12 offset:40
	s_waitcnt lgkmcnt(0)
	v_mul_f64 v[12:13], v[20:21], v[12:13]
.LBB8_154:
	s_or_b64 exec, exec, s[16:17]
	v_cmp_gt_u32_e32 vcc, 6, v0
	s_waitcnt vmcnt(2)
	ds_write_b64 v90, v[14:15]
	s_waitcnt lgkmcnt(0)
	; wave barrier
	s_and_saveexec_b64 s[16:17], vcc
	s_cbranch_execz .LBB8_164
; %bb.155:
	s_and_b64 vcc, exec, s[0:1]
	s_cbranch_vccnz .LBB8_157
; %bb.156:
	v_cmp_eq_u32_e32 vcc, 1, v0
	v_cmp_eq_u32_e64 s[2:3], 2, v0
	v_cmp_eq_u32_e64 s[4:5], 3, v0
	v_cndmask_b32_e32 v20, v3, v5, vcc
	v_cndmask_b32_e64 v20, v20, v7, s[2:3]
	v_cndmask_b32_e64 v20, v20, v9, s[4:5]
	v_cmp_eq_u32_e64 s[6:7], 4, v0
	v_cmp_eq_u32_e64 s[8:9], 5, v0
	;; [unrolled: 1-line block ×3, first 2 shown]
	v_cndmask_b32_e64 v20, v20, v11, s[6:7]
	v_cndmask_b32_e64 v20, v20, v13, s[8:9]
	;; [unrolled: 1-line block ×3, first 2 shown]
	v_cmp_eq_u32_e64 s[12:13], 7, v0
	v_cmp_eq_u32_e64 s[14:15], 8, v0
	ds_read_b64 v[22:23], v90
	s_waitcnt vmcnt(1)
	v_cndmask_b32_e64 v20, v20, v17, s[12:13]
	s_waitcnt vmcnt(0)
	v_cndmask_b32_e64 v21, v20, v19, s[14:15]
	v_cndmask_b32_e32 v20, v2, v4, vcc
	v_cndmask_b32_e64 v20, v20, v6, s[2:3]
	v_cndmask_b32_e64 v20, v20, v8, s[4:5]
	;; [unrolled: 1-line block ×7, first 2 shown]
	s_waitcnt lgkmcnt(0)
	v_mul_f64 v[20:21], v[20:21], v[22:23]
	s_cbranch_execz .LBB8_158
	s_branch .LBB8_159
.LBB8_157:
                                        ; implicit-def: $vgpr20_vgpr21
.LBB8_158:
	ds_read_b64 v[20:21], v90
.LBB8_159:
	v_cmp_ne_u32_e32 vcc, 5, v0
	s_and_saveexec_b64 s[6:7], vcc
	s_cbranch_execz .LBB8_163
; %bb.160:
	v_mov_b32_e32 v22, 0x58
	v_lshl_add_u32 v24, v0, 3, v22
	s_mov_b64 s[8:9], 0
	v_mov_b64_e32 v[22:23], v[0:1]
.LBB8_161:                              ; =>This Inner Loop Header: Depth=1
	v_lshl_add_u64 v[22:23], v[22:23], 0, 1
	v_cmp_eq_u32_e32 vcc, 1, v22
	v_cmp_eq_u32_e64 s[4:5], 2, v22
	v_cmp_lt_u32_e64 s[2:3], 4, v22
	v_cndmask_b32_e32 v25, v3, v5, vcc
	v_cndmask_b32_e64 v25, v25, v7, s[4:5]
	v_cndmask_b32_e32 v28, v2, v4, vcc
	v_cmp_eq_u32_e32 vcc, 3, v22
	s_or_b64 s[8:9], s[2:3], s[8:9]
	v_cndmask_b32_e64 v28, v28, v6, s[4:5]
	v_cndmask_b32_e32 v25, v25, v9, vcc
	v_cmp_eq_u32_e64 s[2:3], 4, v22
	v_cndmask_b32_e32 v28, v28, v8, vcc
	v_cmp_eq_u32_e32 vcc, 5, v22
	v_cndmask_b32_e64 v25, v25, v11, s[2:3]
	ds_read_b64 v[26:27], v24
	v_cndmask_b32_e32 v25, v25, v13, vcc
	v_cndmask_b32_e64 v28, v28, v10, s[2:3]
	v_cmp_eq_u32_e64 s[2:3], 6, v22
	v_cndmask_b32_e32 v28, v28, v12, vcc
	v_cmp_eq_u32_e32 vcc, 7, v22
	v_cndmask_b32_e64 v25, v25, v15, s[2:3]
	v_cndmask_b32_e64 v28, v28, v14, s[2:3]
	s_waitcnt vmcnt(1)
	v_cndmask_b32_e32 v25, v25, v17, vcc
	v_cmp_eq_u32_e64 s[2:3], 8, v22
	v_add_u32_e32 v24, 8, v24
	s_waitcnt vmcnt(0)
	v_cndmask_b32_e64 v29, v25, v19, s[2:3]
	v_cndmask_b32_e32 v25, v28, v16, vcc
	v_cndmask_b32_e64 v28, v25, v18, s[2:3]
	s_waitcnt lgkmcnt(0)
	v_fmac_f64_e32 v[20:21], v[28:29], v[26:27]
	s_andn2_b64 exec, exec, s[8:9]
	s_cbranch_execnz .LBB8_161
; %bb.162:
	s_or_b64 exec, exec, s[8:9]
.LBB8_163:
	s_or_b64 exec, exec, s[6:7]
	v_mov_b32_e32 v14, 0
	ds_read_b64 v[14:15], v14 offset:48
	s_waitcnt lgkmcnt(0)
	v_mul_f64 v[14:15], v[20:21], v[14:15]
.LBB8_164:
	s_or_b64 exec, exec, s[16:17]
	v_cmp_gt_u32_e64 s[2:3], 7, v0
	s_waitcnt vmcnt(1)
	ds_write_b64 v90, v[16:17]
	s_waitcnt lgkmcnt(0)
	; wave barrier
	s_and_saveexec_b64 s[18:19], s[2:3]
	s_cbranch_execz .LBB8_174
; %bb.165:
	s_and_b64 vcc, exec, s[0:1]
	s_cbranch_vccnz .LBB8_167
; %bb.166:
	v_cmp_eq_u32_e32 vcc, 1, v0
	v_cmp_eq_u32_e64 s[4:5], 2, v0
	v_cmp_eq_u32_e64 s[6:7], 3, v0
	v_cndmask_b32_e32 v20, v3, v5, vcc
	v_cndmask_b32_e64 v20, v20, v7, s[4:5]
	v_cndmask_b32_e64 v20, v20, v9, s[6:7]
	v_cmp_eq_u32_e64 s[8:9], 4, v0
	v_cmp_eq_u32_e64 s[10:11], 5, v0
	;; [unrolled: 1-line block ×3, first 2 shown]
	v_cndmask_b32_e64 v20, v20, v11, s[8:9]
	v_cndmask_b32_e64 v20, v20, v13, s[10:11]
	;; [unrolled: 1-line block ×3, first 2 shown]
	v_cmp_eq_u32_e64 s[14:15], 7, v0
	v_cmp_eq_u32_e64 s[16:17], 8, v0
	ds_read_b64 v[22:23], v90
	v_cndmask_b32_e64 v20, v20, v17, s[14:15]
	s_waitcnt vmcnt(0)
	v_cndmask_b32_e64 v21, v20, v19, s[16:17]
	v_cndmask_b32_e32 v20, v2, v4, vcc
	v_cndmask_b32_e64 v20, v20, v6, s[4:5]
	v_cndmask_b32_e64 v20, v20, v8, s[6:7]
	;; [unrolled: 1-line block ×7, first 2 shown]
	s_waitcnt lgkmcnt(0)
	v_mul_f64 v[20:21], v[20:21], v[22:23]
	s_cbranch_execz .LBB8_168
	s_branch .LBB8_169
.LBB8_167:
                                        ; implicit-def: $vgpr20_vgpr21
.LBB8_168:
	ds_read_b64 v[20:21], v90
.LBB8_169:
	v_cmp_ne_u32_e32 vcc, 6, v0
	s_and_saveexec_b64 s[8:9], vcc
	s_cbranch_execz .LBB8_173
; %bb.170:
	v_mov_b32_e32 v22, 0x58
	v_lshl_add_u32 v24, v0, 3, v22
	s_mov_b64 s[10:11], 0
	v_mov_b64_e32 v[22:23], v[0:1]
.LBB8_171:                              ; =>This Inner Loop Header: Depth=1
	v_lshl_add_u64 v[22:23], v[22:23], 0, 1
	v_cmp_eq_u32_e32 vcc, 1, v22
	v_cmp_eq_u32_e64 s[6:7], 2, v22
	v_cmp_lt_u32_e64 s[4:5], 5, v22
	v_cndmask_b32_e32 v25, v3, v5, vcc
	v_cndmask_b32_e64 v25, v25, v7, s[6:7]
	v_cndmask_b32_e32 v28, v2, v4, vcc
	v_cmp_eq_u32_e32 vcc, 3, v22
	s_or_b64 s[10:11], s[4:5], s[10:11]
	v_cndmask_b32_e64 v28, v28, v6, s[6:7]
	v_cndmask_b32_e32 v25, v25, v9, vcc
	v_cmp_eq_u32_e64 s[4:5], 4, v22
	v_cndmask_b32_e32 v28, v28, v8, vcc
	v_cmp_eq_u32_e32 vcc, 5, v22
	v_cndmask_b32_e64 v25, v25, v11, s[4:5]
	ds_read_b64 v[26:27], v24
	v_cndmask_b32_e32 v25, v25, v13, vcc
	v_cndmask_b32_e64 v28, v28, v10, s[4:5]
	v_cmp_eq_u32_e64 s[4:5], 6, v22
	v_cndmask_b32_e32 v28, v28, v12, vcc
	v_cmp_eq_u32_e32 vcc, 7, v22
	v_cndmask_b32_e64 v25, v25, v15, s[4:5]
	v_cndmask_b32_e64 v28, v28, v14, s[4:5]
	v_cndmask_b32_e32 v25, v25, v17, vcc
	v_cmp_eq_u32_e64 s[4:5], 8, v22
	v_add_u32_e32 v24, 8, v24
	s_waitcnt vmcnt(0)
	v_cndmask_b32_e64 v29, v25, v19, s[4:5]
	v_cndmask_b32_e32 v25, v28, v16, vcc
	v_cndmask_b32_e64 v28, v25, v18, s[4:5]
	s_waitcnt lgkmcnt(0)
	v_fmac_f64_e32 v[20:21], v[28:29], v[26:27]
	s_andn2_b64 exec, exec, s[10:11]
	s_cbranch_execnz .LBB8_171
; %bb.172:
	s_or_b64 exec, exec, s[10:11]
.LBB8_173:
	s_or_b64 exec, exec, s[8:9]
	v_mov_b32_e32 v16, 0
	ds_read_b64 v[16:17], v16 offset:56
	s_waitcnt lgkmcnt(0)
	v_mul_f64 v[16:17], v[20:21], v[16:17]
.LBB8_174:
	s_or_b64 exec, exec, s[18:19]
	v_cmp_ne_u32_e32 vcc, 8, v0
	s_waitcnt vmcnt(0)
	ds_write_b64 v90, v[18:19]
	s_waitcnt lgkmcnt(0)
	; wave barrier
	s_and_saveexec_b64 s[16:17], vcc
	s_cbranch_execz .LBB8_184
; %bb.175:
	s_and_b64 vcc, exec, s[0:1]
	s_cbranch_vccnz .LBB8_177
; %bb.176:
	v_cmp_eq_u32_e32 vcc, 1, v0
	v_cmp_eq_u32_e64 s[0:1], 2, v0
	v_cmp_eq_u32_e64 s[4:5], 3, v0
	v_cndmask_b32_e32 v20, v3, v5, vcc
	v_cndmask_b32_e64 v20, v20, v7, s[0:1]
	v_cndmask_b32_e64 v20, v20, v9, s[4:5]
	v_cmp_eq_u32_e64 s[6:7], 4, v0
	v_cmp_eq_u32_e64 s[8:9], 5, v0
	;; [unrolled: 1-line block ×3, first 2 shown]
	v_cndmask_b32_e64 v20, v20, v11, s[6:7]
	v_cndmask_b32_e64 v20, v20, v13, s[8:9]
	;; [unrolled: 1-line block ×3, first 2 shown]
	v_cmp_eq_u32_e64 s[12:13], 7, v0
	v_cmp_eq_u32_e64 s[14:15], 8, v0
	ds_read_b64 v[22:23], v90
	v_cndmask_b32_e64 v20, v20, v17, s[12:13]
	v_cndmask_b32_e64 v21, v20, v19, s[14:15]
	v_cndmask_b32_e32 v20, v2, v4, vcc
	v_cndmask_b32_e64 v20, v20, v6, s[0:1]
	v_cndmask_b32_e64 v20, v20, v8, s[4:5]
	;; [unrolled: 1-line block ×7, first 2 shown]
	s_waitcnt lgkmcnt(0)
	v_mul_f64 v[20:21], v[20:21], v[22:23]
	s_cbranch_execz .LBB8_178
	s_branch .LBB8_179
.LBB8_177:
                                        ; implicit-def: $vgpr20_vgpr21
.LBB8_178:
	ds_read_b64 v[20:21], v90
.LBB8_179:
	s_and_saveexec_b64 s[4:5], s[2:3]
	s_cbranch_execz .LBB8_183
; %bb.180:
	v_mov_b32_e32 v22, 0x58
	v_lshl_add_u32 v22, v0, 3, v22
	s_mov_b64 s[6:7], 0
.LBB8_181:                              ; =>This Inner Loop Header: Depth=1
	v_lshl_add_u64 v[0:1], v[0:1], 0, 1
	v_cmp_eq_u32_e32 vcc, 1, v0
	v_cmp_eq_u32_e64 s[2:3], 2, v0
	v_cmp_lt_u32_e64 s[0:1], 6, v0
	v_cndmask_b32_e32 v23, v3, v5, vcc
	v_cndmask_b32_e64 v23, v23, v7, s[2:3]
	v_cndmask_b32_e32 v26, v2, v4, vcc
	v_cmp_eq_u32_e32 vcc, 3, v0
	s_or_b64 s[6:7], s[0:1], s[6:7]
	v_cndmask_b32_e64 v26, v26, v6, s[2:3]
	v_cndmask_b32_e32 v23, v23, v9, vcc
	v_cmp_eq_u32_e64 s[0:1], 4, v0
	v_cndmask_b32_e32 v26, v26, v8, vcc
	v_cmp_eq_u32_e32 vcc, 5, v0
	v_cndmask_b32_e64 v23, v23, v11, s[0:1]
	ds_read_b64 v[24:25], v22
	v_cndmask_b32_e32 v23, v23, v13, vcc
	v_cndmask_b32_e64 v26, v26, v10, s[0:1]
	v_cmp_eq_u32_e64 s[0:1], 6, v0
	v_cndmask_b32_e32 v26, v26, v12, vcc
	v_cmp_eq_u32_e32 vcc, 7, v0
	v_cndmask_b32_e64 v23, v23, v15, s[0:1]
	v_cndmask_b32_e64 v26, v26, v14, s[0:1]
	v_cndmask_b32_e32 v23, v23, v17, vcc
	v_cmp_eq_u32_e64 s[0:1], 8, v0
	v_add_u32_e32 v22, 8, v22
	s_nop 0
	v_cndmask_b32_e64 v27, v23, v19, s[0:1]
	v_cndmask_b32_e32 v23, v26, v16, vcc
	v_cndmask_b32_e64 v26, v23, v18, s[0:1]
	s_waitcnt lgkmcnt(0)
	v_fmac_f64_e32 v[20:21], v[26:27], v[24:25]
	s_andn2_b64 exec, exec, s[6:7]
	s_cbranch_execnz .LBB8_181
; %bb.182:
	s_or_b64 exec, exec, s[6:7]
.LBB8_183:
	s_or_b64 exec, exec, s[4:5]
	v_mov_b32_e32 v0, 0
	ds_read_b64 v[0:1], v0 offset:64
	s_waitcnt lgkmcnt(0)
	v_mul_f64 v[18:19], v[20:21], v[0:1]
.LBB8_184:
	s_or_b64 exec, exec, s[16:17]
	v_mov_b64_e32 v[64:65], v[32:33]
	v_mov_b64_e32 v[62:63], v[30:31]
	v_mov_b64_e32 v[60:61], v[28:29]
	v_mov_b64_e32 v[58:59], v[26:27]
	v_mov_b64_e32 v[56:57], v[24:25]
	v_mov_b64_e32 v[54:55], v[22:23]
	v_mov_b64_e32 v[52:53], v[20:21]
	v_mov_b64_e32 v[50:51], v[18:19]
	v_mov_b64_e32 v[48:49], v[16:17]
	v_mov_b64_e32 v[46:47], v[14:15]
	v_mov_b64_e32 v[44:45], v[12:13]
	v_mov_b64_e32 v[42:43], v[10:11]
	v_mov_b64_e32 v[40:41], v[8:9]
	v_mov_b64_e32 v[38:39], v[6:7]
	v_mov_b64_e32 v[36:37], v[4:5]
	v_mov_b64_e32 v[34:35], v[2:3]
.LBB8_185:
	global_store_dwordx2 v[66:67], v[34:35], off
	global_store_dwordx2 v[68:69], v[36:37], off
	;; [unrolled: 1-line block ×9, first 2 shown]
.LBB8_186:
	s_endpgm
	.section	.rodata,"a",@progbits
	.p2align	6, 0x0
	.amdhsa_kernel _ZN9rocsolver6v33100L18trti2_kernel_smallILi9EdPdEEv13rocblas_fill_17rocblas_diagonal_T1_iil
		.amdhsa_group_segment_fixed_size 152
		.amdhsa_private_segment_fixed_size 0
		.amdhsa_kernarg_size 32
		.amdhsa_user_sgpr_count 2
		.amdhsa_user_sgpr_dispatch_ptr 0
		.amdhsa_user_sgpr_queue_ptr 0
		.amdhsa_user_sgpr_kernarg_segment_ptr 1
		.amdhsa_user_sgpr_dispatch_id 0
		.amdhsa_user_sgpr_kernarg_preload_length 0
		.amdhsa_user_sgpr_kernarg_preload_offset 0
		.amdhsa_user_sgpr_private_segment_size 0
		.amdhsa_uses_dynamic_stack 0
		.amdhsa_enable_private_segment 0
		.amdhsa_system_sgpr_workgroup_id_x 1
		.amdhsa_system_sgpr_workgroup_id_y 0
		.amdhsa_system_sgpr_workgroup_id_z 0
		.amdhsa_system_sgpr_workgroup_info 0
		.amdhsa_system_vgpr_workitem_id 0
		.amdhsa_next_free_vgpr 114
		.amdhsa_next_free_sgpr 30
		.amdhsa_accum_offset 116
		.amdhsa_reserve_vcc 1
		.amdhsa_float_round_mode_32 0
		.amdhsa_float_round_mode_16_64 0
		.amdhsa_float_denorm_mode_32 3
		.amdhsa_float_denorm_mode_16_64 3
		.amdhsa_dx10_clamp 1
		.amdhsa_ieee_mode 1
		.amdhsa_fp16_overflow 0
		.amdhsa_tg_split 0
		.amdhsa_exception_fp_ieee_invalid_op 0
		.amdhsa_exception_fp_denorm_src 0
		.amdhsa_exception_fp_ieee_div_zero 0
		.amdhsa_exception_fp_ieee_overflow 0
		.amdhsa_exception_fp_ieee_underflow 0
		.amdhsa_exception_fp_ieee_inexact 0
		.amdhsa_exception_int_div_zero 0
	.end_amdhsa_kernel
	.section	.text._ZN9rocsolver6v33100L18trti2_kernel_smallILi9EdPdEEv13rocblas_fill_17rocblas_diagonal_T1_iil,"axG",@progbits,_ZN9rocsolver6v33100L18trti2_kernel_smallILi9EdPdEEv13rocblas_fill_17rocblas_diagonal_T1_iil,comdat
.Lfunc_end8:
	.size	_ZN9rocsolver6v33100L18trti2_kernel_smallILi9EdPdEEv13rocblas_fill_17rocblas_diagonal_T1_iil, .Lfunc_end8-_ZN9rocsolver6v33100L18trti2_kernel_smallILi9EdPdEEv13rocblas_fill_17rocblas_diagonal_T1_iil
                                        ; -- End function
	.set _ZN9rocsolver6v33100L18trti2_kernel_smallILi9EdPdEEv13rocblas_fill_17rocblas_diagonal_T1_iil.num_vgpr, 114
	.set _ZN9rocsolver6v33100L18trti2_kernel_smallILi9EdPdEEv13rocblas_fill_17rocblas_diagonal_T1_iil.num_agpr, 0
	.set _ZN9rocsolver6v33100L18trti2_kernel_smallILi9EdPdEEv13rocblas_fill_17rocblas_diagonal_T1_iil.numbered_sgpr, 30
	.set _ZN9rocsolver6v33100L18trti2_kernel_smallILi9EdPdEEv13rocblas_fill_17rocblas_diagonal_T1_iil.num_named_barrier, 0
	.set _ZN9rocsolver6v33100L18trti2_kernel_smallILi9EdPdEEv13rocblas_fill_17rocblas_diagonal_T1_iil.private_seg_size, 0
	.set _ZN9rocsolver6v33100L18trti2_kernel_smallILi9EdPdEEv13rocblas_fill_17rocblas_diagonal_T1_iil.uses_vcc, 1
	.set _ZN9rocsolver6v33100L18trti2_kernel_smallILi9EdPdEEv13rocblas_fill_17rocblas_diagonal_T1_iil.uses_flat_scratch, 0
	.set _ZN9rocsolver6v33100L18trti2_kernel_smallILi9EdPdEEv13rocblas_fill_17rocblas_diagonal_T1_iil.has_dyn_sized_stack, 0
	.set _ZN9rocsolver6v33100L18trti2_kernel_smallILi9EdPdEEv13rocblas_fill_17rocblas_diagonal_T1_iil.has_recursion, 0
	.set _ZN9rocsolver6v33100L18trti2_kernel_smallILi9EdPdEEv13rocblas_fill_17rocblas_diagonal_T1_iil.has_indirect_call, 0
	.section	.AMDGPU.csdata,"",@progbits
; Kernel info:
; codeLenInByte = 11388
; TotalNumSgprs: 36
; NumVgprs: 114
; NumAgprs: 0
; TotalNumVgprs: 114
; ScratchSize: 0
; MemoryBound: 0
; FloatMode: 240
; IeeeMode: 1
; LDSByteSize: 152 bytes/workgroup (compile time only)
; SGPRBlocks: 4
; VGPRBlocks: 14
; NumSGPRsForWavesPerEU: 36
; NumVGPRsForWavesPerEU: 114
; AccumOffset: 116
; Occupancy: 4
; WaveLimiterHint : 0
; COMPUTE_PGM_RSRC2:SCRATCH_EN: 0
; COMPUTE_PGM_RSRC2:USER_SGPR: 2
; COMPUTE_PGM_RSRC2:TRAP_HANDLER: 0
; COMPUTE_PGM_RSRC2:TGID_X_EN: 1
; COMPUTE_PGM_RSRC2:TGID_Y_EN: 0
; COMPUTE_PGM_RSRC2:TGID_Z_EN: 0
; COMPUTE_PGM_RSRC2:TIDIG_COMP_CNT: 0
; COMPUTE_PGM_RSRC3_GFX90A:ACCUM_OFFSET: 28
; COMPUTE_PGM_RSRC3_GFX90A:TG_SPLIT: 0
	.section	.text._ZN9rocsolver6v33100L18trti2_kernel_smallILi10EdPdEEv13rocblas_fill_17rocblas_diagonal_T1_iil,"axG",@progbits,_ZN9rocsolver6v33100L18trti2_kernel_smallILi10EdPdEEv13rocblas_fill_17rocblas_diagonal_T1_iil,comdat
	.globl	_ZN9rocsolver6v33100L18trti2_kernel_smallILi10EdPdEEv13rocblas_fill_17rocblas_diagonal_T1_iil ; -- Begin function _ZN9rocsolver6v33100L18trti2_kernel_smallILi10EdPdEEv13rocblas_fill_17rocblas_diagonal_T1_iil
	.p2align	8
	.type	_ZN9rocsolver6v33100L18trti2_kernel_smallILi10EdPdEEv13rocblas_fill_17rocblas_diagonal_T1_iil,@function
_ZN9rocsolver6v33100L18trti2_kernel_smallILi10EdPdEEv13rocblas_fill_17rocblas_diagonal_T1_iil: ; @_ZN9rocsolver6v33100L18trti2_kernel_smallILi10EdPdEEv13rocblas_fill_17rocblas_diagonal_T1_iil
; %bb.0:
	v_cmp_gt_u32_e32 vcc, 10, v0
	s_and_saveexec_b64 s[4:5], vcc
	s_cbranch_execz .LBB9_224
; %bb.1:
	s_load_dwordx8 s[20:27], s[0:1], 0x0
	s_ashr_i32 s3, s2, 31
	v_mov_b32_e32 v1, 0
	v_lshlrev_b32_e32 v22, 3, v0
	v_mov_b32_e32 v23, v1
	s_waitcnt lgkmcnt(0)
	s_mul_hi_u32 s4, s26, s2
	s_mul_i32 s3, s26, s3
	s_add_i32 s3, s4, s3
	s_mul_i32 s4, s27, s2
	s_add_i32 s3, s3, s4
	s_mul_i32 s2, s26, s2
	s_ashr_i32 s1, s24, 31
	s_lshl_b64 s[2:3], s[2:3], 3
	s_mov_b32 s0, s24
	s_add_u32 s2, s22, s2
	s_addc_u32 s3, s23, s3
	s_lshl_b64 s[0:1], s[0:1], 3
	s_add_u32 s0, s2, s0
	s_addc_u32 s1, s3, s1
	v_lshl_add_u64 v[54:55], s[0:1], 0, v[22:23]
	s_ashr_i32 s3, s25, 31
	s_mov_b32 s2, s25
	v_lshl_add_u64 v[56:57], s[2:3], 3, v[54:55]
	s_add_i32 s2, s25, s25
	v_add_u32_e32 v2, s2, v0
	v_ashrrev_i32_e32 v3, 31, v2
	v_lshl_add_u64 v[58:59], v[2:3], 3, s[0:1]
	v_add_u32_e32 v2, s25, v2
	v_ashrrev_i32_e32 v3, 31, v2
	v_lshl_add_u64 v[60:61], v[2:3], 3, s[0:1]
	;; [unrolled: 3-line block ×6, first 2 shown]
	v_add_u32_e32 v2, s25, v2
	v_ashrrev_i32_e32 v3, 31, v2
	global_load_dwordx2 v[4:5], v[56:57], off
	global_load_dwordx2 v[6:7], v[58:59], off
	;; [unrolled: 1-line block ×4, first 2 shown]
	v_lshl_add_u64 v[70:71], v[2:3], 3, s[0:1]
	global_load_dwordx2 v[12:13], v[64:65], off
	global_load_dwordx2 v[14:15], v[66:67], off
	global_load_dwordx2 v[16:17], v[68:69], off
	global_load_dwordx2 v[18:19], v[70:71], off
	v_add_u32_e32 v2, s25, v2
	v_ashrrev_i32_e32 v3, 31, v2
	v_lshl_add_u64 v[72:73], v[2:3], 3, s[0:1]
	global_load_dwordx2 v[2:3], v22, s[0:1]
	global_load_dwordx2 v[20:21], v[72:73], off
	s_cmpk_lg_i32 s21, 0x84
	s_cselect_b64 s[22:23], -1, 0
	s_cmpk_eq_i32 s21, 0x84
	v_mov_b64_e32 v[24:25], -1.0
	s_cbranch_scc1 .LBB9_3
; %bb.2:
	v_cmp_eq_u32_e64 s[0:1], 1, v0
	v_cmp_eq_u32_e64 s[2:3], 2, v0
	;; [unrolled: 1-line block ×3, first 2 shown]
	s_waitcnt vmcnt(1)
	v_cndmask_b32_e64 v23, v3, v5, s[0:1]
	v_cndmask_b32_e64 v23, v23, v7, s[2:3]
	;; [unrolled: 1-line block ×3, first 2 shown]
	v_cmp_eq_u32_e64 s[6:7], 4, v0
	v_cmp_eq_u32_e64 s[8:9], 5, v0
	;; [unrolled: 1-line block ×3, first 2 shown]
	v_cndmask_b32_e64 v23, v23, v11, s[6:7]
	v_cndmask_b32_e64 v23, v23, v13, s[8:9]
	;; [unrolled: 1-line block ×3, first 2 shown]
	v_cmp_eq_u32_e64 s[12:13], 7, v0
	v_cmp_eq_u32_e64 s[14:15], 8, v0
	;; [unrolled: 1-line block ×3, first 2 shown]
	v_cndmask_b32_e64 v23, v23, v17, s[12:13]
	v_cndmask_b32_e64 v23, v23, v19, s[14:15]
	s_waitcnt vmcnt(0)
	v_cndmask_b32_e64 v25, v23, v21, s[16:17]
	v_cndmask_b32_e64 v23, v2, v4, s[0:1]
	v_cndmask_b32_e64 v23, v23, v6, s[2:3]
	v_cndmask_b32_e64 v23, v23, v8, s[4:5]
	v_cndmask_b32_e64 v23, v23, v10, s[6:7]
	v_cndmask_b32_e64 v23, v23, v12, s[8:9]
	v_cndmask_b32_e64 v23, v23, v14, s[10:11]
	v_cndmask_b32_e64 v23, v23, v16, s[12:13]
	v_cndmask_b32_e64 v23, v23, v18, s[14:15]
	v_cndmask_b32_e64 v24, v23, v20, s[16:17]
	v_div_scale_f64 v[26:27], s[18:19], v[24:25], v[24:25], 1.0
	v_rcp_f64_e32 v[28:29], v[26:27]
	s_nop 0
	v_fma_f64 v[30:31], -v[26:27], v[28:29], 1.0
	v_fmac_f64_e32 v[28:29], v[28:29], v[30:31]
	v_fma_f64 v[30:31], -v[26:27], v[28:29], 1.0
	v_fmac_f64_e32 v[28:29], v[28:29], v[30:31]
	v_div_scale_f64 v[30:31], vcc, 1.0, v[24:25], 1.0
	v_mul_f64 v[32:33], v[30:31], v[28:29]
	v_fma_f64 v[26:27], -v[26:27], v[32:33], v[30:31]
	s_nop 1
	v_div_fmas_f64 v[26:27], v[26:27], v[28:29], v[32:33]
	v_div_fixup_f64 v[24:25], v[26:27], v[24:25], 1.0
	v_cmp_eq_u32_e32 vcc, 0, v0
	v_cndmask_b32_e64 v21, v21, v25, s[16:17]
	v_cndmask_b32_e64 v20, v20, v24, s[16:17]
	;; [unrolled: 1-line block ×18, first 2 shown]
	v_cndmask_b32_e32 v3, v3, v25, vcc
	v_cndmask_b32_e32 v2, v2, v24, vcc
	v_xor_b32_e32 v25, 0x80000000, v25
.LBB9_3:
	s_cmpk_eq_i32 s20, 0x79
	v_add_u32_e32 v79, 0x50, v22
	ds_write_b64 v22, v[24:25]
	s_cbranch_scc1 .LBB9_7
; %bb.4:
	s_waitcnt vmcnt(0)
	v_mov_b64_e32 v[52:53], v[32:33]
	v_cmp_eq_u32_e64 s[0:1], 9, v0
	v_mov_b64_e32 v[50:51], v[30:31]
	v_mov_b64_e32 v[48:49], v[28:29]
	;; [unrolled: 1-line block ×15, first 2 shown]
	ds_write_b64 v79, v[18:19]
	s_waitcnt lgkmcnt(0)
	; wave barrier
	s_and_saveexec_b64 s[18:19], s[0:1]
	s_cbranch_execz .LBB9_11
; %bb.5:
	s_and_b64 vcc, exec, s[22:23]
	s_cbranch_vccz .LBB9_8
; %bb.6:
	v_cmp_eq_u32_e32 vcc, 1, v0
	v_cmp_eq_u32_e64 s[2:3], 2, v0
	v_cmp_eq_u32_e64 s[4:5], 3, v0
	v_cndmask_b32_e32 v22, v3, v5, vcc
	v_cndmask_b32_e64 v22, v22, v7, s[2:3]
	v_cndmask_b32_e64 v22, v22, v9, s[4:5]
	v_cmp_eq_u32_e64 s[6:7], 4, v0
	v_cmp_eq_u32_e64 s[8:9], 5, v0
	;; [unrolled: 1-line block ×3, first 2 shown]
	v_cndmask_b32_e64 v22, v22, v11, s[6:7]
	v_cndmask_b32_e64 v22, v22, v13, s[8:9]
	;; [unrolled: 1-line block ×3, first 2 shown]
	v_cmp_eq_u32_e64 s[12:13], 7, v0
	v_cmp_eq_u32_e64 s[14:15], 8, v0
	;; [unrolled: 1-line block ×3, first 2 shown]
	v_cndmask_b32_e64 v22, v22, v17, s[12:13]
	v_cndmask_b32_e64 v22, v22, v19, s[14:15]
	;; [unrolled: 1-line block ×3, first 2 shown]
	v_cndmask_b32_e32 v22, v2, v4, vcc
	v_cndmask_b32_e64 v22, v22, v6, s[2:3]
	v_cndmask_b32_e64 v22, v22, v8, s[4:5]
	;; [unrolled: 1-line block ×4, first 2 shown]
	ds_read_b64 v[24:25], v79
	v_cndmask_b32_e64 v22, v22, v14, s[10:11]
	v_cndmask_b32_e64 v22, v22, v16, s[12:13]
	;; [unrolled: 1-line block ×4, first 2 shown]
	s_waitcnt lgkmcnt(0)
	v_mul_f64 v[26:27], v[22:23], v[24:25]
	s_cbranch_execz .LBB9_9
	s_branch .LBB9_10
.LBB9_7:
                                        ; implicit-def: $vgpr22_vgpr23_vgpr24_vgpr25_vgpr26_vgpr27_vgpr28_vgpr29_vgpr30_vgpr31_vgpr32_vgpr33_vgpr34_vgpr35_vgpr36_vgpr37_vgpr38_vgpr39_vgpr40_vgpr41_vgpr42_vgpr43_vgpr44_vgpr45_vgpr46_vgpr47_vgpr48_vgpr49_vgpr50_vgpr51_vgpr52_vgpr53
	s_cbranch_execnz .LBB9_130
	s_branch .LBB9_223
.LBB9_8:
                                        ; implicit-def: $vgpr26_vgpr27
.LBB9_9:
	ds_read_b64 v[26:27], v79
.LBB9_10:
	v_mov_b32_e32 v22, 0
	ds_read_b64 v[28:29], v22 offset:64
	v_mov_b32_e32 v22, v2
	v_mov_b32_e32 v23, v3
	;; [unrolled: 1-line block ×4, first 2 shown]
	s_waitcnt lgkmcnt(0)
	v_mul_f64 v[38:39], v[26:27], v[28:29]
	v_mov_b32_e32 v26, v6
	v_mov_b32_e32 v27, v7
	;; [unrolled: 1-line block ×14, first 2 shown]
.LBB9_11:
	s_or_b64 exec, exec, s[18:19]
	v_cmp_lt_u32_e64 s[2:3], 7, v0
	ds_write_b64 v79, v[36:37]
	s_waitcnt lgkmcnt(0)
	; wave barrier
	s_and_saveexec_b64 s[20:21], s[2:3]
	s_cbranch_execz .LBB9_17
; %bb.12:
	s_andn2_b64 vcc, exec, s[22:23]
	s_cbranch_vccnz .LBB9_14
; %bb.13:
	v_cmp_eq_u32_e32 vcc, 1, v0
	v_cmp_eq_u32_e64 s[4:5], 2, v0
	v_cmp_eq_u32_e64 s[6:7], 3, v0
	v_cndmask_b32_e32 v42, v23, v25, vcc
	v_cndmask_b32_e64 v42, v42, v27, s[4:5]
	v_cndmask_b32_e64 v42, v42, v29, s[6:7]
	v_cmp_eq_u32_e64 s[8:9], 4, v0
	v_cmp_eq_u32_e64 s[10:11], 5, v0
	;; [unrolled: 1-line block ×3, first 2 shown]
	v_cndmask_b32_e64 v42, v42, v31, s[8:9]
	v_cndmask_b32_e64 v42, v42, v33, s[10:11]
	;; [unrolled: 1-line block ×3, first 2 shown]
	v_cmp_eq_u32_e64 s[14:15], 7, v0
	v_cmp_eq_u32_e64 s[16:17], 8, v0
	v_cmp_eq_u32_e64 s[18:19], 9, v0
	v_cndmask_b32_e64 v37, v42, v37, s[14:15]
	v_cndmask_b32_e32 v42, v22, v24, vcc
	v_cndmask_b32_e64 v42, v42, v26, s[4:5]
	v_cndmask_b32_e64 v42, v42, v28, s[6:7]
	v_cndmask_b32_e64 v42, v42, v30, s[8:9]
	v_cndmask_b32_e64 v44, v42, v32, s[10:11]
	ds_read_b64 v[42:43], v79
	v_cndmask_b32_e64 v44, v44, v34, s[12:13]
	v_cndmask_b32_e64 v36, v44, v36, s[14:15]
	;; [unrolled: 1-line block ×6, first 2 shown]
	s_waitcnt lgkmcnt(0)
	v_mul_f64 v[36:37], v[36:37], v[42:43]
	s_cbranch_execz .LBB9_15
	s_branch .LBB9_16
.LBB9_14:
                                        ; implicit-def: $vgpr36_vgpr37
.LBB9_15:
	ds_read_b64 v[36:37], v79
.LBB9_16:
	v_mov_b32_e32 v42, 0
	ds_read2_b64 v[42:45], v42 offset0:7 offset1:18
	s_waitcnt lgkmcnt(0)
	v_fma_f64 v[44:45], v[38:39], v[44:45], v[36:37]
	v_cndmask_b32_e64 v37, v37, v45, s[0:1]
	v_cndmask_b32_e64 v36, v36, v44, s[0:1]
	v_mul_f64 v[36:37], v[36:37], v[42:43]
.LBB9_17:
	s_or_b64 exec, exec, s[20:21]
	v_cmp_lt_u32_e64 s[0:1], 6, v0
	ds_write_b64 v79, v[34:35]
	s_waitcnt lgkmcnt(0)
	; wave barrier
	s_and_saveexec_b64 s[20:21], s[0:1]
	s_cbranch_execz .LBB9_33
; %bb.18:
	s_andn2_b64 vcc, exec, s[22:23]
	s_cbranch_vccnz .LBB9_20
; %bb.19:
	v_cmp_eq_u32_e32 vcc, 1, v0
	v_cmp_eq_u32_e64 s[4:5], 2, v0
	v_cmp_eq_u32_e64 s[6:7], 3, v0
	v_cndmask_b32_e32 v74, v23, v25, vcc
	v_cndmask_b32_e64 v74, v74, v27, s[4:5]
	v_cndmask_b32_e64 v74, v74, v29, s[6:7]
	v_cmp_eq_u32_e64 s[8:9], 4, v0
	v_cmp_eq_u32_e64 s[10:11], 5, v0
	;; [unrolled: 1-line block ×3, first 2 shown]
	v_cndmask_b32_e64 v74, v74, v31, s[8:9]
	v_cndmask_b32_e64 v74, v74, v33, s[10:11]
	;; [unrolled: 1-line block ×3, first 2 shown]
	v_cmp_eq_u32_e64 s[14:15], 7, v0
	v_cmp_eq_u32_e64 s[16:17], 8, v0
	;; [unrolled: 1-line block ×3, first 2 shown]
	v_cndmask_b32_e64 v74, v74, v37, s[14:15]
	v_cndmask_b32_e64 v74, v74, v39, s[16:17]
	;; [unrolled: 1-line block ×3, first 2 shown]
	v_cndmask_b32_e32 v74, v22, v24, vcc
	v_cndmask_b32_e64 v74, v74, v26, s[4:5]
	v_cndmask_b32_e64 v74, v74, v28, s[6:7]
	v_cndmask_b32_e64 v74, v74, v30, s[8:9]
	v_cndmask_b32_e64 v74, v74, v32, s[10:11]
	ds_read_b64 v[76:77], v79
	v_cndmask_b32_e64 v74, v74, v34, s[12:13]
	v_cndmask_b32_e64 v74, v74, v36, s[14:15]
	;; [unrolled: 1-line block ×4, first 2 shown]
	s_waitcnt lgkmcnt(0)
	v_mul_f64 v[74:75], v[74:75], v[76:77]
	s_cbranch_execz .LBB9_21
	s_branch .LBB9_22
.LBB9_20:
                                        ; implicit-def: $vgpr74_vgpr75
.LBB9_21:
	ds_read_b64 v[74:75], v79
.LBB9_22:
	s_and_saveexec_b64 s[6:7], s[2:3]
	s_cbranch_execz .LBB9_32
; %bb.23:
	v_add_u32_e32 v76, -8, v0
	v_add_u32_e32 v77, -7, v0
	v_cmp_lt_u32_e32 vcc, 6, v76
	v_mov_b32_e32 v76, 7
	s_and_saveexec_b64 s[2:3], vcc
	s_cbranch_execz .LBB9_27
; %bb.24:
	v_and_b32_e32 v76, -8, v77
	v_sub_u32_e32 v78, 0, v76
	s_mov_b64 s[4:5], 14
	s_movk_i32 s10, 0x88
	s_mov_b64 s[8:9], 0
.LBB9_25:                               ; =>This Inner Loop Header: Depth=1
	s_lshl_b32 s11, s4, 1
	s_add_i32 s12, s11, -13
	v_mov_b32_e32 v94, s10
	s_add_i32 s13, s11, -14
	s_set_gpr_idx_on s12, gpr_idx(SRC0)
	v_mov_b32_e32 v89, v22
	s_set_gpr_idx_off
	s_add_i32 s14, s11, -11
	s_set_gpr_idx_on s13, gpr_idx(SRC0)
	v_mov_b32_e32 v88, v22
	s_set_gpr_idx_off
	ds_read2_b64 v[80:83], v94 offset1:1
	s_add_i32 s15, s11, -12
	s_set_gpr_idx_on s14, gpr_idx(SRC0)
	v_mov_b32_e32 v91, v22
	s_set_gpr_idx_off
	s_add_i32 s16, s11, -9
	s_set_gpr_idx_on s15, gpr_idx(SRC0)
	v_mov_b32_e32 v90, v22
	s_set_gpr_idx_off
	;; [unrolled: 4-line block ×4, first 2 shown]
	ds_read2_b64 v[84:87], v94 offset0:2 offset1:3
	s_add_i32 s19, s11, -8
	s_waitcnt lgkmcnt(1)
	v_fmac_f64_e32 v[74:75], v[88:89], v[80:81]
	s_set_gpr_idx_on s18, gpr_idx(SRC0)
	v_mov_b32_e32 v89, v22
	s_set_gpr_idx_off
	s_add_i32 s24, s11, -5
	v_fmac_f64_e32 v[74:75], v[90:91], v[82:83]
	s_set_gpr_idx_on s19, gpr_idx(SRC0)
	v_mov_b32_e32 v88, v22
	s_set_gpr_idx_off
	s_add_i32 s25, s11, -6
	s_set_gpr_idx_on s24, gpr_idx(SRC0)
	v_mov_b32_e32 v91, v22
	s_set_gpr_idx_off
	s_add_i32 s26, s11, -3
	s_set_gpr_idx_on s25, gpr_idx(SRC0)
	v_mov_b32_e32 v90, v22
	s_set_gpr_idx_off
	s_add_i32 s27, s11, -4
	ds_read2_b64 v[80:83], v94 offset0:4 offset1:5
	s_waitcnt lgkmcnt(1)
	v_fmac_f64_e32 v[74:75], v[92:93], v[84:85]
	s_set_gpr_idx_on s26, gpr_idx(SRC0)
	v_mov_b32_e32 v93, v22
	s_set_gpr_idx_off
	s_add_i32 s28, s11, -1
	v_fmac_f64_e32 v[74:75], v[88:89], v[86:87]
	s_set_gpr_idx_on s27, gpr_idx(SRC0)
	v_mov_b32_e32 v92, v22
	s_set_gpr_idx_off
	s_add_i32 s29, s11, -2
	s_set_gpr_idx_on s28, gpr_idx(SRC0)
	v_mov_b32_e32 v89, v22
	s_set_gpr_idx_off
	s_set_gpr_idx_on s29, gpr_idx(SRC0)
	v_mov_b32_e32 v88, v22
	s_set_gpr_idx_off
	ds_read2_b64 v[84:87], v94 offset0:6 offset1:7
	s_add_u32 s4, s4, 8
	s_waitcnt lgkmcnt(1)
	v_fmac_f64_e32 v[74:75], v[90:91], v[80:81]
	s_set_gpr_idx_on s11, gpr_idx(SRC0)
	v_mov_b32_e32 v81, v23
	s_set_gpr_idx_off
	v_add_u32_e32 v76, s4, v78
	v_fmac_f64_e32 v[74:75], v[92:93], v[82:83]
	s_set_gpr_idx_on s11, gpr_idx(SRC0)
	v_mov_b32_e32 v80, v22
	s_set_gpr_idx_off
	s_addc_u32 s5, s5, 0
	s_add_i32 s10, s10, 64
	s_add_i32 s12, s4, -7
	v_cmp_eq_u32_e32 vcc, 14, v76
	s_waitcnt lgkmcnt(0)
	v_fmac_f64_e32 v[74:75], v[88:89], v[84:85]
	v_mov_b32_e32 v76, s12
	s_or_b64 s[8:9], vcc, s[8:9]
	v_fmac_f64_e32 v[74:75], v[80:81], v[86:87]
	s_andn2_b64 exec, exec, s[8:9]
	s_cbranch_execnz .LBB9_25
; %bb.26:
	s_or_b64 exec, exec, s[8:9]
.LBB9_27:
	s_or_b64 exec, exec, s[2:3]
	v_and_b32_e32 v42, 7, v77
	v_cmp_ne_u32_e32 vcc, 0, v42
	s_and_saveexec_b64 s[8:9], vcc
	s_cbranch_execz .LBB9_31
; %bb.28:
	v_mov_b32_e32 v43, 0x50
	v_lshl_add_u32 v43, v76, 3, v43
	v_mov_b32_e32 v77, 0
	s_mov_b64 s[10:11], 0
.LBB9_29:                               ; =>This Inner Loop Header: Depth=1
	v_cmp_eq_u32_e32 vcc, 1, v76
	v_add_u32_e32 v42, -1, v42
	v_cmp_eq_u32_e64 s[2:3], 2, v76
	v_cndmask_b32_e32 v46, v23, v25, vcc
	v_cndmask_b32_e32 v47, v22, v24, vcc
	v_cndmask_b32_e64 v46, v46, v27, s[2:3]
	v_cmp_eq_u32_e32 vcc, 0, v42
	v_cmp_eq_u32_e64 s[4:5], 3, v76
	v_cndmask_b32_e64 v47, v47, v26, s[2:3]
	s_or_b64 s[10:11], vcc, s[10:11]
	v_cndmask_b32_e64 v46, v46, v29, s[4:5]
	v_cmp_eq_u32_e32 vcc, 4, v76
	v_cndmask_b32_e64 v47, v47, v28, s[4:5]
	v_cmp_eq_u32_e64 s[2:3], 5, v76
	v_cndmask_b32_e32 v46, v46, v31, vcc
	v_cndmask_b32_e32 v47, v47, v30, vcc
	v_cndmask_b32_e64 v46, v46, v33, s[2:3]
	v_cmp_eq_u32_e32 vcc, 6, v76
	ds_read_b64 v[44:45], v43
	v_cndmask_b32_e64 v47, v47, v32, s[2:3]
	v_cndmask_b32_e32 v46, v46, v35, vcc
	v_cmp_eq_u32_e64 s[2:3], 7, v76
	v_cndmask_b32_e32 v47, v47, v34, vcc
	v_cmp_eq_u32_e32 vcc, 8, v76
	v_cndmask_b32_e64 v46, v46, v37, s[2:3]
	v_cmp_eq_u32_e64 s[4:5], 9, v76
	v_cndmask_b32_e32 v46, v46, v39, vcc
	v_cndmask_b32_e64 v48, v47, v36, s[2:3]
	v_cndmask_b32_e64 v47, v46, v41, s[4:5]
	v_cndmask_b32_e32 v46, v48, v38, vcc
	v_cndmask_b32_e64 v46, v46, v40, s[4:5]
	v_add_u32_e32 v43, 8, v43
	v_lshl_add_u64 v[76:77], v[76:77], 0, 1
	s_waitcnt lgkmcnt(0)
	v_fmac_f64_e32 v[74:75], v[46:47], v[44:45]
	s_andn2_b64 exec, exec, s[10:11]
	s_cbranch_execnz .LBB9_29
; %bb.30:
	s_or_b64 exec, exec, s[10:11]
.LBB9_31:
	s_or_b64 exec, exec, s[8:9]
.LBB9_32:
	s_or_b64 exec, exec, s[6:7]
	v_mov_b32_e32 v34, 0
	ds_read_b64 v[34:35], v34 offset:48
	s_waitcnt lgkmcnt(0)
	v_mul_f64 v[34:35], v[74:75], v[34:35]
.LBB9_33:
	s_or_b64 exec, exec, s[20:21]
	v_cmp_lt_u32_e64 s[2:3], 5, v0
	ds_write_b64 v79, v[32:33]
	s_waitcnt lgkmcnt(0)
	; wave barrier
	s_and_saveexec_b64 s[20:21], s[2:3]
	s_cbranch_execz .LBB9_49
; %bb.34:
	s_andn2_b64 vcc, exec, s[22:23]
	s_cbranch_vccnz .LBB9_36
; %bb.35:
	v_cmp_eq_u32_e32 vcc, 1, v0
	v_cmp_eq_u32_e64 s[4:5], 2, v0
	v_cmp_eq_u32_e64 s[6:7], 3, v0
	v_cndmask_b32_e32 v74, v23, v25, vcc
	v_cndmask_b32_e64 v74, v74, v27, s[4:5]
	v_cndmask_b32_e64 v74, v74, v29, s[6:7]
	v_cmp_eq_u32_e64 s[8:9], 4, v0
	v_cmp_eq_u32_e64 s[10:11], 5, v0
	v_cmp_eq_u32_e64 s[12:13], 6, v0
	v_cndmask_b32_e64 v74, v74, v31, s[8:9]
	v_cndmask_b32_e64 v74, v74, v33, s[10:11]
	v_cndmask_b32_e64 v74, v74, v35, s[12:13]
	v_cmp_eq_u32_e64 s[14:15], 7, v0
	v_cmp_eq_u32_e64 s[16:17], 8, v0
	v_cmp_eq_u32_e64 s[18:19], 9, v0
	v_cndmask_b32_e64 v74, v74, v37, s[14:15]
	v_cndmask_b32_e64 v74, v74, v39, s[16:17]
	;; [unrolled: 1-line block ×3, first 2 shown]
	v_cndmask_b32_e32 v74, v22, v24, vcc
	v_cndmask_b32_e64 v74, v74, v26, s[4:5]
	v_cndmask_b32_e64 v74, v74, v28, s[6:7]
	;; [unrolled: 1-line block ×4, first 2 shown]
	ds_read_b64 v[76:77], v79
	v_cndmask_b32_e64 v74, v74, v34, s[12:13]
	v_cndmask_b32_e64 v74, v74, v36, s[14:15]
	;; [unrolled: 1-line block ×4, first 2 shown]
	s_waitcnt lgkmcnt(0)
	v_mul_f64 v[74:75], v[74:75], v[76:77]
	s_cbranch_execz .LBB9_37
	s_branch .LBB9_38
.LBB9_36:
                                        ; implicit-def: $vgpr74_vgpr75
.LBB9_37:
	ds_read_b64 v[74:75], v79
.LBB9_38:
	s_and_saveexec_b64 s[6:7], s[0:1]
	s_cbranch_execz .LBB9_48
; %bb.39:
	v_add_u32_e32 v78, -7, v0
	v_add_u32_e32 v77, -6, v0
	v_mov_b32_e32 v76, 6
	v_cmp_lt_u32_e32 vcc, 6, v78
	s_and_saveexec_b64 s[0:1], vcc
	s_cbranch_execz .LBB9_43
; %bb.40:
	v_and_b32_e32 v76, -8, v77
	v_sub_u32_e32 v78, 0, v76
	s_mov_b64 s[4:5], 13
	s_movk_i32 s10, 0x80
	s_mov_b64 s[8:9], 0
.LBB9_41:                               ; =>This Inner Loop Header: Depth=1
	s_lshl_b32 s11, s4, 1
	s_add_i32 s12, s11, -13
	s_add_i32 s13, s11, -14
	s_set_gpr_idx_on s12, gpr_idx(SRC0)
	v_mov_b32_e32 v97, v22
	s_set_gpr_idx_off
	v_mov_b32_e32 v76, s10
	s_add_i32 s14, s11, -11
	s_set_gpr_idx_on s13, gpr_idx(SRC0)
	v_mov_b32_e32 v96, v22
	s_set_gpr_idx_off
	s_add_i32 s15, s11, -12
	ds_read_b128 v[80:83], v76
	ds_read_b128 v[84:87], v76 offset:16
	ds_read_b128 v[88:91], v76 offset:32
	;; [unrolled: 1-line block ×3, first 2 shown]
	s_set_gpr_idx_on s14, gpr_idx(SRC0)
	v_mov_b32_e32 v99, v22
	s_set_gpr_idx_off
	s_add_i32 s16, s11, -9
	s_set_gpr_idx_on s15, gpr_idx(SRC0)
	v_mov_b32_e32 v98, v22
	s_set_gpr_idx_off
	s_add_i32 s17, s11, -10
	;; [unrolled: 4-line block ×4, first 2 shown]
	s_waitcnt lgkmcnt(3)
	v_fmac_f64_e32 v[74:75], v[96:97], v[80:81]
	s_set_gpr_idx_on s18, gpr_idx(SRC0)
	v_mov_b32_e32 v81, v22
	s_set_gpr_idx_off
	s_add_i32 s24, s11, -5
	v_fmac_f64_e32 v[74:75], v[98:99], v[82:83]
	s_set_gpr_idx_on s19, gpr_idx(SRC0)
	v_mov_b32_e32 v80, v22
	s_set_gpr_idx_off
	s_add_i32 s25, s11, -6
	s_waitcnt lgkmcnt(2)
	v_fmac_f64_e32 v[74:75], v[100:101], v[84:85]
	s_set_gpr_idx_on s24, gpr_idx(SRC0)
	v_mov_b32_e32 v83, v22
	s_set_gpr_idx_off
	s_add_i32 s26, s11, -3
	v_fmac_f64_e32 v[74:75], v[80:81], v[86:87]
	s_set_gpr_idx_on s25, gpr_idx(SRC0)
	v_mov_b32_e32 v82, v22
	s_set_gpr_idx_off
	s_add_i32 s27, s11, -4
	s_waitcnt lgkmcnt(1)
	v_fmac_f64_e32 v[74:75], v[82:83], v[88:89]
	s_set_gpr_idx_on s26, gpr_idx(SRC0)
	v_mov_b32_e32 v81, v22
	s_set_gpr_idx_off
	s_add_i32 s28, s11, -1
	s_set_gpr_idx_on s27, gpr_idx(SRC0)
	v_mov_b32_e32 v80, v22
	s_set_gpr_idx_off
	s_add_i32 s29, s11, -2
	v_fmac_f64_e32 v[74:75], v[80:81], v[90:91]
	s_set_gpr_idx_on s28, gpr_idx(SRC0)
	v_mov_b32_e32 v81, v22
	s_set_gpr_idx_off
	s_add_u32 s4, s4, 8
	s_set_gpr_idx_on s29, gpr_idx(SRC0)
	v_mov_b32_e32 v80, v22
	s_set_gpr_idx_off
	v_add_u32_e32 v76, s4, v78
	s_waitcnt lgkmcnt(0)
	v_fmac_f64_e32 v[74:75], v[80:81], v[92:93]
	s_set_gpr_idx_on s11, gpr_idx(SRC0)
	v_mov_b32_e32 v81, v23
	s_set_gpr_idx_off
	s_addc_u32 s5, s5, 0
	s_add_i32 s10, s10, 64
	s_add_i32 s12, s4, -7
	v_cmp_eq_u32_e32 vcc, 13, v76
	s_set_gpr_idx_on s11, gpr_idx(SRC0)
	v_mov_b32_e32 v80, v22
	s_set_gpr_idx_off
	v_mov_b32_e32 v76, s12
	s_or_b64 s[8:9], vcc, s[8:9]
	v_fmac_f64_e32 v[74:75], v[80:81], v[94:95]
	s_andn2_b64 exec, exec, s[8:9]
	s_cbranch_execnz .LBB9_41
; %bb.42:
	s_or_b64 exec, exec, s[8:9]
.LBB9_43:
	s_or_b64 exec, exec, s[0:1]
	v_and_b32_e32 v42, 7, v77
	v_cmp_ne_u32_e32 vcc, 0, v42
	s_and_saveexec_b64 s[8:9], vcc
	s_cbranch_execz .LBB9_47
; %bb.44:
	v_mov_b32_e32 v43, 0x50
	v_lshl_add_u32 v43, v76, 3, v43
	v_mov_b32_e32 v77, 0
	s_mov_b64 s[10:11], 0
.LBB9_45:                               ; =>This Inner Loop Header: Depth=1
	v_cmp_eq_u32_e32 vcc, 1, v76
	v_add_u32_e32 v42, -1, v42
	v_cmp_eq_u32_e64 s[0:1], 2, v76
	v_cndmask_b32_e32 v46, v23, v25, vcc
	v_cndmask_b32_e32 v47, v22, v24, vcc
	v_cndmask_b32_e64 v46, v46, v27, s[0:1]
	v_cmp_eq_u32_e32 vcc, 0, v42
	v_cmp_eq_u32_e64 s[4:5], 3, v76
	v_cndmask_b32_e64 v47, v47, v26, s[0:1]
	s_or_b64 s[10:11], vcc, s[10:11]
	v_cndmask_b32_e64 v46, v46, v29, s[4:5]
	v_cmp_eq_u32_e32 vcc, 4, v76
	v_cndmask_b32_e64 v47, v47, v28, s[4:5]
	v_cmp_eq_u32_e64 s[0:1], 5, v76
	v_cndmask_b32_e32 v46, v46, v31, vcc
	v_cndmask_b32_e32 v47, v47, v30, vcc
	v_cndmask_b32_e64 v46, v46, v33, s[0:1]
	v_cmp_eq_u32_e32 vcc, 6, v76
	ds_read_b64 v[44:45], v43
	v_cndmask_b32_e64 v47, v47, v32, s[0:1]
	v_cndmask_b32_e32 v46, v46, v35, vcc
	v_cmp_eq_u32_e64 s[0:1], 7, v76
	v_cndmask_b32_e32 v47, v47, v34, vcc
	v_cmp_eq_u32_e32 vcc, 8, v76
	v_cndmask_b32_e64 v46, v46, v37, s[0:1]
	v_cmp_eq_u32_e64 s[4:5], 9, v76
	v_cndmask_b32_e32 v46, v46, v39, vcc
	v_cndmask_b32_e64 v48, v47, v36, s[0:1]
	v_cndmask_b32_e64 v47, v46, v41, s[4:5]
	v_cndmask_b32_e32 v46, v48, v38, vcc
	v_cndmask_b32_e64 v46, v46, v40, s[4:5]
	v_add_u32_e32 v43, 8, v43
	v_lshl_add_u64 v[76:77], v[76:77], 0, 1
	s_waitcnt lgkmcnt(0)
	v_fmac_f64_e32 v[74:75], v[46:47], v[44:45]
	s_andn2_b64 exec, exec, s[10:11]
	s_cbranch_execnz .LBB9_45
; %bb.46:
	s_or_b64 exec, exec, s[10:11]
.LBB9_47:
	s_or_b64 exec, exec, s[8:9]
.LBB9_48:
	s_or_b64 exec, exec, s[6:7]
	v_mov_b32_e32 v32, 0
	ds_read_b64 v[32:33], v32 offset:40
	s_waitcnt lgkmcnt(0)
	v_mul_f64 v[32:33], v[74:75], v[32:33]
.LBB9_49:
	s_or_b64 exec, exec, s[20:21]
	v_cmp_lt_u32_e64 s[0:1], 4, v0
	ds_write_b64 v79, v[30:31]
	s_waitcnt lgkmcnt(0)
	; wave barrier
	s_and_saveexec_b64 s[20:21], s[0:1]
	s_cbranch_execz .LBB9_65
; %bb.50:
	s_andn2_b64 vcc, exec, s[22:23]
	s_cbranch_vccnz .LBB9_52
; %bb.51:
	v_cmp_eq_u32_e32 vcc, 1, v0
	v_cmp_eq_u32_e64 s[4:5], 2, v0
	v_cmp_eq_u32_e64 s[6:7], 3, v0
	v_cndmask_b32_e32 v74, v23, v25, vcc
	v_cndmask_b32_e64 v74, v74, v27, s[4:5]
	v_cndmask_b32_e64 v74, v74, v29, s[6:7]
	v_cmp_eq_u32_e64 s[8:9], 4, v0
	v_cmp_eq_u32_e64 s[10:11], 5, v0
	;; [unrolled: 1-line block ×3, first 2 shown]
	v_cndmask_b32_e64 v74, v74, v31, s[8:9]
	v_cndmask_b32_e64 v74, v74, v33, s[10:11]
	;; [unrolled: 1-line block ×3, first 2 shown]
	v_cmp_eq_u32_e64 s[14:15], 7, v0
	v_cmp_eq_u32_e64 s[16:17], 8, v0
	;; [unrolled: 1-line block ×3, first 2 shown]
	v_cndmask_b32_e64 v74, v74, v37, s[14:15]
	v_cndmask_b32_e64 v74, v74, v39, s[16:17]
	;; [unrolled: 1-line block ×3, first 2 shown]
	v_cndmask_b32_e32 v74, v22, v24, vcc
	v_cndmask_b32_e64 v74, v74, v26, s[4:5]
	v_cndmask_b32_e64 v74, v74, v28, s[6:7]
	;; [unrolled: 1-line block ×4, first 2 shown]
	ds_read_b64 v[76:77], v79
	v_cndmask_b32_e64 v74, v74, v34, s[12:13]
	v_cndmask_b32_e64 v74, v74, v36, s[14:15]
	;; [unrolled: 1-line block ×4, first 2 shown]
	s_waitcnt lgkmcnt(0)
	v_mul_f64 v[74:75], v[74:75], v[76:77]
	s_cbranch_execz .LBB9_53
	s_branch .LBB9_54
.LBB9_52:
                                        ; implicit-def: $vgpr74_vgpr75
.LBB9_53:
	ds_read_b64 v[74:75], v79
.LBB9_54:
	s_and_saveexec_b64 s[6:7], s[2:3]
	s_cbranch_execz .LBB9_64
; %bb.55:
	v_add_u32_e32 v76, -6, v0
	v_add_u32_e32 v77, -5, v0
	v_cmp_lt_u32_e32 vcc, 6, v76
	v_mov_b32_e32 v76, 5
	s_and_saveexec_b64 s[2:3], vcc
	s_cbranch_execz .LBB9_59
; %bb.56:
	v_and_b32_e32 v76, -8, v77
	v_sub_u32_e32 v78, 0, v76
	s_mov_b64 s[4:5], 12
	s_movk_i32 s10, 0x78
	s_mov_b64 s[8:9], 0
.LBB9_57:                               ; =>This Inner Loop Header: Depth=1
	s_lshl_b32 s11, s4, 1
	s_add_i32 s12, s11, -13
	v_mov_b32_e32 v94, s10
	s_add_i32 s13, s11, -14
	s_set_gpr_idx_on s12, gpr_idx(SRC0)
	v_mov_b32_e32 v89, v22
	s_set_gpr_idx_off
	s_add_i32 s14, s11, -11
	s_set_gpr_idx_on s13, gpr_idx(SRC0)
	v_mov_b32_e32 v88, v22
	s_set_gpr_idx_off
	ds_read2_b64 v[80:83], v94 offset1:1
	s_add_i32 s15, s11, -12
	s_set_gpr_idx_on s14, gpr_idx(SRC0)
	v_mov_b32_e32 v91, v22
	s_set_gpr_idx_off
	s_add_i32 s16, s11, -9
	s_set_gpr_idx_on s15, gpr_idx(SRC0)
	v_mov_b32_e32 v90, v22
	s_set_gpr_idx_off
	s_add_i32 s17, s11, -10
	s_set_gpr_idx_on s16, gpr_idx(SRC0)
	v_mov_b32_e32 v93, v22
	s_set_gpr_idx_off
	s_add_i32 s18, s11, -7
	s_set_gpr_idx_on s17, gpr_idx(SRC0)
	v_mov_b32_e32 v92, v22
	s_set_gpr_idx_off
	ds_read2_b64 v[84:87], v94 offset0:2 offset1:3
	s_add_i32 s19, s11, -8
	s_waitcnt lgkmcnt(1)
	v_fmac_f64_e32 v[74:75], v[88:89], v[80:81]
	s_set_gpr_idx_on s18, gpr_idx(SRC0)
	v_mov_b32_e32 v89, v22
	s_set_gpr_idx_off
	s_add_i32 s24, s11, -5
	v_fmac_f64_e32 v[74:75], v[90:91], v[82:83]
	s_set_gpr_idx_on s19, gpr_idx(SRC0)
	v_mov_b32_e32 v88, v22
	s_set_gpr_idx_off
	s_add_i32 s25, s11, -6
	s_set_gpr_idx_on s24, gpr_idx(SRC0)
	v_mov_b32_e32 v91, v22
	s_set_gpr_idx_off
	s_add_i32 s26, s11, -3
	;; [unrolled: 4-line block ×3, first 2 shown]
	ds_read2_b64 v[80:83], v94 offset0:4 offset1:5
	s_waitcnt lgkmcnt(1)
	v_fmac_f64_e32 v[74:75], v[92:93], v[84:85]
	s_set_gpr_idx_on s26, gpr_idx(SRC0)
	v_mov_b32_e32 v93, v22
	s_set_gpr_idx_off
	s_add_i32 s28, s11, -1
	v_fmac_f64_e32 v[74:75], v[88:89], v[86:87]
	s_set_gpr_idx_on s27, gpr_idx(SRC0)
	v_mov_b32_e32 v92, v22
	s_set_gpr_idx_off
	s_add_i32 s29, s11, -2
	s_set_gpr_idx_on s28, gpr_idx(SRC0)
	v_mov_b32_e32 v89, v22
	s_set_gpr_idx_off
	s_set_gpr_idx_on s29, gpr_idx(SRC0)
	v_mov_b32_e32 v88, v22
	s_set_gpr_idx_off
	ds_read2_b64 v[84:87], v94 offset0:6 offset1:7
	s_add_u32 s4, s4, 8
	s_waitcnt lgkmcnt(1)
	v_fmac_f64_e32 v[74:75], v[90:91], v[80:81]
	s_set_gpr_idx_on s11, gpr_idx(SRC0)
	v_mov_b32_e32 v81, v23
	s_set_gpr_idx_off
	v_add_u32_e32 v76, s4, v78
	v_fmac_f64_e32 v[74:75], v[92:93], v[82:83]
	s_set_gpr_idx_on s11, gpr_idx(SRC0)
	v_mov_b32_e32 v80, v22
	s_set_gpr_idx_off
	s_addc_u32 s5, s5, 0
	s_add_i32 s10, s10, 64
	s_add_i32 s12, s4, -7
	v_cmp_eq_u32_e32 vcc, 12, v76
	s_waitcnt lgkmcnt(0)
	v_fmac_f64_e32 v[74:75], v[88:89], v[84:85]
	v_mov_b32_e32 v76, s12
	s_or_b64 s[8:9], vcc, s[8:9]
	v_fmac_f64_e32 v[74:75], v[80:81], v[86:87]
	s_andn2_b64 exec, exec, s[8:9]
	s_cbranch_execnz .LBB9_57
; %bb.58:
	s_or_b64 exec, exec, s[8:9]
.LBB9_59:
	s_or_b64 exec, exec, s[2:3]
	v_and_b32_e32 v42, 7, v77
	v_cmp_ne_u32_e32 vcc, 0, v42
	s_and_saveexec_b64 s[8:9], vcc
	s_cbranch_execz .LBB9_63
; %bb.60:
	v_mov_b32_e32 v43, 0x50
	v_lshl_add_u32 v43, v76, 3, v43
	v_mov_b32_e32 v77, 0
	s_mov_b64 s[10:11], 0
.LBB9_61:                               ; =>This Inner Loop Header: Depth=1
	v_cmp_eq_u32_e32 vcc, 1, v76
	v_add_u32_e32 v42, -1, v42
	v_cmp_eq_u32_e64 s[2:3], 2, v76
	v_cndmask_b32_e32 v46, v23, v25, vcc
	v_cndmask_b32_e32 v47, v22, v24, vcc
	v_cndmask_b32_e64 v46, v46, v27, s[2:3]
	v_cmp_eq_u32_e32 vcc, 0, v42
	v_cmp_eq_u32_e64 s[4:5], 3, v76
	v_cndmask_b32_e64 v47, v47, v26, s[2:3]
	s_or_b64 s[10:11], vcc, s[10:11]
	v_cndmask_b32_e64 v46, v46, v29, s[4:5]
	v_cmp_eq_u32_e32 vcc, 4, v76
	v_cndmask_b32_e64 v47, v47, v28, s[4:5]
	v_cmp_eq_u32_e64 s[2:3], 5, v76
	v_cndmask_b32_e32 v46, v46, v31, vcc
	v_cndmask_b32_e32 v47, v47, v30, vcc
	v_cndmask_b32_e64 v46, v46, v33, s[2:3]
	v_cmp_eq_u32_e32 vcc, 6, v76
	ds_read_b64 v[44:45], v43
	v_cndmask_b32_e64 v47, v47, v32, s[2:3]
	v_cndmask_b32_e32 v46, v46, v35, vcc
	v_cmp_eq_u32_e64 s[2:3], 7, v76
	v_cndmask_b32_e32 v47, v47, v34, vcc
	v_cmp_eq_u32_e32 vcc, 8, v76
	v_cndmask_b32_e64 v46, v46, v37, s[2:3]
	v_cmp_eq_u32_e64 s[4:5], 9, v76
	v_cndmask_b32_e32 v46, v46, v39, vcc
	v_cndmask_b32_e64 v48, v47, v36, s[2:3]
	v_cndmask_b32_e64 v47, v46, v41, s[4:5]
	v_cndmask_b32_e32 v46, v48, v38, vcc
	v_cndmask_b32_e64 v46, v46, v40, s[4:5]
	v_add_u32_e32 v43, 8, v43
	v_lshl_add_u64 v[76:77], v[76:77], 0, 1
	s_waitcnt lgkmcnt(0)
	v_fmac_f64_e32 v[74:75], v[46:47], v[44:45]
	s_andn2_b64 exec, exec, s[10:11]
	s_cbranch_execnz .LBB9_61
; %bb.62:
	s_or_b64 exec, exec, s[10:11]
.LBB9_63:
	s_or_b64 exec, exec, s[8:9]
.LBB9_64:
	s_or_b64 exec, exec, s[6:7]
	v_mov_b32_e32 v30, 0
	ds_read_b64 v[30:31], v30 offset:32
	s_waitcnt lgkmcnt(0)
	v_mul_f64 v[30:31], v[74:75], v[30:31]
.LBB9_65:
	s_or_b64 exec, exec, s[20:21]
	v_cmp_lt_u32_e64 s[2:3], 3, v0
	ds_write_b64 v79, v[28:29]
	s_waitcnt lgkmcnt(0)
	; wave barrier
	s_and_saveexec_b64 s[20:21], s[2:3]
	s_cbranch_execz .LBB9_81
; %bb.66:
	s_andn2_b64 vcc, exec, s[22:23]
	s_cbranch_vccnz .LBB9_68
; %bb.67:
	v_cmp_eq_u32_e32 vcc, 1, v0
	v_cmp_eq_u32_e64 s[4:5], 2, v0
	v_cmp_eq_u32_e64 s[6:7], 3, v0
	v_cndmask_b32_e32 v74, v23, v25, vcc
	v_cndmask_b32_e64 v74, v74, v27, s[4:5]
	v_cndmask_b32_e64 v74, v74, v29, s[6:7]
	v_cmp_eq_u32_e64 s[8:9], 4, v0
	v_cmp_eq_u32_e64 s[10:11], 5, v0
	;; [unrolled: 1-line block ×3, first 2 shown]
	v_cndmask_b32_e64 v74, v74, v31, s[8:9]
	v_cndmask_b32_e64 v74, v74, v33, s[10:11]
	;; [unrolled: 1-line block ×3, first 2 shown]
	v_cmp_eq_u32_e64 s[14:15], 7, v0
	v_cmp_eq_u32_e64 s[16:17], 8, v0
	;; [unrolled: 1-line block ×3, first 2 shown]
	v_cndmask_b32_e64 v74, v74, v37, s[14:15]
	v_cndmask_b32_e64 v74, v74, v39, s[16:17]
	v_cndmask_b32_e64 v75, v74, v41, s[18:19]
	v_cndmask_b32_e32 v74, v22, v24, vcc
	v_cndmask_b32_e64 v74, v74, v26, s[4:5]
	v_cndmask_b32_e64 v74, v74, v28, s[6:7]
	;; [unrolled: 1-line block ×4, first 2 shown]
	ds_read_b64 v[76:77], v79
	v_cndmask_b32_e64 v74, v74, v34, s[12:13]
	v_cndmask_b32_e64 v74, v74, v36, s[14:15]
	;; [unrolled: 1-line block ×4, first 2 shown]
	s_waitcnt lgkmcnt(0)
	v_mul_f64 v[74:75], v[74:75], v[76:77]
	s_cbranch_execz .LBB9_69
	s_branch .LBB9_70
.LBB9_68:
                                        ; implicit-def: $vgpr74_vgpr75
.LBB9_69:
	ds_read_b64 v[74:75], v79
.LBB9_70:
	s_and_saveexec_b64 s[6:7], s[0:1]
	s_cbranch_execz .LBB9_80
; %bb.71:
	v_add_u32_e32 v76, -5, v0
	v_add_u32_e32 v77, -4, v0
	v_cmp_lt_u32_e32 vcc, 6, v76
	v_mov_b32_e32 v76, 4
	s_and_saveexec_b64 s[0:1], vcc
	s_cbranch_execz .LBB9_75
; %bb.72:
	v_and_b32_e32 v76, -8, v77
	v_sub_u32_e32 v78, 0, v76
	s_mov_b64 s[4:5], 5
	s_movk_i32 s10, 0x70
	s_mov_b64 s[8:9], 0
.LBB9_73:                               ; =>This Inner Loop Header: Depth=1
	s_lshl_b32 s11, s4, 1
	s_add_i32 s12, s11, -1
	s_add_i32 s13, s11, -2
	s_set_gpr_idx_on s12, gpr_idx(SRC0)
	v_mov_b32_e32 v97, v22
	s_set_gpr_idx_off
	v_mov_b32_e32 v76, s10
	s_set_gpr_idx_on s13, gpr_idx(SRC0)
	v_mov_b32_e32 v96, v22
	s_set_gpr_idx_off
	ds_read_b128 v[80:83], v76
	ds_read_b128 v[84:87], v76 offset:16
	ds_read_b128 v[88:91], v76 offset:32
	;; [unrolled: 1-line block ×3, first 2 shown]
	s_set_gpr_idx_on s11, gpr_idx(SRC0)
	v_mov_b32_e32 v99, v23
	s_add_i32 s14, s11, 3
	v_mov_b32_e32 v98, v22
	s_set_gpr_idx_off
	s_add_i32 s15, s11, 2
	s_set_gpr_idx_on s14, gpr_idx(SRC0)
	v_mov_b32_e32 v101, v22
	s_set_gpr_idx_off
	s_add_i32 s16, s11, 5
	s_set_gpr_idx_on s15, gpr_idx(SRC0)
	v_mov_b32_e32 v100, v22
	s_set_gpr_idx_off
	s_add_i32 s17, s11, 4
	s_waitcnt lgkmcnt(3)
	v_fmac_f64_e32 v[74:75], v[96:97], v[80:81]
	s_set_gpr_idx_on s16, gpr_idx(SRC0)
	v_mov_b32_e32 v81, v22
	s_set_gpr_idx_off
	s_add_i32 s18, s11, 7
	v_fmac_f64_e32 v[74:75], v[98:99], v[82:83]
	s_set_gpr_idx_on s17, gpr_idx(SRC0)
	v_mov_b32_e32 v80, v22
	s_set_gpr_idx_off
	s_add_i32 s19, s11, 6
	s_waitcnt lgkmcnt(2)
	v_fmac_f64_e32 v[74:75], v[100:101], v[84:85]
	s_set_gpr_idx_on s18, gpr_idx(SRC0)
	v_mov_b32_e32 v83, v22
	s_set_gpr_idx_off
	s_add_i32 s24, s11, 9
	v_fmac_f64_e32 v[74:75], v[80:81], v[86:87]
	s_set_gpr_idx_on s19, gpr_idx(SRC0)
	v_mov_b32_e32 v82, v22
	s_set_gpr_idx_off
	s_add_i32 s25, s11, 8
	s_waitcnt lgkmcnt(1)
	v_fmac_f64_e32 v[74:75], v[82:83], v[88:89]
	s_set_gpr_idx_on s24, gpr_idx(SRC0)
	v_mov_b32_e32 v81, v22
	s_set_gpr_idx_off
	s_add_i32 s26, s11, 11
	s_set_gpr_idx_on s25, gpr_idx(SRC0)
	v_mov_b32_e32 v80, v22
	s_set_gpr_idx_off
	s_add_i32 s27, s11, 10
	s_add_i32 s28, s11, 13
	;; [unrolled: 1-line block ×3, first 2 shown]
	v_fmac_f64_e32 v[74:75], v[80:81], v[90:91]
	s_set_gpr_idx_on s26, gpr_idx(SRC0)
	v_mov_b32_e32 v81, v22
	s_set_gpr_idx_off
	s_add_u32 s4, s4, 8
	s_set_gpr_idx_on s27, gpr_idx(SRC0)
	v_mov_b32_e32 v80, v22
	s_set_gpr_idx_off
	v_add_u32_e32 v76, s4, v78
	s_waitcnt lgkmcnt(0)
	v_fmac_f64_e32 v[74:75], v[80:81], v[92:93]
	s_set_gpr_idx_on s28, gpr_idx(SRC0)
	v_mov_b32_e32 v81, v22
	s_set_gpr_idx_off
	s_addc_u32 s5, s5, 0
	s_add_i32 s10, s10, 64
	s_add_i32 s12, s4, -1
	v_cmp_eq_u32_e32 vcc, 5, v76
	s_set_gpr_idx_on s29, gpr_idx(SRC0)
	v_mov_b32_e32 v80, v22
	s_set_gpr_idx_off
	v_mov_b32_e32 v76, s12
	s_or_b64 s[8:9], vcc, s[8:9]
	v_fmac_f64_e32 v[74:75], v[80:81], v[94:95]
	s_andn2_b64 exec, exec, s[8:9]
	s_cbranch_execnz .LBB9_73
; %bb.74:
	s_or_b64 exec, exec, s[8:9]
.LBB9_75:
	s_or_b64 exec, exec, s[0:1]
	v_and_b32_e32 v42, 7, v77
	v_cmp_ne_u32_e32 vcc, 0, v42
	s_and_saveexec_b64 s[8:9], vcc
	s_cbranch_execz .LBB9_79
; %bb.76:
	v_mov_b32_e32 v43, 0x50
	v_lshl_add_u32 v43, v76, 3, v43
	v_mov_b32_e32 v77, 0
	s_mov_b64 s[10:11], 0
.LBB9_77:                               ; =>This Inner Loop Header: Depth=1
	v_cmp_eq_u32_e32 vcc, 1, v76
	v_add_u32_e32 v42, -1, v42
	v_cmp_eq_u32_e64 s[0:1], 2, v76
	v_cndmask_b32_e32 v46, v23, v25, vcc
	v_cndmask_b32_e32 v47, v22, v24, vcc
	v_cndmask_b32_e64 v46, v46, v27, s[0:1]
	v_cmp_eq_u32_e32 vcc, 0, v42
	v_cmp_eq_u32_e64 s[4:5], 3, v76
	v_cndmask_b32_e64 v47, v47, v26, s[0:1]
	s_or_b64 s[10:11], vcc, s[10:11]
	v_cndmask_b32_e64 v46, v46, v29, s[4:5]
	v_cmp_eq_u32_e32 vcc, 4, v76
	v_cndmask_b32_e64 v47, v47, v28, s[4:5]
	v_cmp_eq_u32_e64 s[0:1], 5, v76
	v_cndmask_b32_e32 v46, v46, v31, vcc
	v_cndmask_b32_e32 v47, v47, v30, vcc
	v_cndmask_b32_e64 v46, v46, v33, s[0:1]
	v_cmp_eq_u32_e32 vcc, 6, v76
	ds_read_b64 v[44:45], v43
	v_cndmask_b32_e64 v47, v47, v32, s[0:1]
	v_cndmask_b32_e32 v46, v46, v35, vcc
	v_cmp_eq_u32_e64 s[0:1], 7, v76
	v_cndmask_b32_e32 v47, v47, v34, vcc
	v_cmp_eq_u32_e32 vcc, 8, v76
	v_cndmask_b32_e64 v46, v46, v37, s[0:1]
	v_cmp_eq_u32_e64 s[4:5], 9, v76
	v_cndmask_b32_e32 v46, v46, v39, vcc
	v_cndmask_b32_e64 v48, v47, v36, s[0:1]
	v_cndmask_b32_e64 v47, v46, v41, s[4:5]
	v_cndmask_b32_e32 v46, v48, v38, vcc
	v_cndmask_b32_e64 v46, v46, v40, s[4:5]
	v_add_u32_e32 v43, 8, v43
	v_lshl_add_u64 v[76:77], v[76:77], 0, 1
	s_waitcnt lgkmcnt(0)
	v_fmac_f64_e32 v[74:75], v[46:47], v[44:45]
	s_andn2_b64 exec, exec, s[10:11]
	s_cbranch_execnz .LBB9_77
; %bb.78:
	s_or_b64 exec, exec, s[10:11]
.LBB9_79:
	s_or_b64 exec, exec, s[8:9]
.LBB9_80:
	s_or_b64 exec, exec, s[6:7]
	v_mov_b32_e32 v28, 0
	ds_read_b64 v[28:29], v28 offset:24
	s_waitcnt lgkmcnt(0)
	v_mul_f64 v[28:29], v[74:75], v[28:29]
.LBB9_81:
	s_or_b64 exec, exec, s[20:21]
	v_cmp_lt_u32_e64 s[0:1], 2, v0
	ds_write_b64 v79, v[26:27]
	s_waitcnt lgkmcnt(0)
	; wave barrier
	s_and_saveexec_b64 s[20:21], s[0:1]
	s_cbranch_execz .LBB9_97
; %bb.82:
	s_andn2_b64 vcc, exec, s[22:23]
	s_cbranch_vccnz .LBB9_84
; %bb.83:
	v_cmp_eq_u32_e32 vcc, 1, v0
	v_cmp_eq_u32_e64 s[4:5], 2, v0
	v_cmp_eq_u32_e64 s[6:7], 3, v0
	v_cndmask_b32_e32 v74, v23, v25, vcc
	v_cndmask_b32_e64 v74, v74, v27, s[4:5]
	v_cndmask_b32_e64 v74, v74, v29, s[6:7]
	v_cmp_eq_u32_e64 s[8:9], 4, v0
	v_cmp_eq_u32_e64 s[10:11], 5, v0
	;; [unrolled: 1-line block ×3, first 2 shown]
	v_cndmask_b32_e64 v74, v74, v31, s[8:9]
	v_cndmask_b32_e64 v74, v74, v33, s[10:11]
	;; [unrolled: 1-line block ×3, first 2 shown]
	v_cmp_eq_u32_e64 s[14:15], 7, v0
	v_cmp_eq_u32_e64 s[16:17], 8, v0
	;; [unrolled: 1-line block ×3, first 2 shown]
	v_cndmask_b32_e64 v74, v74, v37, s[14:15]
	v_cndmask_b32_e64 v74, v74, v39, s[16:17]
	;; [unrolled: 1-line block ×3, first 2 shown]
	v_cndmask_b32_e32 v74, v22, v24, vcc
	v_cndmask_b32_e64 v74, v74, v26, s[4:5]
	v_cndmask_b32_e64 v74, v74, v28, s[6:7]
	;; [unrolled: 1-line block ×4, first 2 shown]
	ds_read_b64 v[76:77], v79
	v_cndmask_b32_e64 v74, v74, v34, s[12:13]
	v_cndmask_b32_e64 v74, v74, v36, s[14:15]
	;; [unrolled: 1-line block ×4, first 2 shown]
	s_waitcnt lgkmcnt(0)
	v_mul_f64 v[74:75], v[74:75], v[76:77]
	s_cbranch_execz .LBB9_85
	s_branch .LBB9_86
.LBB9_84:
                                        ; implicit-def: $vgpr74_vgpr75
.LBB9_85:
	ds_read_b64 v[74:75], v79
.LBB9_86:
	s_and_saveexec_b64 s[6:7], s[2:3]
	s_cbranch_execz .LBB9_96
; %bb.87:
	v_add_u32_e32 v76, -4, v0
	v_add_u32_e32 v77, -3, v0
	v_cmp_lt_u32_e32 vcc, 6, v76
	v_mov_b32_e32 v76, 3
	s_and_saveexec_b64 s[2:3], vcc
	s_cbranch_execz .LBB9_91
; %bb.88:
	v_and_b32_e32 v76, -8, v77
	v_sub_u32_e32 v78, 0, v76
	s_mov_b64 s[4:5], 10
	s_movk_i32 s10, 0x68
	s_mov_b64 s[8:9], 0
.LBB9_89:                               ; =>This Inner Loop Header: Depth=1
	s_lshl_b32 s11, s4, 1
	s_add_i32 s12, s11, -13
	v_mov_b32_e32 v94, s10
	s_add_i32 s13, s11, -14
	s_set_gpr_idx_on s12, gpr_idx(SRC0)
	v_mov_b32_e32 v89, v22
	s_set_gpr_idx_off
	s_add_i32 s14, s11, -11
	s_set_gpr_idx_on s13, gpr_idx(SRC0)
	v_mov_b32_e32 v88, v22
	s_set_gpr_idx_off
	ds_read2_b64 v[80:83], v94 offset1:1
	s_add_i32 s15, s11, -12
	s_set_gpr_idx_on s14, gpr_idx(SRC0)
	v_mov_b32_e32 v91, v22
	s_set_gpr_idx_off
	s_add_i32 s16, s11, -9
	s_set_gpr_idx_on s15, gpr_idx(SRC0)
	v_mov_b32_e32 v90, v22
	s_set_gpr_idx_off
	;; [unrolled: 4-line block ×4, first 2 shown]
	ds_read2_b64 v[84:87], v94 offset0:2 offset1:3
	s_add_i32 s19, s11, -8
	s_waitcnt lgkmcnt(1)
	v_fmac_f64_e32 v[74:75], v[88:89], v[80:81]
	s_set_gpr_idx_on s18, gpr_idx(SRC0)
	v_mov_b32_e32 v89, v22
	s_set_gpr_idx_off
	s_add_i32 s24, s11, -5
	v_fmac_f64_e32 v[74:75], v[90:91], v[82:83]
	s_set_gpr_idx_on s19, gpr_idx(SRC0)
	v_mov_b32_e32 v88, v22
	s_set_gpr_idx_off
	s_add_i32 s25, s11, -6
	s_set_gpr_idx_on s24, gpr_idx(SRC0)
	v_mov_b32_e32 v91, v22
	s_set_gpr_idx_off
	s_add_i32 s26, s11, -3
	;; [unrolled: 4-line block ×3, first 2 shown]
	ds_read2_b64 v[80:83], v94 offset0:4 offset1:5
	s_waitcnt lgkmcnt(1)
	v_fmac_f64_e32 v[74:75], v[92:93], v[84:85]
	s_set_gpr_idx_on s26, gpr_idx(SRC0)
	v_mov_b32_e32 v93, v22
	s_set_gpr_idx_off
	s_add_i32 s28, s11, -1
	v_fmac_f64_e32 v[74:75], v[88:89], v[86:87]
	s_set_gpr_idx_on s27, gpr_idx(SRC0)
	v_mov_b32_e32 v92, v22
	s_set_gpr_idx_off
	s_add_i32 s29, s11, -2
	s_set_gpr_idx_on s28, gpr_idx(SRC0)
	v_mov_b32_e32 v89, v22
	s_set_gpr_idx_off
	s_set_gpr_idx_on s29, gpr_idx(SRC0)
	v_mov_b32_e32 v88, v22
	s_set_gpr_idx_off
	ds_read2_b64 v[84:87], v94 offset0:6 offset1:7
	s_add_u32 s4, s4, 8
	s_waitcnt lgkmcnt(1)
	v_fmac_f64_e32 v[74:75], v[90:91], v[80:81]
	s_set_gpr_idx_on s11, gpr_idx(SRC0)
	v_mov_b32_e32 v81, v23
	s_set_gpr_idx_off
	v_add_u32_e32 v76, s4, v78
	v_fmac_f64_e32 v[74:75], v[92:93], v[82:83]
	s_set_gpr_idx_on s11, gpr_idx(SRC0)
	v_mov_b32_e32 v80, v22
	s_set_gpr_idx_off
	s_addc_u32 s5, s5, 0
	s_add_i32 s10, s10, 64
	s_add_i32 s12, s4, -7
	v_cmp_eq_u32_e32 vcc, 10, v76
	s_waitcnt lgkmcnt(0)
	v_fmac_f64_e32 v[74:75], v[88:89], v[84:85]
	v_mov_b32_e32 v76, s12
	s_or_b64 s[8:9], vcc, s[8:9]
	v_fmac_f64_e32 v[74:75], v[80:81], v[86:87]
	s_andn2_b64 exec, exec, s[8:9]
	s_cbranch_execnz .LBB9_89
; %bb.90:
	s_or_b64 exec, exec, s[8:9]
.LBB9_91:
	s_or_b64 exec, exec, s[2:3]
	v_and_b32_e32 v42, 7, v77
	v_cmp_ne_u32_e32 vcc, 0, v42
	s_and_saveexec_b64 s[8:9], vcc
	s_cbranch_execz .LBB9_95
; %bb.92:
	v_mov_b32_e32 v43, 0x50
	v_lshl_add_u32 v43, v76, 3, v43
	v_mov_b32_e32 v77, 0
	s_mov_b64 s[10:11], 0
.LBB9_93:                               ; =>This Inner Loop Header: Depth=1
	v_cmp_eq_u32_e32 vcc, 1, v76
	v_add_u32_e32 v42, -1, v42
	v_cmp_eq_u32_e64 s[2:3], 2, v76
	v_cndmask_b32_e32 v46, v23, v25, vcc
	v_cndmask_b32_e32 v47, v22, v24, vcc
	v_cndmask_b32_e64 v46, v46, v27, s[2:3]
	v_cmp_eq_u32_e32 vcc, 0, v42
	v_cmp_eq_u32_e64 s[4:5], 3, v76
	v_cndmask_b32_e64 v47, v47, v26, s[2:3]
	s_or_b64 s[10:11], vcc, s[10:11]
	v_cndmask_b32_e64 v46, v46, v29, s[4:5]
	v_cmp_eq_u32_e32 vcc, 4, v76
	v_cndmask_b32_e64 v47, v47, v28, s[4:5]
	v_cmp_eq_u32_e64 s[2:3], 5, v76
	v_cndmask_b32_e32 v46, v46, v31, vcc
	v_cndmask_b32_e32 v47, v47, v30, vcc
	v_cndmask_b32_e64 v46, v46, v33, s[2:3]
	v_cmp_eq_u32_e32 vcc, 6, v76
	ds_read_b64 v[44:45], v43
	v_cndmask_b32_e64 v47, v47, v32, s[2:3]
	v_cndmask_b32_e32 v46, v46, v35, vcc
	v_cmp_eq_u32_e64 s[2:3], 7, v76
	v_cndmask_b32_e32 v47, v47, v34, vcc
	v_cmp_eq_u32_e32 vcc, 8, v76
	v_cndmask_b32_e64 v46, v46, v37, s[2:3]
	v_cmp_eq_u32_e64 s[4:5], 9, v76
	v_cndmask_b32_e32 v46, v46, v39, vcc
	v_cndmask_b32_e64 v48, v47, v36, s[2:3]
	v_cndmask_b32_e64 v47, v46, v41, s[4:5]
	v_cndmask_b32_e32 v46, v48, v38, vcc
	v_cndmask_b32_e64 v46, v46, v40, s[4:5]
	v_add_u32_e32 v43, 8, v43
	v_lshl_add_u64 v[76:77], v[76:77], 0, 1
	s_waitcnt lgkmcnt(0)
	v_fmac_f64_e32 v[74:75], v[46:47], v[44:45]
	s_andn2_b64 exec, exec, s[10:11]
	s_cbranch_execnz .LBB9_93
; %bb.94:
	s_or_b64 exec, exec, s[10:11]
.LBB9_95:
	s_or_b64 exec, exec, s[8:9]
.LBB9_96:
	s_or_b64 exec, exec, s[6:7]
	v_mov_b32_e32 v26, 0
	ds_read_b64 v[26:27], v26 offset:16
	s_waitcnt lgkmcnt(0)
	v_mul_f64 v[26:27], v[74:75], v[26:27]
.LBB9_97:
	s_or_b64 exec, exec, s[20:21]
	v_cmp_lt_u32_e64 s[2:3], 1, v0
	ds_write_b64 v79, v[24:25]
	s_waitcnt lgkmcnt(0)
	; wave barrier
	s_and_saveexec_b64 s[20:21], s[2:3]
	s_cbranch_execz .LBB9_113
; %bb.98:
	s_andn2_b64 vcc, exec, s[22:23]
	s_cbranch_vccnz .LBB9_100
; %bb.99:
	v_cmp_eq_u32_e32 vcc, 1, v0
	v_cmp_eq_u32_e64 s[4:5], 2, v0
	v_cmp_eq_u32_e64 s[6:7], 3, v0
	v_cndmask_b32_e32 v74, v23, v25, vcc
	v_cndmask_b32_e64 v74, v74, v27, s[4:5]
	v_cndmask_b32_e64 v74, v74, v29, s[6:7]
	v_cmp_eq_u32_e64 s[8:9], 4, v0
	v_cmp_eq_u32_e64 s[10:11], 5, v0
	;; [unrolled: 1-line block ×3, first 2 shown]
	v_cndmask_b32_e64 v74, v74, v31, s[8:9]
	v_cndmask_b32_e64 v74, v74, v33, s[10:11]
	;; [unrolled: 1-line block ×3, first 2 shown]
	v_cmp_eq_u32_e64 s[14:15], 7, v0
	v_cmp_eq_u32_e64 s[16:17], 8, v0
	v_cmp_eq_u32_e64 s[18:19], 9, v0
	v_cndmask_b32_e64 v74, v74, v37, s[14:15]
	v_cndmask_b32_e64 v74, v74, v39, s[16:17]
	v_cndmask_b32_e64 v75, v74, v41, s[18:19]
	v_cndmask_b32_e32 v74, v22, v24, vcc
	v_cndmask_b32_e64 v74, v74, v26, s[4:5]
	v_cndmask_b32_e64 v74, v74, v28, s[6:7]
	v_cndmask_b32_e64 v74, v74, v30, s[8:9]
	v_cndmask_b32_e64 v74, v74, v32, s[10:11]
	ds_read_b64 v[76:77], v79
	v_cndmask_b32_e64 v74, v74, v34, s[12:13]
	v_cndmask_b32_e64 v74, v74, v36, s[14:15]
	;; [unrolled: 1-line block ×4, first 2 shown]
	s_waitcnt lgkmcnt(0)
	v_mul_f64 v[74:75], v[74:75], v[76:77]
	s_cbranch_execz .LBB9_101
	s_branch .LBB9_102
.LBB9_100:
                                        ; implicit-def: $vgpr74_vgpr75
.LBB9_101:
	ds_read_b64 v[74:75], v79
.LBB9_102:
	s_and_saveexec_b64 s[6:7], s[0:1]
	s_cbranch_execz .LBB9_112
; %bb.103:
	v_add_u32_e32 v76, -3, v0
	v_add_u32_e32 v77, -2, v0
	v_cmp_lt_u32_e32 vcc, 6, v76
	v_mov_b32_e32 v76, 2
	s_and_saveexec_b64 s[0:1], vcc
	s_cbranch_execz .LBB9_107
; %bb.104:
	v_and_b32_e32 v76, -8, v77
	v_sub_u32_e32 v78, 0, v76
	s_mov_b64 s[4:5], 9
	s_movk_i32 s10, 0x60
	s_mov_b64 s[8:9], 0
.LBB9_105:                              ; =>This Inner Loop Header: Depth=1
	s_lshl_b32 s11, s4, 1
	s_add_i32 s12, s11, -13
	s_add_i32 s13, s11, -14
	s_set_gpr_idx_on s12, gpr_idx(SRC0)
	v_mov_b32_e32 v97, v22
	s_set_gpr_idx_off
	v_mov_b32_e32 v76, s10
	s_add_i32 s14, s11, -11
	s_set_gpr_idx_on s13, gpr_idx(SRC0)
	v_mov_b32_e32 v96, v22
	s_set_gpr_idx_off
	s_add_i32 s15, s11, -12
	ds_read_b128 v[80:83], v76
	ds_read_b128 v[84:87], v76 offset:16
	ds_read_b128 v[88:91], v76 offset:32
	;; [unrolled: 1-line block ×3, first 2 shown]
	s_set_gpr_idx_on s14, gpr_idx(SRC0)
	v_mov_b32_e32 v99, v22
	s_set_gpr_idx_off
	s_add_i32 s16, s11, -9
	s_set_gpr_idx_on s15, gpr_idx(SRC0)
	v_mov_b32_e32 v98, v22
	s_set_gpr_idx_off
	s_add_i32 s17, s11, -10
	;; [unrolled: 4-line block ×4, first 2 shown]
	s_waitcnt lgkmcnt(3)
	v_fmac_f64_e32 v[74:75], v[96:97], v[80:81]
	s_set_gpr_idx_on s18, gpr_idx(SRC0)
	v_mov_b32_e32 v81, v22
	s_set_gpr_idx_off
	s_add_i32 s24, s11, -5
	v_fmac_f64_e32 v[74:75], v[98:99], v[82:83]
	s_set_gpr_idx_on s19, gpr_idx(SRC0)
	v_mov_b32_e32 v80, v22
	s_set_gpr_idx_off
	s_add_i32 s25, s11, -6
	s_waitcnt lgkmcnt(2)
	v_fmac_f64_e32 v[74:75], v[100:101], v[84:85]
	s_set_gpr_idx_on s24, gpr_idx(SRC0)
	v_mov_b32_e32 v83, v22
	s_set_gpr_idx_off
	s_add_i32 s26, s11, -3
	v_fmac_f64_e32 v[74:75], v[80:81], v[86:87]
	s_set_gpr_idx_on s25, gpr_idx(SRC0)
	v_mov_b32_e32 v82, v22
	s_set_gpr_idx_off
	s_add_i32 s27, s11, -4
	s_waitcnt lgkmcnt(1)
	v_fmac_f64_e32 v[74:75], v[82:83], v[88:89]
	s_set_gpr_idx_on s26, gpr_idx(SRC0)
	v_mov_b32_e32 v81, v22
	s_set_gpr_idx_off
	s_add_i32 s28, s11, -1
	s_set_gpr_idx_on s27, gpr_idx(SRC0)
	v_mov_b32_e32 v80, v22
	s_set_gpr_idx_off
	s_add_i32 s29, s11, -2
	v_fmac_f64_e32 v[74:75], v[80:81], v[90:91]
	s_set_gpr_idx_on s28, gpr_idx(SRC0)
	v_mov_b32_e32 v81, v22
	s_set_gpr_idx_off
	s_add_u32 s4, s4, 8
	s_set_gpr_idx_on s29, gpr_idx(SRC0)
	v_mov_b32_e32 v80, v22
	s_set_gpr_idx_off
	v_add_u32_e32 v76, s4, v78
	s_waitcnt lgkmcnt(0)
	v_fmac_f64_e32 v[74:75], v[80:81], v[92:93]
	s_set_gpr_idx_on s11, gpr_idx(SRC0)
	v_mov_b32_e32 v81, v23
	s_set_gpr_idx_off
	s_addc_u32 s5, s5, 0
	s_add_i32 s10, s10, 64
	s_add_i32 s12, s4, -7
	v_cmp_eq_u32_e32 vcc, 9, v76
	s_set_gpr_idx_on s11, gpr_idx(SRC0)
	v_mov_b32_e32 v80, v22
	s_set_gpr_idx_off
	v_mov_b32_e32 v76, s12
	s_or_b64 s[8:9], vcc, s[8:9]
	v_fmac_f64_e32 v[74:75], v[80:81], v[94:95]
	s_andn2_b64 exec, exec, s[8:9]
	s_cbranch_execnz .LBB9_105
; %bb.106:
	s_or_b64 exec, exec, s[8:9]
.LBB9_107:
	s_or_b64 exec, exec, s[0:1]
	v_and_b32_e32 v42, 7, v77
	v_cmp_ne_u32_e32 vcc, 0, v42
	s_and_saveexec_b64 s[8:9], vcc
	s_cbranch_execz .LBB9_111
; %bb.108:
	v_mov_b32_e32 v43, 0x50
	v_lshl_add_u32 v43, v76, 3, v43
	v_mov_b32_e32 v77, 0
	s_mov_b64 s[10:11], 0
.LBB9_109:                              ; =>This Inner Loop Header: Depth=1
	v_cmp_eq_u32_e32 vcc, 1, v76
	v_add_u32_e32 v42, -1, v42
	v_cmp_eq_u32_e64 s[0:1], 2, v76
	v_cndmask_b32_e32 v46, v23, v25, vcc
	v_cndmask_b32_e32 v47, v22, v24, vcc
	v_cndmask_b32_e64 v46, v46, v27, s[0:1]
	v_cmp_eq_u32_e32 vcc, 0, v42
	v_cmp_eq_u32_e64 s[4:5], 3, v76
	v_cndmask_b32_e64 v47, v47, v26, s[0:1]
	s_or_b64 s[10:11], vcc, s[10:11]
	v_cndmask_b32_e64 v46, v46, v29, s[4:5]
	v_cmp_eq_u32_e32 vcc, 4, v76
	v_cndmask_b32_e64 v47, v47, v28, s[4:5]
	v_cmp_eq_u32_e64 s[0:1], 5, v76
	v_cndmask_b32_e32 v46, v46, v31, vcc
	v_cndmask_b32_e32 v47, v47, v30, vcc
	v_cndmask_b32_e64 v46, v46, v33, s[0:1]
	v_cmp_eq_u32_e32 vcc, 6, v76
	ds_read_b64 v[44:45], v43
	v_cndmask_b32_e64 v47, v47, v32, s[0:1]
	v_cndmask_b32_e32 v46, v46, v35, vcc
	v_cmp_eq_u32_e64 s[0:1], 7, v76
	v_cndmask_b32_e32 v47, v47, v34, vcc
	v_cmp_eq_u32_e32 vcc, 8, v76
	v_cndmask_b32_e64 v46, v46, v37, s[0:1]
	v_cmp_eq_u32_e64 s[4:5], 9, v76
	v_cndmask_b32_e32 v46, v46, v39, vcc
	v_cndmask_b32_e64 v48, v47, v36, s[0:1]
	v_cndmask_b32_e64 v47, v46, v41, s[4:5]
	v_cndmask_b32_e32 v46, v48, v38, vcc
	v_cndmask_b32_e64 v46, v46, v40, s[4:5]
	v_add_u32_e32 v43, 8, v43
	v_lshl_add_u64 v[76:77], v[76:77], 0, 1
	s_waitcnt lgkmcnt(0)
	v_fmac_f64_e32 v[74:75], v[46:47], v[44:45]
	s_andn2_b64 exec, exec, s[10:11]
	s_cbranch_execnz .LBB9_109
; %bb.110:
	s_or_b64 exec, exec, s[10:11]
.LBB9_111:
	s_or_b64 exec, exec, s[8:9]
.LBB9_112:
	s_or_b64 exec, exec, s[6:7]
	v_mov_b32_e32 v24, 0
	ds_read_b64 v[24:25], v24 offset:8
	s_waitcnt lgkmcnt(0)
	v_mul_f64 v[24:25], v[74:75], v[24:25]
.LBB9_113:
	s_or_b64 exec, exec, s[20:21]
	v_cmp_ne_u32_e32 vcc, 0, v0
	ds_write_b64 v79, v[22:23]
	s_waitcnt lgkmcnt(0)
	; wave barrier
	s_and_saveexec_b64 s[18:19], vcc
	s_cbranch_execz .LBB9_129
; %bb.114:
	s_andn2_b64 vcc, exec, s[22:23]
	s_cbranch_vccnz .LBB9_116
; %bb.115:
	v_cmp_eq_u32_e32 vcc, 1, v0
	v_cmp_eq_u32_e64 s[0:1], 2, v0
	v_cmp_eq_u32_e64 s[4:5], 3, v0
	v_cndmask_b32_e32 v74, v23, v25, vcc
	v_cndmask_b32_e64 v74, v74, v27, s[0:1]
	v_cndmask_b32_e64 v74, v74, v29, s[4:5]
	v_cmp_eq_u32_e64 s[6:7], 4, v0
	v_cmp_eq_u32_e64 s[8:9], 5, v0
	;; [unrolled: 1-line block ×3, first 2 shown]
	v_cndmask_b32_e64 v74, v74, v31, s[6:7]
	v_cndmask_b32_e64 v74, v74, v33, s[8:9]
	;; [unrolled: 1-line block ×3, first 2 shown]
	v_cmp_eq_u32_e64 s[12:13], 7, v0
	v_cmp_eq_u32_e64 s[14:15], 8, v0
	;; [unrolled: 1-line block ×3, first 2 shown]
	v_cndmask_b32_e64 v74, v74, v37, s[12:13]
	v_cndmask_b32_e64 v74, v74, v39, s[14:15]
	;; [unrolled: 1-line block ×3, first 2 shown]
	v_cndmask_b32_e32 v74, v22, v24, vcc
	v_cndmask_b32_e64 v74, v74, v26, s[0:1]
	v_cndmask_b32_e64 v74, v74, v28, s[4:5]
	;; [unrolled: 1-line block ×4, first 2 shown]
	ds_read_b64 v[76:77], v79
	v_cndmask_b32_e64 v74, v74, v34, s[10:11]
	v_cndmask_b32_e64 v74, v74, v36, s[12:13]
	;; [unrolled: 1-line block ×4, first 2 shown]
	s_waitcnt lgkmcnt(0)
	v_mul_f64 v[74:75], v[74:75], v[76:77]
	s_cbranch_execz .LBB9_117
	s_branch .LBB9_118
.LBB9_116:
                                        ; implicit-def: $vgpr74_vgpr75
.LBB9_117:
	ds_read_b64 v[74:75], v79
.LBB9_118:
	s_and_saveexec_b64 s[4:5], s[2:3]
	s_cbranch_execz .LBB9_128
; %bb.119:
	v_add_u32_e32 v76, -2, v0
	v_add_u32_e32 v77, -1, v0
	v_cmp_lt_u32_e32 vcc, 6, v76
	v_mov_b32_e32 v76, 1
	s_and_saveexec_b64 s[0:1], vcc
	s_cbranch_execz .LBB9_123
; %bb.120:
	v_and_b32_e32 v76, -8, v77
	v_sub_u32_e32 v78, 0, v76
	s_mov_b64 s[2:3], 8
	s_movk_i32 s8, 0x58
	s_mov_b64 s[6:7], 0
.LBB9_121:                              ; =>This Inner Loop Header: Depth=1
	s_lshl_b32 s9, s2, 1
	s_add_i32 s10, s9, -13
	v_mov_b32_e32 v94, s8
	s_add_i32 s11, s9, -14
	s_set_gpr_idx_on s10, gpr_idx(SRC0)
	v_mov_b32_e32 v89, v22
	s_set_gpr_idx_off
	s_add_i32 s12, s9, -11
	s_set_gpr_idx_on s11, gpr_idx(SRC0)
	v_mov_b32_e32 v88, v22
	s_set_gpr_idx_off
	ds_read2_b64 v[80:83], v94 offset1:1
	s_add_i32 s13, s9, -12
	s_set_gpr_idx_on s12, gpr_idx(SRC0)
	v_mov_b32_e32 v91, v22
	s_set_gpr_idx_off
	s_add_i32 s14, s9, -9
	s_set_gpr_idx_on s13, gpr_idx(SRC0)
	v_mov_b32_e32 v90, v22
	s_set_gpr_idx_off
	s_add_i32 s15, s9, -10
	s_set_gpr_idx_on s14, gpr_idx(SRC0)
	v_mov_b32_e32 v93, v22
	s_set_gpr_idx_off
	s_add_i32 s16, s9, -7
	s_set_gpr_idx_on s15, gpr_idx(SRC0)
	v_mov_b32_e32 v92, v22
	s_set_gpr_idx_off
	ds_read2_b64 v[84:87], v94 offset0:2 offset1:3
	s_add_i32 s17, s9, -8
	s_waitcnt lgkmcnt(1)
	v_fmac_f64_e32 v[74:75], v[88:89], v[80:81]
	s_set_gpr_idx_on s16, gpr_idx(SRC0)
	v_mov_b32_e32 v89, v22
	s_set_gpr_idx_off
	s_add_i32 s20, s9, -5
	v_fmac_f64_e32 v[74:75], v[90:91], v[82:83]
	s_set_gpr_idx_on s17, gpr_idx(SRC0)
	v_mov_b32_e32 v88, v22
	s_set_gpr_idx_off
	s_add_i32 s21, s9, -6
	s_set_gpr_idx_on s20, gpr_idx(SRC0)
	v_mov_b32_e32 v91, v22
	s_set_gpr_idx_off
	s_add_i32 s24, s9, -3
	;; [unrolled: 4-line block ×3, first 2 shown]
	ds_read2_b64 v[80:83], v94 offset0:4 offset1:5
	s_waitcnt lgkmcnt(1)
	v_fmac_f64_e32 v[74:75], v[92:93], v[84:85]
	s_set_gpr_idx_on s24, gpr_idx(SRC0)
	v_mov_b32_e32 v93, v22
	s_set_gpr_idx_off
	s_add_i32 s26, s9, -1
	v_fmac_f64_e32 v[74:75], v[88:89], v[86:87]
	s_set_gpr_idx_on s25, gpr_idx(SRC0)
	v_mov_b32_e32 v92, v22
	s_set_gpr_idx_off
	s_add_i32 s27, s9, -2
	s_set_gpr_idx_on s26, gpr_idx(SRC0)
	v_mov_b32_e32 v89, v22
	s_set_gpr_idx_off
	s_set_gpr_idx_on s27, gpr_idx(SRC0)
	v_mov_b32_e32 v88, v22
	s_set_gpr_idx_off
	ds_read2_b64 v[84:87], v94 offset0:6 offset1:7
	s_add_u32 s2, s2, 8
	s_waitcnt lgkmcnt(1)
	v_fmac_f64_e32 v[74:75], v[90:91], v[80:81]
	s_set_gpr_idx_on s9, gpr_idx(SRC0)
	v_mov_b32_e32 v81, v23
	s_set_gpr_idx_off
	v_add_u32_e32 v76, s2, v78
	v_fmac_f64_e32 v[74:75], v[92:93], v[82:83]
	s_set_gpr_idx_on s9, gpr_idx(SRC0)
	v_mov_b32_e32 v80, v22
	s_set_gpr_idx_off
	s_addc_u32 s3, s3, 0
	s_add_i32 s8, s8, 64
	s_add_i32 s10, s2, -7
	v_cmp_eq_u32_e32 vcc, 8, v76
	s_waitcnt lgkmcnt(0)
	v_fmac_f64_e32 v[74:75], v[88:89], v[84:85]
	v_mov_b32_e32 v76, s10
	s_or_b64 s[6:7], vcc, s[6:7]
	v_fmac_f64_e32 v[74:75], v[80:81], v[86:87]
	s_andn2_b64 exec, exec, s[6:7]
	s_cbranch_execnz .LBB9_121
; %bb.122:
	s_or_b64 exec, exec, s[6:7]
.LBB9_123:
	s_or_b64 exec, exec, s[0:1]
	v_and_b32_e32 v42, 7, v77
	v_cmp_ne_u32_e32 vcc, 0, v42
	s_and_saveexec_b64 s[6:7], vcc
	s_cbranch_execz .LBB9_127
; %bb.124:
	v_mov_b32_e32 v43, 0x50
	v_lshl_add_u32 v43, v76, 3, v43
	v_mov_b32_e32 v77, 0
	s_mov_b64 s[8:9], 0
.LBB9_125:                              ; =>This Inner Loop Header: Depth=1
	v_cmp_eq_u32_e32 vcc, 1, v76
	v_add_u32_e32 v42, -1, v42
	v_cmp_eq_u32_e64 s[0:1], 2, v76
	v_cndmask_b32_e32 v46, v23, v25, vcc
	v_cndmask_b32_e32 v47, v22, v24, vcc
	v_cndmask_b32_e64 v46, v46, v27, s[0:1]
	v_cmp_eq_u32_e32 vcc, 0, v42
	v_cmp_eq_u32_e64 s[2:3], 3, v76
	v_cndmask_b32_e64 v47, v47, v26, s[0:1]
	s_or_b64 s[8:9], vcc, s[8:9]
	v_cndmask_b32_e64 v46, v46, v29, s[2:3]
	v_cmp_eq_u32_e32 vcc, 4, v76
	v_cndmask_b32_e64 v47, v47, v28, s[2:3]
	v_cmp_eq_u32_e64 s[0:1], 5, v76
	v_cndmask_b32_e32 v46, v46, v31, vcc
	v_cndmask_b32_e32 v47, v47, v30, vcc
	v_cndmask_b32_e64 v46, v46, v33, s[0:1]
	v_cmp_eq_u32_e32 vcc, 6, v76
	ds_read_b64 v[44:45], v43
	v_cndmask_b32_e64 v47, v47, v32, s[0:1]
	v_cndmask_b32_e32 v46, v46, v35, vcc
	v_cmp_eq_u32_e64 s[0:1], 7, v76
	v_cndmask_b32_e32 v47, v47, v34, vcc
	v_cmp_eq_u32_e32 vcc, 8, v76
	v_cndmask_b32_e64 v46, v46, v37, s[0:1]
	v_cmp_eq_u32_e64 s[2:3], 9, v76
	v_cndmask_b32_e32 v46, v46, v39, vcc
	v_cndmask_b32_e64 v48, v47, v36, s[0:1]
	v_cndmask_b32_e64 v47, v46, v41, s[2:3]
	v_cndmask_b32_e32 v46, v48, v38, vcc
	v_cndmask_b32_e64 v46, v46, v40, s[2:3]
	v_add_u32_e32 v43, 8, v43
	v_lshl_add_u64 v[76:77], v[76:77], 0, 1
	s_waitcnt lgkmcnt(0)
	v_fmac_f64_e32 v[74:75], v[46:47], v[44:45]
	s_andn2_b64 exec, exec, s[8:9]
	s_cbranch_execnz .LBB9_125
; %bb.126:
	s_or_b64 exec, exec, s[8:9]
.LBB9_127:
	s_or_b64 exec, exec, s[6:7]
.LBB9_128:
	s_or_b64 exec, exec, s[4:5]
	v_mov_b32_e32 v22, 0
	ds_read_b64 v[22:23], v22
	s_waitcnt lgkmcnt(0)
	v_mul_f64 v[22:23], v[74:75], v[22:23]
.LBB9_129:
	s_or_b64 exec, exec, s[18:19]
	s_branch .LBB9_223
.LBB9_130:
	v_cmp_eq_u32_e64 s[0:1], 0, v0
	s_waitcnt vmcnt(9)
	ds_write_b64 v79, v[4:5]
	s_waitcnt lgkmcnt(0)
	; wave barrier
	s_and_saveexec_b64 s[18:19], s[0:1]
	s_cbranch_execz .LBB9_136
; %bb.131:
	s_and_b64 vcc, exec, s[22:23]
	s_cbranch_vccz .LBB9_133
; %bb.132:
	v_cmp_eq_u32_e32 vcc, 1, v0
	v_cmp_eq_u32_e64 s[2:3], 2, v0
	v_cmp_eq_u32_e64 s[4:5], 3, v0
	s_waitcnt vmcnt(1)
	v_cndmask_b32_e32 v5, v3, v5, vcc
	v_cndmask_b32_e32 v4, v2, v4, vcc
	v_cndmask_b32_e64 v5, v5, v7, s[2:3]
	v_cndmask_b32_e64 v4, v4, v6, s[2:3]
	;; [unrolled: 1-line block ×3, first 2 shown]
	v_cmp_eq_u32_e64 s[6:7], 4, v0
	v_cndmask_b32_e64 v4, v4, v8, s[4:5]
	v_cmp_eq_u32_e64 s[8:9], 5, v0
	v_cndmask_b32_e64 v5, v5, v11, s[6:7]
	v_cndmask_b32_e64 v4, v4, v10, s[6:7]
	;; [unrolled: 1-line block ×3, first 2 shown]
	v_cmp_eq_u32_e64 s[10:11], 6, v0
	v_cndmask_b32_e64 v4, v4, v12, s[8:9]
	ds_read_b64 v[22:23], v79
	v_cndmask_b32_e64 v5, v5, v15, s[10:11]
	v_cmp_eq_u32_e64 s[12:13], 7, v0
	v_cndmask_b32_e64 v4, v4, v14, s[10:11]
	v_cmp_eq_u32_e64 s[14:15], 8, v0
	v_cndmask_b32_e64 v5, v5, v17, s[12:13]
	v_cndmask_b32_e64 v4, v4, v16, s[12:13]
	;; [unrolled: 1-line block ×3, first 2 shown]
	v_cmp_eq_u32_e64 s[16:17], 9, v0
	v_cndmask_b32_e64 v4, v4, v18, s[14:15]
	s_waitcnt vmcnt(0)
	v_cndmask_b32_e64 v5, v5, v21, s[16:17]
	v_cndmask_b32_e64 v4, v4, v20, s[16:17]
	s_waitcnt lgkmcnt(0)
	v_mul_f64 v[4:5], v[4:5], v[22:23]
	s_cbranch_execz .LBB9_134
	s_branch .LBB9_135
.LBB9_133:
                                        ; implicit-def: $vgpr4_vgpr5
.LBB9_134:
	ds_read_b64 v[4:5], v79
.LBB9_135:
	v_mov_b32_e32 v22, 0
	ds_read_b64 v[22:23], v22 offset:8
	s_waitcnt lgkmcnt(0)
	v_mul_f64 v[4:5], v[4:5], v[22:23]
.LBB9_136:
	s_or_b64 exec, exec, s[18:19]
	v_cndmask_b32_e64 v22, 0, 1, s[22:23]
	v_cmp_gt_u32_e64 s[2:3], 2, v0
	v_cmp_ne_u32_e64 s[4:5], 1, v22
	s_waitcnt vmcnt(8)
	ds_write_b64 v79, v[6:7]
	s_waitcnt lgkmcnt(0)
	; wave barrier
	s_and_saveexec_b64 s[22:23], s[2:3]
	s_cbranch_execz .LBB9_142
; %bb.137:
	s_and_b64 vcc, exec, s[4:5]
	s_cbranch_vccnz .LBB9_139
; %bb.138:
	v_cmp_eq_u32_e32 vcc, 1, v0
	v_cmp_eq_u32_e64 s[6:7], 2, v0
	v_cmp_eq_u32_e64 s[8:9], 3, v0
	s_waitcnt vmcnt(1)
	v_cndmask_b32_e32 v22, v3, v5, vcc
	v_cndmask_b32_e64 v7, v22, v7, s[6:7]
	v_cndmask_b32_e32 v22, v2, v4, vcc
	v_cndmask_b32_e64 v6, v22, v6, s[6:7]
	v_cndmask_b32_e64 v7, v7, v9, s[8:9]
	v_cmp_eq_u32_e64 s[10:11], 4, v0
	v_cndmask_b32_e64 v6, v6, v8, s[8:9]
	v_cmp_eq_u32_e64 s[12:13], 5, v0
	v_cndmask_b32_e64 v7, v7, v11, s[10:11]
	v_cndmask_b32_e64 v6, v6, v10, s[10:11]
	;; [unrolled: 1-line block ×3, first 2 shown]
	v_cmp_eq_u32_e64 s[14:15], 6, v0
	v_cndmask_b32_e64 v6, v6, v12, s[12:13]
	ds_read_b64 v[22:23], v79
	v_cndmask_b32_e64 v7, v7, v15, s[14:15]
	v_cmp_eq_u32_e64 s[16:17], 7, v0
	v_cndmask_b32_e64 v6, v6, v14, s[14:15]
	v_cmp_eq_u32_e64 s[18:19], 8, v0
	v_cndmask_b32_e64 v7, v7, v17, s[16:17]
	v_cndmask_b32_e64 v6, v6, v16, s[16:17]
	;; [unrolled: 1-line block ×3, first 2 shown]
	v_cmp_eq_u32_e64 s[20:21], 9, v0
	v_cndmask_b32_e64 v6, v6, v18, s[18:19]
	s_waitcnt vmcnt(0)
	v_cndmask_b32_e64 v7, v7, v21, s[20:21]
	v_cndmask_b32_e64 v6, v6, v20, s[20:21]
	s_waitcnt lgkmcnt(0)
	v_mul_f64 v[6:7], v[6:7], v[22:23]
	s_cbranch_execz .LBB9_140
	s_branch .LBB9_141
.LBB9_139:
                                        ; implicit-def: $vgpr6_vgpr7
.LBB9_140:
	ds_read_b64 v[6:7], v79
.LBB9_141:
	v_mov_b32_e32 v22, 0
	ds_read2_b64 v[22:25], v22 offset0:2 offset1:11
	s_waitcnt lgkmcnt(0)
	v_fma_f64 v[24:25], v[4:5], v[24:25], v[6:7]
	v_cndmask_b32_e64 v7, v7, v25, s[0:1]
	v_cndmask_b32_e64 v6, v6, v24, s[0:1]
	v_mul_f64 v[6:7], v[6:7], v[22:23]
.LBB9_142:
	s_or_b64 exec, exec, s[22:23]
	v_add_u32_e32 v26, 1, v0
	v_cmp_gt_u32_e32 vcc, 3, v0
	s_waitcnt vmcnt(7)
	ds_write_b64 v79, v[8:9]
	s_waitcnt lgkmcnt(0)
	; wave barrier
	s_and_saveexec_b64 s[22:23], vcc
	s_cbranch_execz .LBB9_150
; %bb.143:
	s_and_b64 vcc, exec, s[4:5]
	s_cbranch_vccnz .LBB9_145
; %bb.144:
	v_cmp_eq_u32_e32 vcc, 1, v0
	v_cmp_eq_u32_e64 s[6:7], 2, v0
	v_cmp_eq_u32_e64 s[8:9], 3, v0
	s_waitcnt vmcnt(1)
	v_cndmask_b32_e32 v22, v3, v5, vcc
	v_cndmask_b32_e64 v22, v22, v7, s[6:7]
	v_cndmask_b32_e64 v22, v22, v9, s[8:9]
	v_cmp_eq_u32_e64 s[10:11], 4, v0
	v_cmp_eq_u32_e64 s[12:13], 5, v0
	;; [unrolled: 1-line block ×3, first 2 shown]
	v_cndmask_b32_e64 v22, v22, v11, s[10:11]
	v_cndmask_b32_e64 v22, v22, v13, s[12:13]
	;; [unrolled: 1-line block ×3, first 2 shown]
	v_cmp_eq_u32_e64 s[16:17], 7, v0
	v_cmp_eq_u32_e64 s[18:19], 8, v0
	;; [unrolled: 1-line block ×3, first 2 shown]
	v_cndmask_b32_e64 v22, v22, v17, s[16:17]
	v_cndmask_b32_e64 v22, v22, v19, s[18:19]
	s_waitcnt vmcnt(0)
	v_cndmask_b32_e64 v23, v22, v21, s[20:21]
	v_cndmask_b32_e32 v22, v2, v4, vcc
	v_cndmask_b32_e64 v22, v22, v6, s[6:7]
	v_cndmask_b32_e64 v22, v22, v8, s[8:9]
	;; [unrolled: 1-line block ×4, first 2 shown]
	ds_read_b64 v[24:25], v79
	v_cndmask_b32_e64 v22, v22, v14, s[14:15]
	v_cndmask_b32_e64 v22, v22, v16, s[16:17]
	;; [unrolled: 1-line block ×4, first 2 shown]
	s_waitcnt lgkmcnt(0)
	v_mul_f64 v[22:23], v[22:23], v[24:25]
	s_cbranch_execz .LBB9_146
	s_branch .LBB9_147
.LBB9_145:
                                        ; implicit-def: $vgpr22_vgpr23
.LBB9_146:
	ds_read_b64 v[22:23], v79
.LBB9_147:
	v_cmp_ne_u32_e32 vcc, 2, v0
	s_and_saveexec_b64 s[24:25], vcc
	s_cbranch_execz .LBB9_149
; %bb.148:
	v_cmp_eq_u32_e32 vcc, 1, v26
	v_cmp_eq_u32_e64 s[6:7], 2, v26
	v_cmp_eq_u32_e64 s[8:9], 3, v26
	s_waitcnt vmcnt(1)
	v_cndmask_b32_e32 v24, v3, v5, vcc
	v_cndmask_b32_e64 v24, v24, v7, s[6:7]
	v_cndmask_b32_e64 v9, v24, v9, s[8:9]
	v_cndmask_b32_e32 v24, v2, v4, vcc
	v_cndmask_b32_e64 v24, v24, v6, s[6:7]
	v_cmp_eq_u32_e64 s[10:11], 4, v26
	v_cndmask_b32_e64 v8, v24, v8, s[8:9]
	v_cmp_eq_u32_e64 s[12:13], 5, v26
	v_cndmask_b32_e64 v9, v9, v11, s[10:11]
	v_cndmask_b32_e64 v8, v8, v10, s[10:11]
	;; [unrolled: 1-line block ×3, first 2 shown]
	v_cmp_eq_u32_e64 s[14:15], 6, v26
	v_cndmask_b32_e64 v8, v8, v12, s[12:13]
	v_cmp_eq_u32_e64 s[16:17], 7, v26
	v_cndmask_b32_e64 v9, v9, v15, s[14:15]
	v_cndmask_b32_e64 v8, v8, v14, s[14:15]
	v_mov_b32_e32 v27, 0
	ds_read_b64 v[24:25], v79 offset:8
	ds_read_b64 v[28:29], v27 offset:96
	v_cndmask_b32_e64 v9, v9, v17, s[16:17]
	v_cmp_eq_u32_e64 s[18:19], 8, v26
	v_cndmask_b32_e64 v8, v8, v16, s[16:17]
	v_cmp_eq_u32_e64 s[20:21], 9, v26
	v_cndmask_b32_e64 v9, v9, v19, s[18:19]
	v_cndmask_b32_e64 v8, v8, v18, s[18:19]
	s_waitcnt vmcnt(0)
	v_cndmask_b32_e64 v9, v9, v21, s[20:21]
	v_cndmask_b32_e64 v8, v8, v20, s[20:21]
	s_waitcnt lgkmcnt(1)
	v_fmac_f64_e32 v[22:23], v[8:9], v[24:25]
	s_waitcnt lgkmcnt(0)
	v_fma_f64 v[8:9], v[6:7], v[28:29], v[22:23]
	v_cndmask_b32_e64 v23, v23, v9, s[0:1]
	v_cndmask_b32_e64 v22, v22, v8, s[0:1]
.LBB9_149:
	s_or_b64 exec, exec, s[24:25]
	v_mov_b32_e32 v8, 0
	ds_read_b64 v[8:9], v8 offset:24
	s_waitcnt lgkmcnt(0)
	v_mul_f64 v[8:9], v[22:23], v[8:9]
.LBB9_150:
	s_or_b64 exec, exec, s[22:23]
	v_cmp_gt_u32_e64 s[6:7], 4, v0
	s_waitcnt vmcnt(6)
	ds_write_b64 v79, v[10:11]
	s_waitcnt lgkmcnt(0)
	; wave barrier
	s_and_saveexec_b64 s[24:25], s[6:7]
	s_cbranch_execz .LBB9_160
; %bb.151:
	s_and_b64 vcc, exec, s[4:5]
	s_cbranch_vccnz .LBB9_153
; %bb.152:
	v_cmp_eq_u32_e32 vcc, 1, v0
	v_cmp_eq_u32_e64 s[8:9], 2, v0
	v_cmp_eq_u32_e64 s[10:11], 3, v0
	s_waitcnt vmcnt(1)
	v_cndmask_b32_e32 v22, v3, v5, vcc
	v_cndmask_b32_e64 v22, v22, v7, s[8:9]
	v_cndmask_b32_e64 v22, v22, v9, s[10:11]
	v_cmp_eq_u32_e64 s[12:13], 4, v0
	v_cmp_eq_u32_e64 s[14:15], 5, v0
	;; [unrolled: 1-line block ×3, first 2 shown]
	v_cndmask_b32_e64 v22, v22, v11, s[12:13]
	v_cndmask_b32_e64 v22, v22, v13, s[14:15]
	;; [unrolled: 1-line block ×3, first 2 shown]
	v_cmp_eq_u32_e64 s[18:19], 7, v0
	v_cmp_eq_u32_e64 s[20:21], 8, v0
	;; [unrolled: 1-line block ×3, first 2 shown]
	v_cndmask_b32_e64 v22, v22, v17, s[18:19]
	v_cndmask_b32_e64 v22, v22, v19, s[20:21]
	s_waitcnt vmcnt(0)
	v_cndmask_b32_e64 v23, v22, v21, s[22:23]
	v_cndmask_b32_e32 v22, v2, v4, vcc
	v_cndmask_b32_e64 v22, v22, v6, s[8:9]
	v_cndmask_b32_e64 v22, v22, v8, s[10:11]
	v_cndmask_b32_e64 v22, v22, v10, s[12:13]
	v_cndmask_b32_e64 v22, v22, v12, s[14:15]
	ds_read_b64 v[24:25], v79
	v_cndmask_b32_e64 v22, v22, v14, s[16:17]
	v_cndmask_b32_e64 v22, v22, v16, s[18:19]
	;; [unrolled: 1-line block ×4, first 2 shown]
	s_waitcnt lgkmcnt(0)
	v_mul_f64 v[22:23], v[22:23], v[24:25]
	s_cbranch_execz .LBB9_154
	s_branch .LBB9_155
.LBB9_153:
                                        ; implicit-def: $vgpr22_vgpr23
.LBB9_154:
	ds_read_b64 v[22:23], v79
.LBB9_155:
	v_cmp_ne_u32_e32 vcc, 3, v0
	s_and_saveexec_b64 s[12:13], vcc
	s_cbranch_execz .LBB9_159
; %bb.156:
	v_mov_b32_e32 v24, 0x58
	v_lshl_add_u32 v27, v0, 3, v24
	s_mov_b64 s[14:15], 0
	v_mov_b64_e32 v[24:25], v[0:1]
.LBB9_157:                              ; =>This Inner Loop Header: Depth=1
	v_lshl_add_u64 v[24:25], v[24:25], 0, 1
	v_cmp_eq_u32_e32 vcc, 1, v24
	v_cmp_eq_u32_e64 s[10:11], 2, v24
	v_cmp_lt_u32_e64 s[8:9], 2, v24
	s_waitcnt vmcnt(1)
	v_cndmask_b32_e32 v30, v3, v5, vcc
	v_cndmask_b32_e64 v30, v30, v7, s[10:11]
	v_cndmask_b32_e32 v31, v2, v4, vcc
	v_cmp_eq_u32_e32 vcc, 3, v24
	s_or_b64 s[14:15], s[8:9], s[14:15]
	v_cndmask_b32_e64 v31, v31, v6, s[10:11]
	v_cndmask_b32_e32 v30, v30, v9, vcc
	v_cmp_eq_u32_e64 s[8:9], 4, v24
	v_cndmask_b32_e32 v31, v31, v8, vcc
	v_cmp_eq_u32_e32 vcc, 5, v24
	v_cndmask_b32_e64 v30, v30, v11, s[8:9]
	v_cndmask_b32_e64 v31, v31, v10, s[8:9]
	v_cndmask_b32_e32 v30, v30, v13, vcc
	v_cmp_eq_u32_e64 s[8:9], 6, v24
	ds_read_b64 v[28:29], v27
	v_cndmask_b32_e32 v31, v31, v12, vcc
	v_cndmask_b32_e64 v30, v30, v15, s[8:9]
	v_cmp_eq_u32_e32 vcc, 7, v24
	v_cndmask_b32_e64 v31, v31, v14, s[8:9]
	v_cmp_eq_u32_e64 s[8:9], 8, v24
	v_cndmask_b32_e32 v30, v30, v17, vcc
	v_cndmask_b32_e32 v32, v31, v16, vcc
	v_cndmask_b32_e64 v30, v30, v19, s[8:9]
	v_cmp_eq_u32_e32 vcc, 9, v24
	v_add_u32_e32 v27, 8, v27
	s_waitcnt vmcnt(0)
	v_cndmask_b32_e32 v31, v30, v21, vcc
	v_cndmask_b32_e64 v30, v32, v18, s[8:9]
	v_cndmask_b32_e32 v30, v30, v20, vcc
	s_waitcnt lgkmcnt(0)
	v_fmac_f64_e32 v[22:23], v[30:31], v[28:29]
	s_andn2_b64 exec, exec, s[14:15]
	s_cbranch_execnz .LBB9_157
; %bb.158:
	s_or_b64 exec, exec, s[14:15]
.LBB9_159:
	s_or_b64 exec, exec, s[12:13]
	v_mov_b32_e32 v10, 0
	ds_read_b64 v[10:11], v10 offset:32
	s_waitcnt lgkmcnt(0)
	v_mul_f64 v[10:11], v[22:23], v[10:11]
.LBB9_160:
	s_or_b64 exec, exec, s[24:25]
	v_cmp_gt_u32_e32 vcc, 5, v0
	s_waitcnt vmcnt(5)
	ds_write_b64 v79, v[12:13]
	s_waitcnt lgkmcnt(0)
	; wave barrier
	s_and_saveexec_b64 s[24:25], vcc
	s_cbranch_execz .LBB9_170
; %bb.161:
	s_and_b64 vcc, exec, s[4:5]
	s_cbranch_vccnz .LBB9_163
; %bb.162:
	v_cmp_eq_u32_e32 vcc, 1, v0
	v_cmp_eq_u32_e64 s[8:9], 2, v0
	v_cmp_eq_u32_e64 s[10:11], 3, v0
	s_waitcnt vmcnt(1)
	v_cndmask_b32_e32 v22, v3, v5, vcc
	v_cndmask_b32_e64 v22, v22, v7, s[8:9]
	v_cndmask_b32_e64 v22, v22, v9, s[10:11]
	v_cmp_eq_u32_e64 s[12:13], 4, v0
	v_cmp_eq_u32_e64 s[14:15], 5, v0
	;; [unrolled: 1-line block ×3, first 2 shown]
	v_cndmask_b32_e64 v22, v22, v11, s[12:13]
	v_cndmask_b32_e64 v22, v22, v13, s[14:15]
	;; [unrolled: 1-line block ×3, first 2 shown]
	v_cmp_eq_u32_e64 s[18:19], 7, v0
	v_cmp_eq_u32_e64 s[20:21], 8, v0
	;; [unrolled: 1-line block ×3, first 2 shown]
	v_cndmask_b32_e64 v22, v22, v17, s[18:19]
	v_cndmask_b32_e64 v22, v22, v19, s[20:21]
	s_waitcnt vmcnt(0)
	v_cndmask_b32_e64 v23, v22, v21, s[22:23]
	v_cndmask_b32_e32 v22, v2, v4, vcc
	v_cndmask_b32_e64 v22, v22, v6, s[8:9]
	v_cndmask_b32_e64 v22, v22, v8, s[10:11]
	v_cndmask_b32_e64 v22, v22, v10, s[12:13]
	v_cndmask_b32_e64 v22, v22, v12, s[14:15]
	ds_read_b64 v[24:25], v79
	v_cndmask_b32_e64 v22, v22, v14, s[16:17]
	v_cndmask_b32_e64 v22, v22, v16, s[18:19]
	;; [unrolled: 1-line block ×4, first 2 shown]
	s_waitcnt lgkmcnt(0)
	v_mul_f64 v[22:23], v[22:23], v[24:25]
	s_cbranch_execz .LBB9_164
	s_branch .LBB9_165
.LBB9_163:
                                        ; implicit-def: $vgpr22_vgpr23
.LBB9_164:
	ds_read_b64 v[22:23], v79
.LBB9_165:
	v_cmp_ne_u32_e32 vcc, 4, v0
	s_and_saveexec_b64 s[12:13], vcc
	s_cbranch_execz .LBB9_169
; %bb.166:
	v_mov_b32_e32 v24, 0x58
	v_lshl_add_u32 v27, v0, 3, v24
	s_mov_b64 s[14:15], 0
	v_mov_b64_e32 v[24:25], v[0:1]
.LBB9_167:                              ; =>This Inner Loop Header: Depth=1
	v_lshl_add_u64 v[24:25], v[24:25], 0, 1
	v_cmp_eq_u32_e32 vcc, 1, v24
	v_cmp_eq_u32_e64 s[10:11], 2, v24
	v_cmp_lt_u32_e64 s[8:9], 3, v24
	s_waitcnt vmcnt(1)
	v_cndmask_b32_e32 v30, v3, v5, vcc
	v_cndmask_b32_e64 v30, v30, v7, s[10:11]
	v_cndmask_b32_e32 v31, v2, v4, vcc
	v_cmp_eq_u32_e32 vcc, 3, v24
	s_or_b64 s[14:15], s[8:9], s[14:15]
	v_cndmask_b32_e64 v31, v31, v6, s[10:11]
	v_cndmask_b32_e32 v30, v30, v9, vcc
	v_cmp_eq_u32_e64 s[8:9], 4, v24
	v_cndmask_b32_e32 v31, v31, v8, vcc
	v_cmp_eq_u32_e32 vcc, 5, v24
	v_cndmask_b32_e64 v30, v30, v11, s[8:9]
	v_cndmask_b32_e64 v31, v31, v10, s[8:9]
	v_cndmask_b32_e32 v30, v30, v13, vcc
	v_cmp_eq_u32_e64 s[8:9], 6, v24
	ds_read_b64 v[28:29], v27
	v_cndmask_b32_e32 v31, v31, v12, vcc
	v_cndmask_b32_e64 v30, v30, v15, s[8:9]
	v_cmp_eq_u32_e32 vcc, 7, v24
	v_cndmask_b32_e64 v31, v31, v14, s[8:9]
	v_cmp_eq_u32_e64 s[8:9], 8, v24
	v_cndmask_b32_e32 v30, v30, v17, vcc
	v_cndmask_b32_e32 v32, v31, v16, vcc
	v_cndmask_b32_e64 v30, v30, v19, s[8:9]
	v_cmp_eq_u32_e32 vcc, 9, v24
	v_add_u32_e32 v27, 8, v27
	s_waitcnt vmcnt(0)
	v_cndmask_b32_e32 v31, v30, v21, vcc
	v_cndmask_b32_e64 v30, v32, v18, s[8:9]
	v_cndmask_b32_e32 v30, v30, v20, vcc
	s_waitcnt lgkmcnt(0)
	v_fmac_f64_e32 v[22:23], v[30:31], v[28:29]
	s_andn2_b64 exec, exec, s[14:15]
	s_cbranch_execnz .LBB9_167
; %bb.168:
	s_or_b64 exec, exec, s[14:15]
.LBB9_169:
	s_or_b64 exec, exec, s[12:13]
	v_mov_b32_e32 v12, 0
	ds_read_b64 v[12:13], v12 offset:40
	s_waitcnt lgkmcnt(0)
	v_mul_f64 v[12:13], v[22:23], v[12:13]
.LBB9_170:
	s_or_b64 exec, exec, s[24:25]
	v_cmp_gt_u32_e64 s[8:9], 6, v0
	s_waitcnt vmcnt(4)
	ds_write_b64 v79, v[14:15]
	s_waitcnt lgkmcnt(0)
	; wave barrier
	s_and_saveexec_b64 s[26:27], s[8:9]
	s_cbranch_execz .LBB9_180
; %bb.171:
	s_and_b64 vcc, exec, s[4:5]
	s_cbranch_vccnz .LBB9_173
; %bb.172:
	v_cmp_eq_u32_e32 vcc, 1, v0
	v_cmp_eq_u32_e64 s[10:11], 2, v0
	v_cmp_eq_u32_e64 s[12:13], 3, v0
	s_waitcnt vmcnt(1)
	v_cndmask_b32_e32 v22, v3, v5, vcc
	v_cndmask_b32_e64 v22, v22, v7, s[10:11]
	v_cndmask_b32_e64 v22, v22, v9, s[12:13]
	v_cmp_eq_u32_e64 s[14:15], 4, v0
	v_cmp_eq_u32_e64 s[16:17], 5, v0
	;; [unrolled: 1-line block ×3, first 2 shown]
	v_cndmask_b32_e64 v22, v22, v11, s[14:15]
	v_cndmask_b32_e64 v22, v22, v13, s[16:17]
	;; [unrolled: 1-line block ×3, first 2 shown]
	v_cmp_eq_u32_e64 s[20:21], 7, v0
	v_cmp_eq_u32_e64 s[22:23], 8, v0
	;; [unrolled: 1-line block ×3, first 2 shown]
	v_cndmask_b32_e64 v22, v22, v17, s[20:21]
	v_cndmask_b32_e64 v22, v22, v19, s[22:23]
	s_waitcnt vmcnt(0)
	v_cndmask_b32_e64 v23, v22, v21, s[24:25]
	v_cndmask_b32_e32 v22, v2, v4, vcc
	v_cndmask_b32_e64 v22, v22, v6, s[10:11]
	v_cndmask_b32_e64 v22, v22, v8, s[12:13]
	;; [unrolled: 1-line block ×4, first 2 shown]
	ds_read_b64 v[24:25], v79
	v_cndmask_b32_e64 v22, v22, v14, s[18:19]
	v_cndmask_b32_e64 v22, v22, v16, s[20:21]
	;; [unrolled: 1-line block ×4, first 2 shown]
	s_waitcnt lgkmcnt(0)
	v_mul_f64 v[22:23], v[22:23], v[24:25]
	s_cbranch_execz .LBB9_174
	s_branch .LBB9_175
.LBB9_173:
                                        ; implicit-def: $vgpr22_vgpr23
.LBB9_174:
	ds_read_b64 v[22:23], v79
.LBB9_175:
	v_cmp_ne_u32_e32 vcc, 5, v0
	s_and_saveexec_b64 s[14:15], vcc
	s_cbranch_execz .LBB9_179
; %bb.176:
	v_mov_b32_e32 v24, 0x58
	v_lshl_add_u32 v27, v0, 3, v24
	s_mov_b64 s[16:17], 0
	v_mov_b64_e32 v[24:25], v[0:1]
.LBB9_177:                              ; =>This Inner Loop Header: Depth=1
	v_lshl_add_u64 v[24:25], v[24:25], 0, 1
	v_cmp_eq_u32_e32 vcc, 1, v24
	v_cmp_eq_u32_e64 s[12:13], 2, v24
	v_cmp_lt_u32_e64 s[10:11], 4, v24
	s_waitcnt vmcnt(1)
	v_cndmask_b32_e32 v30, v3, v5, vcc
	v_cndmask_b32_e64 v30, v30, v7, s[12:13]
	v_cndmask_b32_e32 v31, v2, v4, vcc
	v_cmp_eq_u32_e32 vcc, 3, v24
	s_or_b64 s[16:17], s[10:11], s[16:17]
	v_cndmask_b32_e64 v31, v31, v6, s[12:13]
	v_cndmask_b32_e32 v30, v30, v9, vcc
	v_cmp_eq_u32_e64 s[10:11], 4, v24
	v_cndmask_b32_e32 v31, v31, v8, vcc
	v_cmp_eq_u32_e32 vcc, 5, v24
	v_cndmask_b32_e64 v30, v30, v11, s[10:11]
	v_cndmask_b32_e64 v31, v31, v10, s[10:11]
	v_cndmask_b32_e32 v30, v30, v13, vcc
	v_cmp_eq_u32_e64 s[10:11], 6, v24
	ds_read_b64 v[28:29], v27
	v_cndmask_b32_e32 v31, v31, v12, vcc
	v_cndmask_b32_e64 v30, v30, v15, s[10:11]
	v_cmp_eq_u32_e32 vcc, 7, v24
	v_cndmask_b32_e64 v31, v31, v14, s[10:11]
	v_cmp_eq_u32_e64 s[10:11], 8, v24
	v_cndmask_b32_e32 v30, v30, v17, vcc
	v_cndmask_b32_e32 v32, v31, v16, vcc
	v_cndmask_b32_e64 v30, v30, v19, s[10:11]
	v_cmp_eq_u32_e32 vcc, 9, v24
	v_add_u32_e32 v27, 8, v27
	s_waitcnt vmcnt(0)
	v_cndmask_b32_e32 v31, v30, v21, vcc
	v_cndmask_b32_e64 v30, v32, v18, s[10:11]
	v_cndmask_b32_e32 v30, v30, v20, vcc
	s_waitcnt lgkmcnt(0)
	v_fmac_f64_e32 v[22:23], v[30:31], v[28:29]
	s_andn2_b64 exec, exec, s[16:17]
	s_cbranch_execnz .LBB9_177
; %bb.178:
	s_or_b64 exec, exec, s[16:17]
.LBB9_179:
	s_or_b64 exec, exec, s[14:15]
	v_mov_b32_e32 v14, 0
	ds_read_b64 v[14:15], v14 offset:48
	s_waitcnt lgkmcnt(0)
	v_mul_f64 v[14:15], v[22:23], v[14:15]
.LBB9_180:
	s_or_b64 exec, exec, s[26:27]
	v_cmp_gt_u32_e32 vcc, 7, v0
	s_waitcnt vmcnt(3)
	ds_write_b64 v79, v[16:17]
	s_waitcnt lgkmcnt(0)
	; wave barrier
	s_and_saveexec_b64 s[26:27], vcc
	s_cbranch_execz .LBB9_190
; %bb.181:
	s_and_b64 vcc, exec, s[4:5]
	s_cbranch_vccnz .LBB9_183
; %bb.182:
	v_cmp_eq_u32_e32 vcc, 1, v0
	v_cmp_eq_u32_e64 s[10:11], 2, v0
	v_cmp_eq_u32_e64 s[12:13], 3, v0
	s_waitcnt vmcnt(1)
	v_cndmask_b32_e32 v22, v3, v5, vcc
	v_cndmask_b32_e64 v22, v22, v7, s[10:11]
	v_cndmask_b32_e64 v22, v22, v9, s[12:13]
	v_cmp_eq_u32_e64 s[14:15], 4, v0
	v_cmp_eq_u32_e64 s[16:17], 5, v0
	;; [unrolled: 1-line block ×3, first 2 shown]
	v_cndmask_b32_e64 v22, v22, v11, s[14:15]
	v_cndmask_b32_e64 v22, v22, v13, s[16:17]
	;; [unrolled: 1-line block ×3, first 2 shown]
	v_cmp_eq_u32_e64 s[20:21], 7, v0
	v_cmp_eq_u32_e64 s[22:23], 8, v0
	;; [unrolled: 1-line block ×3, first 2 shown]
	v_cndmask_b32_e64 v22, v22, v17, s[20:21]
	v_cndmask_b32_e64 v22, v22, v19, s[22:23]
	s_waitcnt vmcnt(0)
	v_cndmask_b32_e64 v23, v22, v21, s[24:25]
	v_cndmask_b32_e32 v22, v2, v4, vcc
	v_cndmask_b32_e64 v22, v22, v6, s[10:11]
	v_cndmask_b32_e64 v22, v22, v8, s[12:13]
	;; [unrolled: 1-line block ×4, first 2 shown]
	ds_read_b64 v[24:25], v79
	v_cndmask_b32_e64 v22, v22, v14, s[18:19]
	v_cndmask_b32_e64 v22, v22, v16, s[20:21]
	;; [unrolled: 1-line block ×4, first 2 shown]
	s_waitcnt lgkmcnt(0)
	v_mul_f64 v[22:23], v[22:23], v[24:25]
	s_cbranch_execz .LBB9_184
	s_branch .LBB9_185
.LBB9_183:
                                        ; implicit-def: $vgpr22_vgpr23
.LBB9_184:
	ds_read_b64 v[22:23], v79
.LBB9_185:
	v_cmp_ne_u32_e32 vcc, 6, v0
	s_and_saveexec_b64 s[14:15], vcc
	s_cbranch_execz .LBB9_189
; %bb.186:
	v_mov_b32_e32 v24, 0x58
	v_lshl_add_u32 v27, v0, 3, v24
	s_mov_b64 s[16:17], 0
	v_mov_b64_e32 v[24:25], v[0:1]
.LBB9_187:                              ; =>This Inner Loop Header: Depth=1
	v_lshl_add_u64 v[24:25], v[24:25], 0, 1
	v_cmp_eq_u32_e32 vcc, 1, v24
	v_cmp_eq_u32_e64 s[12:13], 2, v24
	v_cmp_lt_u32_e64 s[10:11], 5, v24
	s_waitcnt vmcnt(1)
	v_cndmask_b32_e32 v30, v3, v5, vcc
	v_cndmask_b32_e64 v30, v30, v7, s[12:13]
	v_cndmask_b32_e32 v31, v2, v4, vcc
	v_cmp_eq_u32_e32 vcc, 3, v24
	s_or_b64 s[16:17], s[10:11], s[16:17]
	v_cndmask_b32_e64 v31, v31, v6, s[12:13]
	v_cndmask_b32_e32 v30, v30, v9, vcc
	v_cmp_eq_u32_e64 s[10:11], 4, v24
	v_cndmask_b32_e32 v31, v31, v8, vcc
	v_cmp_eq_u32_e32 vcc, 5, v24
	v_cndmask_b32_e64 v30, v30, v11, s[10:11]
	v_cndmask_b32_e64 v31, v31, v10, s[10:11]
	v_cndmask_b32_e32 v30, v30, v13, vcc
	v_cmp_eq_u32_e64 s[10:11], 6, v24
	ds_read_b64 v[28:29], v27
	v_cndmask_b32_e32 v31, v31, v12, vcc
	v_cndmask_b32_e64 v30, v30, v15, s[10:11]
	v_cmp_eq_u32_e32 vcc, 7, v24
	v_cndmask_b32_e64 v31, v31, v14, s[10:11]
	v_cmp_eq_u32_e64 s[10:11], 8, v24
	v_cndmask_b32_e32 v30, v30, v17, vcc
	v_cndmask_b32_e32 v32, v31, v16, vcc
	v_cndmask_b32_e64 v30, v30, v19, s[10:11]
	v_cmp_eq_u32_e32 vcc, 9, v24
	v_add_u32_e32 v27, 8, v27
	s_waitcnt vmcnt(0)
	v_cndmask_b32_e32 v31, v30, v21, vcc
	v_cndmask_b32_e64 v30, v32, v18, s[10:11]
	v_cndmask_b32_e32 v30, v30, v20, vcc
	s_waitcnt lgkmcnt(0)
	v_fmac_f64_e32 v[22:23], v[30:31], v[28:29]
	s_andn2_b64 exec, exec, s[16:17]
	s_cbranch_execnz .LBB9_187
; %bb.188:
	s_or_b64 exec, exec, s[16:17]
.LBB9_189:
	s_or_b64 exec, exec, s[14:15]
	v_mov_b32_e32 v16, 0
	ds_read_b64 v[16:17], v16 offset:56
	s_waitcnt lgkmcnt(0)
	v_mul_f64 v[16:17], v[22:23], v[16:17]
.LBB9_190:
	s_or_b64 exec, exec, s[26:27]
	v_cmp_gt_u32_e64 s[10:11], 8, v0
	s_waitcnt vmcnt(2)
	ds_write_b64 v79, v[18:19]
	s_waitcnt lgkmcnt(0)
	; wave barrier
	s_and_saveexec_b64 s[28:29], s[10:11]
	s_cbranch_execz .LBB9_200
; %bb.191:
	s_and_b64 vcc, exec, s[4:5]
	s_cbranch_vccnz .LBB9_193
; %bb.192:
	v_cmp_eq_u32_e32 vcc, 1, v0
	v_cmp_eq_u32_e64 s[12:13], 2, v0
	v_cmp_eq_u32_e64 s[14:15], 3, v0
	s_waitcnt vmcnt(1)
	v_cndmask_b32_e32 v22, v3, v5, vcc
	v_cndmask_b32_e64 v22, v22, v7, s[12:13]
	v_cndmask_b32_e64 v22, v22, v9, s[14:15]
	v_cmp_eq_u32_e64 s[16:17], 4, v0
	v_cmp_eq_u32_e64 s[18:19], 5, v0
	;; [unrolled: 1-line block ×3, first 2 shown]
	v_cndmask_b32_e64 v22, v22, v11, s[16:17]
	v_cndmask_b32_e64 v22, v22, v13, s[18:19]
	;; [unrolled: 1-line block ×3, first 2 shown]
	v_cmp_eq_u32_e64 s[22:23], 7, v0
	v_cmp_eq_u32_e64 s[24:25], 8, v0
	;; [unrolled: 1-line block ×3, first 2 shown]
	v_cndmask_b32_e64 v22, v22, v17, s[22:23]
	v_cndmask_b32_e64 v22, v22, v19, s[24:25]
	s_waitcnt vmcnt(0)
	v_cndmask_b32_e64 v23, v22, v21, s[26:27]
	v_cndmask_b32_e32 v22, v2, v4, vcc
	v_cndmask_b32_e64 v22, v22, v6, s[12:13]
	v_cndmask_b32_e64 v22, v22, v8, s[14:15]
	;; [unrolled: 1-line block ×4, first 2 shown]
	ds_read_b64 v[24:25], v79
	v_cndmask_b32_e64 v22, v22, v14, s[20:21]
	v_cndmask_b32_e64 v22, v22, v16, s[22:23]
	;; [unrolled: 1-line block ×4, first 2 shown]
	s_waitcnt lgkmcnt(0)
	v_mul_f64 v[22:23], v[22:23], v[24:25]
	s_cbranch_execz .LBB9_194
	s_branch .LBB9_195
.LBB9_193:
                                        ; implicit-def: $vgpr22_vgpr23
.LBB9_194:
	ds_read_b64 v[22:23], v79
.LBB9_195:
	v_cmp_ne_u32_e32 vcc, 7, v0
	s_and_saveexec_b64 s[16:17], vcc
	s_cbranch_execz .LBB9_199
; %bb.196:
	v_mov_b32_e32 v24, 0x58
	v_lshl_add_u32 v27, v0, 3, v24
	s_mov_b64 s[18:19], 0
	v_mov_b64_e32 v[24:25], v[0:1]
.LBB9_197:                              ; =>This Inner Loop Header: Depth=1
	v_lshl_add_u64 v[24:25], v[24:25], 0, 1
	v_cmp_eq_u32_e32 vcc, 1, v24
	v_cmp_eq_u32_e64 s[14:15], 2, v24
	v_cmp_lt_u32_e64 s[12:13], 6, v24
	s_waitcnt vmcnt(1)
	v_cndmask_b32_e32 v1, v3, v5, vcc
	v_cndmask_b32_e64 v1, v1, v7, s[14:15]
	v_cndmask_b32_e32 v30, v2, v4, vcc
	v_cmp_eq_u32_e32 vcc, 3, v24
	s_or_b64 s[18:19], s[12:13], s[18:19]
	v_cndmask_b32_e64 v30, v30, v6, s[14:15]
	v_cndmask_b32_e32 v1, v1, v9, vcc
	v_cmp_eq_u32_e64 s[12:13], 4, v24
	v_cndmask_b32_e32 v30, v30, v8, vcc
	v_cmp_eq_u32_e32 vcc, 5, v24
	v_cndmask_b32_e64 v1, v1, v11, s[12:13]
	v_cndmask_b32_e64 v30, v30, v10, s[12:13]
	v_cndmask_b32_e32 v1, v1, v13, vcc
	v_cmp_eq_u32_e64 s[12:13], 6, v24
	ds_read_b64 v[28:29], v27
	v_cndmask_b32_e32 v30, v30, v12, vcc
	v_cndmask_b32_e64 v1, v1, v15, s[12:13]
	v_cmp_eq_u32_e32 vcc, 7, v24
	v_cndmask_b32_e64 v30, v30, v14, s[12:13]
	v_cmp_eq_u32_e64 s[12:13], 8, v24
	v_cndmask_b32_e32 v1, v1, v17, vcc
	v_cndmask_b32_e32 v30, v30, v16, vcc
	v_cndmask_b32_e64 v1, v1, v19, s[12:13]
	v_cmp_eq_u32_e32 vcc, 9, v24
	v_add_u32_e32 v27, 8, v27
	s_waitcnt vmcnt(0)
	v_cndmask_b32_e32 v31, v1, v21, vcc
	v_cndmask_b32_e64 v1, v30, v18, s[12:13]
	v_cndmask_b32_e32 v30, v1, v20, vcc
	s_waitcnt lgkmcnt(0)
	v_fmac_f64_e32 v[22:23], v[30:31], v[28:29]
	s_andn2_b64 exec, exec, s[18:19]
	s_cbranch_execnz .LBB9_197
; %bb.198:
	s_or_b64 exec, exec, s[18:19]
.LBB9_199:
	s_or_b64 exec, exec, s[16:17]
	v_mov_b32_e32 v1, 0
	ds_read_b64 v[18:19], v1 offset:64
	s_waitcnt lgkmcnt(0)
	v_mul_f64 v[18:19], v[22:23], v[18:19]
.LBB9_200:
	s_or_b64 exec, exec, s[28:29]
	v_cmp_ne_u32_e32 vcc, 9, v0
	s_waitcnt vmcnt(0)
	ds_write_b64 v79, v[20:21]
	s_waitcnt lgkmcnt(0)
	; wave barrier
	s_and_saveexec_b64 s[26:27], vcc
	s_cbranch_execz .LBB9_222
; %bb.201:
	s_and_b64 vcc, exec, s[4:5]
	s_cbranch_vccnz .LBB9_203
; %bb.202:
	v_cmp_eq_u32_e32 vcc, 1, v0
	v_cmp_eq_u32_e64 s[4:5], 2, v0
	v_cmp_eq_u32_e64 s[12:13], 3, v0
	v_cndmask_b32_e32 v1, v3, v5, vcc
	v_cndmask_b32_e64 v1, v1, v7, s[4:5]
	v_cndmask_b32_e64 v1, v1, v9, s[12:13]
	v_cmp_eq_u32_e64 s[14:15], 4, v0
	v_cmp_eq_u32_e64 s[16:17], 5, v0
	;; [unrolled: 1-line block ×3, first 2 shown]
	v_cndmask_b32_e64 v1, v1, v11, s[14:15]
	v_cndmask_b32_e64 v1, v1, v13, s[16:17]
	;; [unrolled: 1-line block ×3, first 2 shown]
	v_cmp_eq_u32_e64 s[20:21], 7, v0
	v_cmp_eq_u32_e64 s[22:23], 8, v0
	;; [unrolled: 1-line block ×3, first 2 shown]
	v_cndmask_b32_e64 v1, v1, v17, s[20:21]
	v_cndmask_b32_e64 v1, v1, v19, s[22:23]
	;; [unrolled: 1-line block ×3, first 2 shown]
	v_cndmask_b32_e32 v1, v2, v4, vcc
	v_cndmask_b32_e64 v1, v1, v6, s[4:5]
	v_cndmask_b32_e64 v1, v1, v8, s[12:13]
	v_cndmask_b32_e64 v1, v1, v10, s[14:15]
	v_cndmask_b32_e64 v1, v1, v12, s[16:17]
	ds_read_b64 v[24:25], v79
	v_cndmask_b32_e64 v1, v1, v14, s[18:19]
	v_cndmask_b32_e64 v1, v1, v16, s[20:21]
	v_cndmask_b32_e64 v1, v1, v18, s[22:23]
	v_cndmask_b32_e64 v22, v1, v20, s[24:25]
	s_waitcnt lgkmcnt(0)
	v_mul_f64 v[22:23], v[22:23], v[24:25]
	s_cbranch_execz .LBB9_204
	s_branch .LBB9_205
.LBB9_203:
                                        ; implicit-def: $vgpr22_vgpr23
.LBB9_204:
	ds_read_b64 v[22:23], v79
.LBB9_205:
	s_and_saveexec_b64 s[24:25], s[10:11]
	s_cbranch_execz .LBB9_221
; %bb.206:
	v_cmp_eq_u32_e32 vcc, 1, v26
	v_cmp_eq_u32_e64 s[4:5], 2, v26
	v_cmp_eq_u32_e64 s[10:11], 3, v26
	v_cndmask_b32_e32 v1, v3, v5, vcc
	v_cndmask_b32_e64 v1, v1, v7, s[4:5]
	v_cndmask_b32_e64 v1, v1, v9, s[10:11]
	v_cmp_eq_u32_e64 s[12:13], 4, v26
	v_cmp_eq_u32_e64 s[14:15], 5, v26
	;; [unrolled: 1-line block ×3, first 2 shown]
	v_cndmask_b32_e64 v1, v1, v11, s[12:13]
	v_cndmask_b32_e64 v1, v1, v13, s[14:15]
	;; [unrolled: 1-line block ×3, first 2 shown]
	v_cmp_eq_u32_e64 s[18:19], 7, v26
	v_cmp_eq_u32_e64 s[20:21], 8, v26
	;; [unrolled: 1-line block ×3, first 2 shown]
	v_cndmask_b32_e64 v1, v1, v17, s[18:19]
	v_cndmask_b32_e64 v1, v1, v19, s[20:21]
	;; [unrolled: 1-line block ×3, first 2 shown]
	v_cndmask_b32_e32 v1, v2, v4, vcc
	v_cndmask_b32_e64 v1, v1, v6, s[4:5]
	v_cndmask_b32_e64 v1, v1, v8, s[10:11]
	;; [unrolled: 1-line block ×4, first 2 shown]
	ds_read_b64 v[26:27], v79 offset:8
	v_cndmask_b32_e64 v1, v1, v14, s[16:17]
	v_cndmask_b32_e64 v1, v1, v16, s[18:19]
	;; [unrolled: 1-line block ×4, first 2 shown]
	s_waitcnt lgkmcnt(0)
	v_fmac_f64_e32 v[22:23], v[24:25], v[26:27]
	v_cmp_ne_u32_e32 vcc, 7, v0
	s_and_saveexec_b64 s[28:29], vcc
	s_cbranch_execz .LBB9_220
; %bb.207:
	v_add_u32_e32 v1, 2, v0
	v_cmp_eq_u32_e32 vcc, 1, v1
	v_cmp_eq_u32_e64 s[4:5], 2, v1
	v_cmp_eq_u32_e64 s[10:11], 3, v1
	v_cndmask_b32_e32 v24, v3, v5, vcc
	v_cmp_eq_u32_e64 s[12:13], 4, v1
	v_cmp_eq_u32_e64 s[14:15], 5, v1
	;; [unrolled: 1-line block ×6, first 2 shown]
	v_cndmask_b32_e32 v1, v2, v4, vcc
	v_cndmask_b32_e64 v24, v24, v7, s[4:5]
	v_cndmask_b32_e64 v1, v1, v6, s[4:5]
	;; [unrolled: 1-line block ×8, first 2 shown]
	ds_read_b64 v[26:27], v79 offset:16
	v_cndmask_b32_e64 v24, v24, v15, s[16:17]
	v_cndmask_b32_e64 v1, v1, v14, s[16:17]
	;; [unrolled: 1-line block ×8, first 2 shown]
	s_waitcnt lgkmcnt(0)
	v_fmac_f64_e32 v[22:23], v[24:25], v[26:27]
	s_and_saveexec_b64 s[22:23], s[8:9]
	s_cbranch_execz .LBB9_219
; %bb.208:
	v_add_u32_e32 v1, 3, v0
	v_cmp_eq_u32_e32 vcc, 1, v1
	v_cmp_eq_u32_e64 s[4:5], 2, v1
	v_cmp_eq_u32_e64 s[8:9], 3, v1
	v_cndmask_b32_e32 v24, v3, v5, vcc
	v_cmp_eq_u32_e64 s[10:11], 4, v1
	v_cmp_eq_u32_e64 s[12:13], 5, v1
	;; [unrolled: 1-line block ×6, first 2 shown]
	v_cndmask_b32_e32 v1, v2, v4, vcc
	v_cndmask_b32_e64 v24, v24, v7, s[4:5]
	v_cndmask_b32_e64 v1, v1, v6, s[4:5]
	;; [unrolled: 1-line block ×8, first 2 shown]
	ds_read_b64 v[26:27], v79 offset:24
	v_cndmask_b32_e64 v24, v24, v15, s[14:15]
	v_cndmask_b32_e64 v1, v1, v14, s[14:15]
	;; [unrolled: 1-line block ×8, first 2 shown]
	s_waitcnt lgkmcnt(0)
	v_fmac_f64_e32 v[22:23], v[24:25], v[26:27]
	v_cmp_ne_u32_e32 vcc, 5, v0
	s_and_saveexec_b64 s[30:31], vcc
	s_cbranch_execz .LBB9_218
; %bb.209:
	v_add_u32_e32 v1, 4, v0
	v_cmp_eq_u32_e32 vcc, 1, v1
	v_cmp_eq_u32_e64 s[4:5], 2, v1
	v_cmp_eq_u32_e64 s[8:9], 3, v1
	v_cndmask_b32_e32 v24, v3, v5, vcc
	v_cmp_eq_u32_e64 s[10:11], 4, v1
	v_cmp_eq_u32_e64 s[12:13], 5, v1
	;; [unrolled: 1-line block ×6, first 2 shown]
	v_cndmask_b32_e32 v1, v2, v4, vcc
	v_cndmask_b32_e64 v24, v24, v7, s[4:5]
	v_cndmask_b32_e64 v1, v1, v6, s[4:5]
	;; [unrolled: 1-line block ×8, first 2 shown]
	ds_read_b64 v[26:27], v79 offset:32
	v_cndmask_b32_e64 v24, v24, v15, s[14:15]
	v_cndmask_b32_e64 v1, v1, v14, s[14:15]
	;; [unrolled: 1-line block ×8, first 2 shown]
	s_waitcnt lgkmcnt(0)
	v_fmac_f64_e32 v[22:23], v[24:25], v[26:27]
	s_and_saveexec_b64 s[20:21], s[6:7]
	s_cbranch_execz .LBB9_217
; %bb.210:
	v_add_u32_e32 v1, 5, v0
	v_cmp_eq_u32_e32 vcc, 1, v1
	v_cmp_eq_u32_e64 s[4:5], 2, v1
	v_cmp_eq_u32_e64 s[6:7], 3, v1
	v_cndmask_b32_e32 v24, v3, v5, vcc
	v_cmp_eq_u32_e64 s[8:9], 4, v1
	v_cmp_eq_u32_e64 s[10:11], 5, v1
	v_cmp_eq_u32_e64 s[12:13], 6, v1
	v_cmp_eq_u32_e64 s[14:15], 7, v1
	v_cmp_eq_u32_e64 s[16:17], 8, v1
	v_cmp_eq_u32_e64 s[18:19], 9, v1
	v_cndmask_b32_e32 v1, v2, v4, vcc
	v_cndmask_b32_e64 v24, v24, v7, s[4:5]
	v_cndmask_b32_e64 v1, v1, v6, s[4:5]
	;; [unrolled: 1-line block ×8, first 2 shown]
	ds_read_b64 v[26:27], v79 offset:40
	v_cndmask_b32_e64 v24, v24, v15, s[12:13]
	v_cndmask_b32_e64 v1, v1, v14, s[12:13]
	;; [unrolled: 1-line block ×8, first 2 shown]
	s_waitcnt lgkmcnt(0)
	v_fmac_f64_e32 v[22:23], v[24:25], v[26:27]
	v_cmp_ne_u32_e32 vcc, 3, v0
	s_and_saveexec_b64 s[34:35], vcc
	s_cbranch_execz .LBB9_216
; %bb.211:
	v_add_u32_e32 v1, 6, v0
	v_cmp_eq_u32_e32 vcc, 1, v1
	v_cmp_eq_u32_e64 s[4:5], 2, v1
	v_cmp_eq_u32_e64 s[6:7], 3, v1
	v_cndmask_b32_e32 v24, v3, v5, vcc
	v_cmp_eq_u32_e64 s[8:9], 4, v1
	v_cmp_eq_u32_e64 s[10:11], 5, v1
	;; [unrolled: 1-line block ×6, first 2 shown]
	v_cndmask_b32_e32 v1, v2, v4, vcc
	v_cndmask_b32_e64 v24, v24, v7, s[4:5]
	v_cndmask_b32_e64 v1, v1, v6, s[4:5]
	;; [unrolled: 1-line block ×8, first 2 shown]
	ds_read_b64 v[26:27], v79 offset:48
	v_cndmask_b32_e64 v24, v24, v15, s[12:13]
	v_cndmask_b32_e64 v1, v1, v14, s[12:13]
	;; [unrolled: 1-line block ×8, first 2 shown]
	s_waitcnt lgkmcnt(0)
	v_fmac_f64_e32 v[22:23], v[24:25], v[26:27]
	s_and_saveexec_b64 s[18:19], s[2:3]
	s_cbranch_execz .LBB9_215
; %bb.212:
	v_add_u32_e32 v0, 7, v0
	v_cmp_eq_u32_e32 vcc, 1, v0
	v_cmp_eq_u32_e64 s[2:3], 2, v0
	v_cmp_eq_u32_e64 s[4:5], 3, v0
	v_cndmask_b32_e32 v1, v3, v5, vcc
	v_cmp_eq_u32_e64 s[6:7], 4, v0
	v_cmp_eq_u32_e64 s[8:9], 5, v0
	;; [unrolled: 1-line block ×6, first 2 shown]
	v_cndmask_b32_e32 v0, v2, v4, vcc
	v_cndmask_b32_e64 v1, v1, v7, s[2:3]
	v_cndmask_b32_e64 v0, v0, v6, s[2:3]
	;; [unrolled: 1-line block ×8, first 2 shown]
	ds_read_b64 v[24:25], v79 offset:56
	v_cndmask_b32_e64 v1, v1, v15, s[10:11]
	v_cndmask_b32_e64 v0, v0, v14, s[10:11]
	;; [unrolled: 1-line block ×8, first 2 shown]
	s_waitcnt lgkmcnt(0)
	v_fmac_f64_e32 v[22:23], v[0:1], v[24:25]
	s_and_saveexec_b64 s[2:3], s[0:1]
	s_cbranch_execz .LBB9_214
; %bb.213:
	ds_read_b64 v[0:1], v79 offset:64
	s_waitcnt lgkmcnt(0)
	v_fmac_f64_e32 v[22:23], v[18:19], v[0:1]
.LBB9_214:
	s_or_b64 exec, exec, s[2:3]
.LBB9_215:
	s_or_b64 exec, exec, s[18:19]
.LBB9_216:
	s_or_b64 exec, exec, s[34:35]
.LBB9_217:
	s_or_b64 exec, exec, s[20:21]
.LBB9_218:
	s_or_b64 exec, exec, s[30:31]
.LBB9_219:
	s_or_b64 exec, exec, s[22:23]
.LBB9_220:
	s_or_b64 exec, exec, s[28:29]
.LBB9_221:
	s_or_b64 exec, exec, s[24:25]
	v_mov_b32_e32 v0, 0
	ds_read_b64 v[0:1], v0 offset:72
	s_waitcnt lgkmcnt(0)
	v_mul_f64 v[20:21], v[22:23], v[0:1]
.LBB9_222:
	s_or_b64 exec, exec, s[26:27]
	v_mov_b64_e32 v[52:53], v[32:33]
	v_mov_b64_e32 v[50:51], v[30:31]
	;; [unrolled: 1-line block ×16, first 2 shown]
.LBB9_223:
	global_store_dwordx2 v[54:55], v[22:23], off
	global_store_dwordx2 v[56:57], v[24:25], off
	;; [unrolled: 1-line block ×10, first 2 shown]
.LBB9_224:
	s_endpgm
	.section	.rodata,"a",@progbits
	.p2align	6, 0x0
	.amdhsa_kernel _ZN9rocsolver6v33100L18trti2_kernel_smallILi10EdPdEEv13rocblas_fill_17rocblas_diagonal_T1_iil
		.amdhsa_group_segment_fixed_size 160
		.amdhsa_private_segment_fixed_size 0
		.amdhsa_kernarg_size 32
		.amdhsa_user_sgpr_count 2
		.amdhsa_user_sgpr_dispatch_ptr 0
		.amdhsa_user_sgpr_queue_ptr 0
		.amdhsa_user_sgpr_kernarg_segment_ptr 1
		.amdhsa_user_sgpr_dispatch_id 0
		.amdhsa_user_sgpr_kernarg_preload_length 0
		.amdhsa_user_sgpr_kernarg_preload_offset 0
		.amdhsa_user_sgpr_private_segment_size 0
		.amdhsa_uses_dynamic_stack 0
		.amdhsa_enable_private_segment 0
		.amdhsa_system_sgpr_workgroup_id_x 1
		.amdhsa_system_sgpr_workgroup_id_y 0
		.amdhsa_system_sgpr_workgroup_id_z 0
		.amdhsa_system_sgpr_workgroup_info 0
		.amdhsa_system_vgpr_workitem_id 0
		.amdhsa_next_free_vgpr 102
		.amdhsa_next_free_sgpr 36
		.amdhsa_accum_offset 104
		.amdhsa_reserve_vcc 1
		.amdhsa_float_round_mode_32 0
		.amdhsa_float_round_mode_16_64 0
		.amdhsa_float_denorm_mode_32 3
		.amdhsa_float_denorm_mode_16_64 3
		.amdhsa_dx10_clamp 1
		.amdhsa_ieee_mode 1
		.amdhsa_fp16_overflow 0
		.amdhsa_tg_split 0
		.amdhsa_exception_fp_ieee_invalid_op 0
		.amdhsa_exception_fp_denorm_src 0
		.amdhsa_exception_fp_ieee_div_zero 0
		.amdhsa_exception_fp_ieee_overflow 0
		.amdhsa_exception_fp_ieee_underflow 0
		.amdhsa_exception_fp_ieee_inexact 0
		.amdhsa_exception_int_div_zero 0
	.end_amdhsa_kernel
	.section	.text._ZN9rocsolver6v33100L18trti2_kernel_smallILi10EdPdEEv13rocblas_fill_17rocblas_diagonal_T1_iil,"axG",@progbits,_ZN9rocsolver6v33100L18trti2_kernel_smallILi10EdPdEEv13rocblas_fill_17rocblas_diagonal_T1_iil,comdat
.Lfunc_end9:
	.size	_ZN9rocsolver6v33100L18trti2_kernel_smallILi10EdPdEEv13rocblas_fill_17rocblas_diagonal_T1_iil, .Lfunc_end9-_ZN9rocsolver6v33100L18trti2_kernel_smallILi10EdPdEEv13rocblas_fill_17rocblas_diagonal_T1_iil
                                        ; -- End function
	.set _ZN9rocsolver6v33100L18trti2_kernel_smallILi10EdPdEEv13rocblas_fill_17rocblas_diagonal_T1_iil.num_vgpr, 102
	.set _ZN9rocsolver6v33100L18trti2_kernel_smallILi10EdPdEEv13rocblas_fill_17rocblas_diagonal_T1_iil.num_agpr, 0
	.set _ZN9rocsolver6v33100L18trti2_kernel_smallILi10EdPdEEv13rocblas_fill_17rocblas_diagonal_T1_iil.numbered_sgpr, 36
	.set _ZN9rocsolver6v33100L18trti2_kernel_smallILi10EdPdEEv13rocblas_fill_17rocblas_diagonal_T1_iil.num_named_barrier, 0
	.set _ZN9rocsolver6v33100L18trti2_kernel_smallILi10EdPdEEv13rocblas_fill_17rocblas_diagonal_T1_iil.private_seg_size, 0
	.set _ZN9rocsolver6v33100L18trti2_kernel_smallILi10EdPdEEv13rocblas_fill_17rocblas_diagonal_T1_iil.uses_vcc, 1
	.set _ZN9rocsolver6v33100L18trti2_kernel_smallILi10EdPdEEv13rocblas_fill_17rocblas_diagonal_T1_iil.uses_flat_scratch, 0
	.set _ZN9rocsolver6v33100L18trti2_kernel_smallILi10EdPdEEv13rocblas_fill_17rocblas_diagonal_T1_iil.has_dyn_sized_stack, 0
	.set _ZN9rocsolver6v33100L18trti2_kernel_smallILi10EdPdEEv13rocblas_fill_17rocblas_diagonal_T1_iil.has_recursion, 0
	.set _ZN9rocsolver6v33100L18trti2_kernel_smallILi10EdPdEEv13rocblas_fill_17rocblas_diagonal_T1_iil.has_indirect_call, 0
	.section	.AMDGPU.csdata,"",@progbits
; Kernel info:
; codeLenInByte = 14940
; TotalNumSgprs: 42
; NumVgprs: 102
; NumAgprs: 0
; TotalNumVgprs: 102
; ScratchSize: 0
; MemoryBound: 0
; FloatMode: 240
; IeeeMode: 1
; LDSByteSize: 160 bytes/workgroup (compile time only)
; SGPRBlocks: 5
; VGPRBlocks: 12
; NumSGPRsForWavesPerEU: 42
; NumVGPRsForWavesPerEU: 102
; AccumOffset: 104
; Occupancy: 4
; WaveLimiterHint : 0
; COMPUTE_PGM_RSRC2:SCRATCH_EN: 0
; COMPUTE_PGM_RSRC2:USER_SGPR: 2
; COMPUTE_PGM_RSRC2:TRAP_HANDLER: 0
; COMPUTE_PGM_RSRC2:TGID_X_EN: 1
; COMPUTE_PGM_RSRC2:TGID_Y_EN: 0
; COMPUTE_PGM_RSRC2:TGID_Z_EN: 0
; COMPUTE_PGM_RSRC2:TIDIG_COMP_CNT: 0
; COMPUTE_PGM_RSRC3_GFX90A:ACCUM_OFFSET: 25
; COMPUTE_PGM_RSRC3_GFX90A:TG_SPLIT: 0
	.section	.text._ZN9rocsolver6v33100L18trti2_kernel_smallILi11EdPdEEv13rocblas_fill_17rocblas_diagonal_T1_iil,"axG",@progbits,_ZN9rocsolver6v33100L18trti2_kernel_smallILi11EdPdEEv13rocblas_fill_17rocblas_diagonal_T1_iil,comdat
	.globl	_ZN9rocsolver6v33100L18trti2_kernel_smallILi11EdPdEEv13rocblas_fill_17rocblas_diagonal_T1_iil ; -- Begin function _ZN9rocsolver6v33100L18trti2_kernel_smallILi11EdPdEEv13rocblas_fill_17rocblas_diagonal_T1_iil
	.p2align	8
	.type	_ZN9rocsolver6v33100L18trti2_kernel_smallILi11EdPdEEv13rocblas_fill_17rocblas_diagonal_T1_iil,@function
_ZN9rocsolver6v33100L18trti2_kernel_smallILi11EdPdEEv13rocblas_fill_17rocblas_diagonal_T1_iil: ; @_ZN9rocsolver6v33100L18trti2_kernel_smallILi11EdPdEEv13rocblas_fill_17rocblas_diagonal_T1_iil
; %bb.0:
	v_cmp_gt_u32_e32 vcc, 11, v0
	s_and_saveexec_b64 s[4:5], vcc
	s_cbranch_execz .LBB10_250
; %bb.1:
	s_load_dwordx8 s[20:27], s[0:1], 0x0
	s_ashr_i32 s3, s2, 31
	v_mov_b32_e32 v1, 0
	v_lshlrev_b32_e32 v24, 3, v0
	v_mov_b32_e32 v25, v1
	s_waitcnt lgkmcnt(0)
	s_mul_hi_u32 s4, s26, s2
	s_mul_i32 s3, s26, s3
	s_add_i32 s3, s4, s3
	s_mul_i32 s4, s27, s2
	s_add_i32 s3, s3, s4
	s_mul_i32 s2, s26, s2
	s_ashr_i32 s1, s24, 31
	s_lshl_b64 s[2:3], s[2:3], 3
	s_mov_b32 s0, s24
	s_add_u32 s2, s22, s2
	s_addc_u32 s3, s23, s3
	s_lshl_b64 s[0:1], s[0:1], 3
	s_add_u32 s0, s2, s0
	s_addc_u32 s1, s3, s1
	v_lshl_add_u64 v[56:57], s[0:1], 0, v[24:25]
	s_ashr_i32 s3, s25, 31
	s_mov_b32 s2, s25
	v_lshl_add_u64 v[58:59], s[2:3], 3, v[56:57]
	s_add_i32 s2, s25, s25
	v_add_u32_e32 v2, s2, v0
	v_ashrrev_i32_e32 v3, 31, v2
	v_lshl_add_u64 v[60:61], v[2:3], 3, s[0:1]
	v_add_u32_e32 v2, s25, v2
	v_ashrrev_i32_e32 v3, 31, v2
	v_lshl_add_u64 v[62:63], v[2:3], 3, s[0:1]
	;; [unrolled: 3-line block ×8, first 2 shown]
	v_add_u32_e32 v2, s25, v2
	global_load_dwordx2 v[4:5], v[58:59], off
	global_load_dwordx2 v[6:7], v[60:61], off
	;; [unrolled: 1-line block ×8, first 2 shown]
	v_ashrrev_i32_e32 v3, 31, v2
	v_lshl_add_u64 v[76:77], v[2:3], 3, s[0:1]
	global_load_dwordx2 v[2:3], v24, s[0:1]
	global_load_dwordx2 v[20:21], v[74:75], off
	global_load_dwordx2 v[22:23], v[76:77], off
	s_cmpk_lg_i32 s21, 0x84
	s_cselect_b64 s[22:23], -1, 0
	s_cmpk_eq_i32 s21, 0x84
	v_mov_b64_e32 v[26:27], -1.0
	s_cbranch_scc1 .LBB10_3
; %bb.2:
	v_cmp_eq_u32_e64 s[0:1], 1, v0
	v_cmp_eq_u32_e64 s[2:3], 2, v0
	;; [unrolled: 1-line block ×3, first 2 shown]
	s_waitcnt vmcnt(2)
	v_cndmask_b32_e64 v25, v3, v5, s[0:1]
	v_cndmask_b32_e64 v25, v25, v7, s[2:3]
	;; [unrolled: 1-line block ×3, first 2 shown]
	v_cmp_eq_u32_e64 s[6:7], 4, v0
	v_cmp_eq_u32_e64 s[8:9], 5, v0
	;; [unrolled: 1-line block ×3, first 2 shown]
	v_cndmask_b32_e64 v25, v25, v11, s[6:7]
	v_cndmask_b32_e64 v25, v25, v13, s[8:9]
	;; [unrolled: 1-line block ×3, first 2 shown]
	v_cmp_eq_u32_e64 s[12:13], 7, v0
	v_cmp_eq_u32_e64 s[14:15], 8, v0
	v_cmp_eq_u32_e64 s[16:17], 9, v0
	v_cndmask_b32_e64 v25, v25, v17, s[12:13]
	v_cndmask_b32_e64 v25, v25, v19, s[14:15]
	s_waitcnt vmcnt(1)
	v_cndmask_b32_e64 v25, v25, v21, s[16:17]
	v_cmp_eq_u32_e64 s[18:19], 10, v0
	s_waitcnt vmcnt(0)
	s_nop 0
	v_cndmask_b32_e64 v27, v25, v23, s[18:19]
	v_cndmask_b32_e64 v25, v2, v4, s[0:1]
	;; [unrolled: 1-line block ×11, first 2 shown]
	v_div_scale_f64 v[28:29], s[24:25], v[26:27], v[26:27], 1.0
	v_rcp_f64_e32 v[30:31], v[28:29]
	s_nop 0
	v_fma_f64 v[32:33], -v[28:29], v[30:31], 1.0
	v_fmac_f64_e32 v[30:31], v[30:31], v[32:33]
	v_fma_f64 v[32:33], -v[28:29], v[30:31], 1.0
	v_fmac_f64_e32 v[30:31], v[30:31], v[32:33]
	v_div_scale_f64 v[32:33], vcc, 1.0, v[26:27], 1.0
	v_mul_f64 v[34:35], v[32:33], v[30:31]
	v_fma_f64 v[28:29], -v[28:29], v[34:35], v[32:33]
	s_nop 1
	v_div_fmas_f64 v[28:29], v[28:29], v[30:31], v[34:35]
	v_div_fixup_f64 v[26:27], v[28:29], v[26:27], 1.0
	v_cmp_eq_u32_e32 vcc, 0, v0
	v_cndmask_b32_e64 v23, v23, v27, s[18:19]
	v_cndmask_b32_e64 v22, v22, v26, s[18:19]
	;; [unrolled: 1-line block ×20, first 2 shown]
	v_cndmask_b32_e32 v3, v3, v27, vcc
	v_cndmask_b32_e32 v2, v2, v26, vcc
	v_xor_b32_e32 v27, 0x80000000, v27
.LBB10_3:
	s_cmpk_eq_i32 s20, 0x79
	v_add_u32_e32 v83, 0x60, v24
	ds_write_b64 v24, v[26:27]
	s_cbranch_scc1 .LBB10_7
; %bb.4:
	s_waitcnt vmcnt(0)
	v_mov_b64_e32 v[54:55], v[32:33]
	v_cmp_eq_u32_e64 s[2:3], 10, v0
	v_mov_b64_e32 v[52:53], v[30:31]
	v_mov_b64_e32 v[50:51], v[28:29]
	;; [unrolled: 1-line block ×15, first 2 shown]
	ds_write_b64 v83, v[20:21]
	s_waitcnt lgkmcnt(0)
	; wave barrier
	s_and_saveexec_b64 s[20:21], s[2:3]
	s_cbranch_execz .LBB10_11
; %bb.5:
	s_and_b64 vcc, exec, s[22:23]
	s_cbranch_vccz .LBB10_8
; %bb.6:
	v_cmp_eq_u32_e32 vcc, 1, v0
	v_cmp_eq_u32_e64 s[0:1], 2, v0
	v_cmp_eq_u32_e64 s[4:5], 3, v0
	v_cndmask_b32_e32 v24, v3, v5, vcc
	v_cndmask_b32_e64 v24, v24, v7, s[0:1]
	v_cndmask_b32_e64 v24, v24, v9, s[4:5]
	v_cmp_eq_u32_e64 s[6:7], 4, v0
	v_cmp_eq_u32_e64 s[8:9], 5, v0
	;; [unrolled: 1-line block ×3, first 2 shown]
	v_cndmask_b32_e64 v24, v24, v11, s[6:7]
	v_cndmask_b32_e64 v24, v24, v13, s[8:9]
	;; [unrolled: 1-line block ×3, first 2 shown]
	v_cmp_eq_u32_e64 s[12:13], 7, v0
	v_cmp_eq_u32_e64 s[14:15], 8, v0
	;; [unrolled: 1-line block ×3, first 2 shown]
	v_cndmask_b32_e64 v24, v24, v17, s[12:13]
	v_cndmask_b32_e64 v24, v24, v19, s[14:15]
	;; [unrolled: 1-line block ×3, first 2 shown]
	v_cmp_eq_u32_e64 s[18:19], 10, v0
	ds_read_b64 v[26:27], v83
	s_nop 0
	v_cndmask_b32_e64 v25, v24, v23, s[18:19]
	v_cndmask_b32_e32 v24, v2, v4, vcc
	v_cndmask_b32_e64 v24, v24, v6, s[0:1]
	v_cndmask_b32_e64 v24, v24, v8, s[4:5]
	;; [unrolled: 1-line block ×9, first 2 shown]
	s_waitcnt lgkmcnt(0)
	v_mul_f64 v[28:29], v[24:25], v[26:27]
	s_cbranch_execz .LBB10_9
	s_branch .LBB10_10
.LBB10_7:
                                        ; implicit-def: $vgpr24_vgpr25_vgpr26_vgpr27_vgpr28_vgpr29_vgpr30_vgpr31_vgpr32_vgpr33_vgpr34_vgpr35_vgpr36_vgpr37_vgpr38_vgpr39_vgpr40_vgpr41_vgpr42_vgpr43_vgpr44_vgpr45_vgpr46_vgpr47_vgpr48_vgpr49_vgpr50_vgpr51_vgpr52_vgpr53_vgpr54_vgpr55
	s_cbranch_execnz .LBB10_146
	s_branch .LBB10_249
.LBB10_8:
                                        ; implicit-def: $vgpr28_vgpr29
.LBB10_9:
	ds_read_b64 v[28:29], v83
.LBB10_10:
	v_mov_b32_e32 v24, 0
	ds_read_b64 v[30:31], v24 offset:72
	v_mov_b32_e32 v24, v2
	v_mov_b32_e32 v25, v3
	;; [unrolled: 1-line block ×4, first 2 shown]
	s_waitcnt lgkmcnt(0)
	v_mul_f64 v[42:43], v[28:29], v[30:31]
	v_mov_b32_e32 v28, v6
	v_mov_b32_e32 v29, v7
	;; [unrolled: 1-line block ×16, first 2 shown]
.LBB10_11:
	s_or_b64 exec, exec, s[20:21]
	v_cmp_lt_u32_e64 s[0:1], 8, v0
	ds_write_b64 v83, v[40:41]
	s_waitcnt lgkmcnt(0)
	; wave barrier
	s_and_saveexec_b64 s[24:25], s[0:1]
	s_cbranch_execz .LBB10_17
; %bb.12:
	s_andn2_b64 vcc, exec, s[22:23]
	s_cbranch_vccnz .LBB10_14
; %bb.13:
	v_cmp_eq_u32_e32 vcc, 1, v0
	v_cmp_eq_u32_e64 s[4:5], 2, v0
	v_cmp_eq_u32_e64 s[6:7], 3, v0
	v_cndmask_b32_e32 v46, v25, v27, vcc
	v_cndmask_b32_e64 v46, v46, v29, s[4:5]
	v_cndmask_b32_e64 v46, v46, v31, s[6:7]
	v_cmp_eq_u32_e64 s[8:9], 4, v0
	v_cmp_eq_u32_e64 s[10:11], 5, v0
	v_cmp_eq_u32_e64 s[12:13], 6, v0
	v_cndmask_b32_e64 v46, v46, v33, s[8:9]
	v_cndmask_b32_e64 v46, v46, v35, s[10:11]
	;; [unrolled: 1-line block ×3, first 2 shown]
	v_cmp_eq_u32_e64 s[14:15], 7, v0
	v_cmp_eq_u32_e64 s[16:17], 8, v0
	;; [unrolled: 1-line block ×3, first 2 shown]
	v_cndmask_b32_e64 v46, v46, v39, s[14:15]
	v_cndmask_b32_e64 v41, v46, v41, s[16:17]
	v_cndmask_b32_e32 v46, v24, v26, vcc
	v_cndmask_b32_e64 v46, v46, v28, s[4:5]
	v_cndmask_b32_e64 v46, v46, v30, s[6:7]
	;; [unrolled: 1-line block ×5, first 2 shown]
	ds_read_b64 v[46:47], v83
	v_cndmask_b32_e64 v48, v48, v38, s[14:15]
	v_cndmask_b32_e64 v40, v48, v40, s[16:17]
	;; [unrolled: 1-line block ×3, first 2 shown]
	v_cmp_eq_u32_e64 s[20:21], 10, v0
	v_cndmask_b32_e64 v40, v40, v42, s[18:19]
	s_nop 0
	v_cndmask_b32_e64 v41, v41, v45, s[20:21]
	v_cndmask_b32_e64 v40, v40, v44, s[20:21]
	s_waitcnt lgkmcnt(0)
	v_mul_f64 v[40:41], v[40:41], v[46:47]
	s_cbranch_execz .LBB10_15
	s_branch .LBB10_16
.LBB10_14:
                                        ; implicit-def: $vgpr40_vgpr41
.LBB10_15:
	ds_read_b64 v[40:41], v83
.LBB10_16:
	v_mov_b32_e32 v46, 0
	ds_read2_b64 v[46:49], v46 offset0:8 offset1:21
	s_waitcnt lgkmcnt(0)
	v_fma_f64 v[48:49], v[42:43], v[48:49], v[40:41]
	v_cndmask_b32_e64 v41, v41, v49, s[2:3]
	v_cndmask_b32_e64 v40, v40, v48, s[2:3]
	v_mul_f64 v[40:41], v[40:41], v[46:47]
.LBB10_17:
	s_or_b64 exec, exec, s[24:25]
	v_cmp_lt_u32_e64 s[2:3], 7, v0
	ds_write_b64 v83, v[38:39]
	s_waitcnt lgkmcnt(0)
	; wave barrier
	s_and_saveexec_b64 s[24:25], s[2:3]
	s_cbranch_execz .LBB10_33
; %bb.18:
	s_andn2_b64 vcc, exec, s[22:23]
	s_cbranch_vccnz .LBB10_20
; %bb.19:
	v_cmp_eq_u32_e32 vcc, 1, v0
	v_cmp_eq_u32_e64 s[4:5], 2, v0
	v_cmp_eq_u32_e64 s[6:7], 3, v0
	v_cndmask_b32_e32 v78, v25, v27, vcc
	v_cndmask_b32_e64 v78, v78, v29, s[4:5]
	v_cndmask_b32_e64 v78, v78, v31, s[6:7]
	v_cmp_eq_u32_e64 s[8:9], 4, v0
	v_cmp_eq_u32_e64 s[10:11], 5, v0
	;; [unrolled: 1-line block ×3, first 2 shown]
	v_cndmask_b32_e64 v78, v78, v33, s[8:9]
	v_cndmask_b32_e64 v78, v78, v35, s[10:11]
	;; [unrolled: 1-line block ×3, first 2 shown]
	v_cmp_eq_u32_e64 s[14:15], 7, v0
	v_cmp_eq_u32_e64 s[16:17], 8, v0
	;; [unrolled: 1-line block ×3, first 2 shown]
	v_cndmask_b32_e64 v78, v78, v39, s[14:15]
	v_cndmask_b32_e64 v78, v78, v41, s[16:17]
	;; [unrolled: 1-line block ×3, first 2 shown]
	v_cmp_eq_u32_e64 s[20:21], 10, v0
	ds_read_b64 v[80:81], v83
	s_nop 0
	v_cndmask_b32_e64 v79, v78, v45, s[20:21]
	v_cndmask_b32_e32 v78, v24, v26, vcc
	v_cndmask_b32_e64 v78, v78, v28, s[4:5]
	v_cndmask_b32_e64 v78, v78, v30, s[6:7]
	;; [unrolled: 1-line block ×9, first 2 shown]
	s_waitcnt lgkmcnt(0)
	v_mul_f64 v[78:79], v[78:79], v[80:81]
	s_cbranch_execz .LBB10_21
	s_branch .LBB10_22
.LBB10_20:
                                        ; implicit-def: $vgpr78_vgpr79
.LBB10_21:
	ds_read_b64 v[78:79], v83
.LBB10_22:
	s_and_saveexec_b64 s[6:7], s[0:1]
	s_cbranch_execz .LBB10_32
; %bb.23:
	v_add_u32_e32 v80, -9, v0
	v_cmp_lt_u32_e32 vcc, 6, v80
	v_mov_b32_e32 v80, 8
	s_and_saveexec_b64 s[0:1], vcc
	s_cbranch_execz .LBB10_27
; %bb.24:
	v_and_b32_e32 v80, 8, v0
	v_sub_u32_e32 v82, 0, v80
	s_mov_b64 s[4:5], 15
	s_movk_i32 s10, 0xa0
	s_mov_b64 s[8:9], 0
.LBB10_25:                              ; =>This Inner Loop Header: Depth=1
	s_lshl_b32 s11, s4, 1
	s_add_i32 s12, s11, -13
	s_add_i32 s13, s11, -14
	s_set_gpr_idx_on s12, gpr_idx(SRC0)
	v_mov_b32_e32 v101, v24
	s_set_gpr_idx_off
	v_mov_b32_e32 v80, s10
	s_add_i32 s14, s11, -11
	s_set_gpr_idx_on s13, gpr_idx(SRC0)
	v_mov_b32_e32 v100, v24
	s_set_gpr_idx_off
	s_add_i32 s15, s11, -12
	ds_read_b128 v[84:87], v80
	ds_read_b128 v[88:91], v80 offset:16
	ds_read_b128 v[92:95], v80 offset:32
	;; [unrolled: 1-line block ×3, first 2 shown]
	s_set_gpr_idx_on s14, gpr_idx(SRC0)
	v_mov_b32_e32 v103, v24
	s_set_gpr_idx_off
	s_add_i32 s16, s11, -9
	s_set_gpr_idx_on s15, gpr_idx(SRC0)
	v_mov_b32_e32 v102, v24
	s_set_gpr_idx_off
	s_add_i32 s17, s11, -10
	s_set_gpr_idx_on s16, gpr_idx(SRC0)
	v_mov_b32_e32 v105, v24
	s_set_gpr_idx_off
	s_add_i32 s18, s11, -7
	s_set_gpr_idx_on s17, gpr_idx(SRC0)
	v_mov_b32_e32 v104, v24
	s_set_gpr_idx_off
	s_add_i32 s19, s11, -8
	s_waitcnt lgkmcnt(3)
	v_fmac_f64_e32 v[78:79], v[100:101], v[84:85]
	s_set_gpr_idx_on s18, gpr_idx(SRC0)
	v_mov_b32_e32 v85, v24
	s_set_gpr_idx_off
	s_add_i32 s20, s11, -5
	v_fmac_f64_e32 v[78:79], v[102:103], v[86:87]
	s_set_gpr_idx_on s19, gpr_idx(SRC0)
	v_mov_b32_e32 v84, v24
	s_set_gpr_idx_off
	s_add_i32 s21, s11, -6
	s_waitcnt lgkmcnt(2)
	v_fmac_f64_e32 v[78:79], v[104:105], v[88:89]
	s_set_gpr_idx_on s20, gpr_idx(SRC0)
	v_mov_b32_e32 v87, v24
	s_set_gpr_idx_off
	s_add_i32 s26, s11, -3
	v_fmac_f64_e32 v[78:79], v[84:85], v[90:91]
	s_set_gpr_idx_on s21, gpr_idx(SRC0)
	v_mov_b32_e32 v86, v24
	s_set_gpr_idx_off
	s_add_i32 s27, s11, -4
	s_waitcnt lgkmcnt(1)
	v_fmac_f64_e32 v[78:79], v[86:87], v[92:93]
	s_set_gpr_idx_on s26, gpr_idx(SRC0)
	v_mov_b32_e32 v85, v24
	s_set_gpr_idx_off
	s_add_i32 s28, s11, -1
	s_set_gpr_idx_on s27, gpr_idx(SRC0)
	v_mov_b32_e32 v84, v24
	s_set_gpr_idx_off
	s_add_i32 s29, s11, -2
	v_fmac_f64_e32 v[78:79], v[84:85], v[94:95]
	s_set_gpr_idx_on s28, gpr_idx(SRC0)
	v_mov_b32_e32 v85, v24
	s_set_gpr_idx_off
	s_add_u32 s4, s4, 8
	s_set_gpr_idx_on s29, gpr_idx(SRC0)
	v_mov_b32_e32 v84, v24
	s_set_gpr_idx_off
	v_add_u32_e32 v80, s4, v82
	s_waitcnt lgkmcnt(0)
	v_fmac_f64_e32 v[78:79], v[84:85], v[96:97]
	s_set_gpr_idx_on s11, gpr_idx(SRC0)
	v_mov_b32_e32 v85, v25
	s_set_gpr_idx_off
	s_addc_u32 s5, s5, 0
	s_add_i32 s10, s10, 64
	s_add_i32 s12, s4, -7
	v_cmp_eq_u32_e32 vcc, 7, v80
	s_set_gpr_idx_on s11, gpr_idx(SRC0)
	v_mov_b32_e32 v84, v24
	s_set_gpr_idx_off
	v_mov_b32_e32 v80, s12
	s_or_b64 s[8:9], vcc, s[8:9]
	v_fmac_f64_e32 v[78:79], v[84:85], v[98:99]
	s_andn2_b64 exec, exec, s[8:9]
	s_cbranch_execnz .LBB10_25
; %bb.26:
	s_or_b64 exec, exec, s[8:9]
.LBB10_27:
	s_or_b64 exec, exec, s[0:1]
	v_and_b32_e32 v46, 7, v0
	v_cmp_ne_u32_e32 vcc, 0, v46
	s_and_saveexec_b64 s[8:9], vcc
	s_cbranch_execz .LBB10_31
; %bb.28:
	v_mov_b32_e32 v47, 0x60
	v_lshl_add_u32 v47, v80, 3, v47
	v_mov_b32_e32 v81, 0
	s_mov_b64 s[10:11], 0
.LBB10_29:                              ; =>This Inner Loop Header: Depth=1
	v_cmp_eq_u32_e32 vcc, 1, v80
	v_add_u32_e32 v46, -1, v46
	v_cmp_eq_u32_e64 s[0:1], 2, v80
	v_cndmask_b32_e32 v50, v25, v27, vcc
	v_cndmask_b32_e32 v51, v24, v26, vcc
	v_cndmask_b32_e64 v50, v50, v29, s[0:1]
	v_cmp_eq_u32_e32 vcc, 0, v46
	v_cmp_eq_u32_e64 s[4:5], 3, v80
	v_cndmask_b32_e64 v51, v51, v28, s[0:1]
	s_or_b64 s[10:11], vcc, s[10:11]
	v_cndmask_b32_e64 v50, v50, v31, s[4:5]
	v_cmp_eq_u32_e32 vcc, 4, v80
	v_cndmask_b32_e64 v51, v51, v30, s[4:5]
	v_cmp_eq_u32_e64 s[0:1], 5, v80
	v_cndmask_b32_e32 v50, v50, v33, vcc
	v_cndmask_b32_e32 v51, v51, v32, vcc
	v_cndmask_b32_e64 v50, v50, v35, s[0:1]
	v_cmp_eq_u32_e32 vcc, 6, v80
	v_cndmask_b32_e64 v51, v51, v34, s[0:1]
	v_cmp_eq_u32_e64 s[0:1], 7, v80
	v_cndmask_b32_e32 v50, v50, v37, vcc
	ds_read_b64 v[48:49], v47
	v_cndmask_b32_e64 v50, v50, v39, s[0:1]
	v_cndmask_b32_e32 v51, v51, v36, vcc
	v_cmp_eq_u32_e32 vcc, 8, v80
	v_cndmask_b32_e64 v51, v51, v38, s[0:1]
	v_cmp_eq_u32_e64 s[0:1], 9, v80
	v_cndmask_b32_e32 v50, v50, v41, vcc
	v_cmp_eq_u32_e64 s[4:5], 10, v80
	v_cndmask_b32_e64 v50, v50, v43, s[0:1]
	v_cndmask_b32_e32 v52, v51, v40, vcc
	v_cndmask_b32_e64 v51, v50, v45, s[4:5]
	v_cndmask_b32_e64 v50, v52, v42, s[0:1]
	;; [unrolled: 1-line block ×3, first 2 shown]
	v_add_u32_e32 v47, 8, v47
	v_lshl_add_u64 v[80:81], v[80:81], 0, 1
	s_waitcnt lgkmcnt(0)
	v_fmac_f64_e32 v[78:79], v[50:51], v[48:49]
	s_andn2_b64 exec, exec, s[10:11]
	s_cbranch_execnz .LBB10_29
; %bb.30:
	s_or_b64 exec, exec, s[10:11]
.LBB10_31:
	s_or_b64 exec, exec, s[8:9]
.LBB10_32:
	s_or_b64 exec, exec, s[6:7]
	v_mov_b32_e32 v38, 0
	ds_read_b64 v[38:39], v38 offset:56
	s_waitcnt lgkmcnt(0)
	v_mul_f64 v[38:39], v[78:79], v[38:39]
.LBB10_33:
	s_or_b64 exec, exec, s[24:25]
	v_cmp_lt_u32_e64 s[0:1], 6, v0
	ds_write_b64 v83, v[36:37]
	s_waitcnt lgkmcnt(0)
	; wave barrier
	s_and_saveexec_b64 s[24:25], s[0:1]
	s_cbranch_execz .LBB10_49
; %bb.34:
	s_andn2_b64 vcc, exec, s[22:23]
	s_cbranch_vccnz .LBB10_36
; %bb.35:
	v_cmp_eq_u32_e32 vcc, 1, v0
	v_cmp_eq_u32_e64 s[4:5], 2, v0
	v_cmp_eq_u32_e64 s[6:7], 3, v0
	v_cndmask_b32_e32 v78, v25, v27, vcc
	v_cndmask_b32_e64 v78, v78, v29, s[4:5]
	v_cndmask_b32_e64 v78, v78, v31, s[6:7]
	v_cmp_eq_u32_e64 s[8:9], 4, v0
	v_cmp_eq_u32_e64 s[10:11], 5, v0
	;; [unrolled: 1-line block ×3, first 2 shown]
	v_cndmask_b32_e64 v78, v78, v33, s[8:9]
	v_cndmask_b32_e64 v78, v78, v35, s[10:11]
	;; [unrolled: 1-line block ×3, first 2 shown]
	v_cmp_eq_u32_e64 s[14:15], 7, v0
	v_cmp_eq_u32_e64 s[16:17], 8, v0
	;; [unrolled: 1-line block ×3, first 2 shown]
	v_cndmask_b32_e64 v78, v78, v39, s[14:15]
	v_cndmask_b32_e64 v78, v78, v41, s[16:17]
	;; [unrolled: 1-line block ×3, first 2 shown]
	v_cmp_eq_u32_e64 s[20:21], 10, v0
	ds_read_b64 v[80:81], v83
	s_nop 0
	v_cndmask_b32_e64 v79, v78, v45, s[20:21]
	v_cndmask_b32_e32 v78, v24, v26, vcc
	v_cndmask_b32_e64 v78, v78, v28, s[4:5]
	v_cndmask_b32_e64 v78, v78, v30, s[6:7]
	;; [unrolled: 1-line block ×9, first 2 shown]
	s_waitcnt lgkmcnt(0)
	v_mul_f64 v[78:79], v[78:79], v[80:81]
	s_cbranch_execz .LBB10_37
	s_branch .LBB10_38
.LBB10_36:
                                        ; implicit-def: $vgpr78_vgpr79
.LBB10_37:
	ds_read_b64 v[78:79], v83
.LBB10_38:
	s_and_saveexec_b64 s[6:7], s[2:3]
	s_cbranch_execz .LBB10_48
; %bb.39:
	v_add_u32_e32 v80, -8, v0
	v_add_u32_e32 v81, -7, v0
	v_cmp_lt_u32_e32 vcc, 6, v80
	v_mov_b32_e32 v80, 7
	s_and_saveexec_b64 s[2:3], vcc
	s_cbranch_execz .LBB10_43
; %bb.40:
	v_and_b32_e32 v80, -8, v81
	v_sub_u32_e32 v82, 0, v80
	s_mov_b64 s[4:5], 14
	s_movk_i32 s10, 0x98
	s_mov_b64 s[8:9], 0
.LBB10_41:                              ; =>This Inner Loop Header: Depth=1
	s_lshl_b32 s11, s4, 1
	s_add_i32 s12, s11, -13
	v_mov_b32_e32 v98, s10
	s_add_i32 s13, s11, -14
	s_set_gpr_idx_on s12, gpr_idx(SRC0)
	v_mov_b32_e32 v93, v24
	s_set_gpr_idx_off
	s_add_i32 s14, s11, -11
	s_set_gpr_idx_on s13, gpr_idx(SRC0)
	v_mov_b32_e32 v92, v24
	s_set_gpr_idx_off
	ds_read2_b64 v[84:87], v98 offset1:1
	s_add_i32 s15, s11, -12
	s_set_gpr_idx_on s14, gpr_idx(SRC0)
	v_mov_b32_e32 v95, v24
	s_set_gpr_idx_off
	s_add_i32 s16, s11, -9
	s_set_gpr_idx_on s15, gpr_idx(SRC0)
	v_mov_b32_e32 v94, v24
	s_set_gpr_idx_off
	;; [unrolled: 4-line block ×4, first 2 shown]
	ds_read2_b64 v[88:91], v98 offset0:2 offset1:3
	s_add_i32 s19, s11, -8
	s_waitcnt lgkmcnt(1)
	v_fmac_f64_e32 v[78:79], v[92:93], v[84:85]
	s_set_gpr_idx_on s18, gpr_idx(SRC0)
	v_mov_b32_e32 v93, v24
	s_set_gpr_idx_off
	s_add_i32 s20, s11, -5
	v_fmac_f64_e32 v[78:79], v[94:95], v[86:87]
	s_set_gpr_idx_on s19, gpr_idx(SRC0)
	v_mov_b32_e32 v92, v24
	s_set_gpr_idx_off
	s_add_i32 s21, s11, -6
	s_set_gpr_idx_on s20, gpr_idx(SRC0)
	v_mov_b32_e32 v95, v24
	s_set_gpr_idx_off
	s_add_i32 s26, s11, -3
	;; [unrolled: 4-line block ×3, first 2 shown]
	ds_read2_b64 v[84:87], v98 offset0:4 offset1:5
	s_waitcnt lgkmcnt(1)
	v_fmac_f64_e32 v[78:79], v[96:97], v[88:89]
	s_set_gpr_idx_on s26, gpr_idx(SRC0)
	v_mov_b32_e32 v97, v24
	s_set_gpr_idx_off
	s_add_i32 s28, s11, -1
	v_fmac_f64_e32 v[78:79], v[92:93], v[90:91]
	s_set_gpr_idx_on s27, gpr_idx(SRC0)
	v_mov_b32_e32 v96, v24
	s_set_gpr_idx_off
	s_add_i32 s29, s11, -2
	s_set_gpr_idx_on s28, gpr_idx(SRC0)
	v_mov_b32_e32 v93, v24
	s_set_gpr_idx_off
	s_set_gpr_idx_on s29, gpr_idx(SRC0)
	v_mov_b32_e32 v92, v24
	s_set_gpr_idx_off
	ds_read2_b64 v[88:91], v98 offset0:6 offset1:7
	s_add_u32 s4, s4, 8
	s_waitcnt lgkmcnt(1)
	v_fmac_f64_e32 v[78:79], v[94:95], v[84:85]
	s_set_gpr_idx_on s11, gpr_idx(SRC0)
	v_mov_b32_e32 v85, v25
	s_set_gpr_idx_off
	v_add_u32_e32 v80, s4, v82
	v_fmac_f64_e32 v[78:79], v[96:97], v[86:87]
	s_set_gpr_idx_on s11, gpr_idx(SRC0)
	v_mov_b32_e32 v84, v24
	s_set_gpr_idx_off
	s_addc_u32 s5, s5, 0
	s_add_i32 s10, s10, 64
	s_add_i32 s12, s4, -7
	v_cmp_eq_u32_e32 vcc, 14, v80
	s_waitcnt lgkmcnt(0)
	v_fmac_f64_e32 v[78:79], v[92:93], v[88:89]
	v_mov_b32_e32 v80, s12
	s_or_b64 s[8:9], vcc, s[8:9]
	v_fmac_f64_e32 v[78:79], v[84:85], v[90:91]
	s_andn2_b64 exec, exec, s[8:9]
	s_cbranch_execnz .LBB10_41
; %bb.42:
	s_or_b64 exec, exec, s[8:9]
.LBB10_43:
	s_or_b64 exec, exec, s[2:3]
	v_and_b32_e32 v46, 7, v81
	v_cmp_ne_u32_e32 vcc, 0, v46
	s_and_saveexec_b64 s[8:9], vcc
	s_cbranch_execz .LBB10_47
; %bb.44:
	v_mov_b32_e32 v47, 0x60
	v_lshl_add_u32 v47, v80, 3, v47
	v_mov_b32_e32 v81, 0
	s_mov_b64 s[10:11], 0
.LBB10_45:                              ; =>This Inner Loop Header: Depth=1
	v_cmp_eq_u32_e32 vcc, 1, v80
	v_add_u32_e32 v46, -1, v46
	v_cmp_eq_u32_e64 s[2:3], 2, v80
	v_cndmask_b32_e32 v50, v25, v27, vcc
	v_cndmask_b32_e32 v51, v24, v26, vcc
	v_cndmask_b32_e64 v50, v50, v29, s[2:3]
	v_cmp_eq_u32_e32 vcc, 0, v46
	v_cmp_eq_u32_e64 s[4:5], 3, v80
	v_cndmask_b32_e64 v51, v51, v28, s[2:3]
	s_or_b64 s[10:11], vcc, s[10:11]
	v_cndmask_b32_e64 v50, v50, v31, s[4:5]
	v_cmp_eq_u32_e32 vcc, 4, v80
	v_cndmask_b32_e64 v51, v51, v30, s[4:5]
	v_cmp_eq_u32_e64 s[2:3], 5, v80
	v_cndmask_b32_e32 v50, v50, v33, vcc
	v_cndmask_b32_e32 v51, v51, v32, vcc
	v_cndmask_b32_e64 v50, v50, v35, s[2:3]
	v_cmp_eq_u32_e32 vcc, 6, v80
	v_cndmask_b32_e64 v51, v51, v34, s[2:3]
	v_cmp_eq_u32_e64 s[2:3], 7, v80
	v_cndmask_b32_e32 v50, v50, v37, vcc
	ds_read_b64 v[48:49], v47
	v_cndmask_b32_e64 v50, v50, v39, s[2:3]
	v_cndmask_b32_e32 v51, v51, v36, vcc
	v_cmp_eq_u32_e32 vcc, 8, v80
	v_cndmask_b32_e64 v51, v51, v38, s[2:3]
	v_cmp_eq_u32_e64 s[2:3], 9, v80
	v_cndmask_b32_e32 v50, v50, v41, vcc
	v_cmp_eq_u32_e64 s[4:5], 10, v80
	v_cndmask_b32_e64 v50, v50, v43, s[2:3]
	v_cndmask_b32_e32 v52, v51, v40, vcc
	v_cndmask_b32_e64 v51, v50, v45, s[4:5]
	v_cndmask_b32_e64 v50, v52, v42, s[2:3]
	;; [unrolled: 1-line block ×3, first 2 shown]
	v_add_u32_e32 v47, 8, v47
	v_lshl_add_u64 v[80:81], v[80:81], 0, 1
	s_waitcnt lgkmcnt(0)
	v_fmac_f64_e32 v[78:79], v[50:51], v[48:49]
	s_andn2_b64 exec, exec, s[10:11]
	s_cbranch_execnz .LBB10_45
; %bb.46:
	s_or_b64 exec, exec, s[10:11]
.LBB10_47:
	s_or_b64 exec, exec, s[8:9]
.LBB10_48:
	s_or_b64 exec, exec, s[6:7]
	v_mov_b32_e32 v36, 0
	ds_read_b64 v[36:37], v36 offset:48
	s_waitcnt lgkmcnt(0)
	v_mul_f64 v[36:37], v[78:79], v[36:37]
.LBB10_49:
	s_or_b64 exec, exec, s[24:25]
	v_cmp_lt_u32_e64 s[2:3], 5, v0
	ds_write_b64 v83, v[34:35]
	s_waitcnt lgkmcnt(0)
	; wave barrier
	s_and_saveexec_b64 s[24:25], s[2:3]
	s_cbranch_execz .LBB10_65
; %bb.50:
	s_andn2_b64 vcc, exec, s[22:23]
	s_cbranch_vccnz .LBB10_52
; %bb.51:
	v_cmp_eq_u32_e32 vcc, 1, v0
	v_cmp_eq_u32_e64 s[4:5], 2, v0
	v_cmp_eq_u32_e64 s[6:7], 3, v0
	v_cndmask_b32_e32 v78, v25, v27, vcc
	v_cndmask_b32_e64 v78, v78, v29, s[4:5]
	v_cndmask_b32_e64 v78, v78, v31, s[6:7]
	v_cmp_eq_u32_e64 s[8:9], 4, v0
	v_cmp_eq_u32_e64 s[10:11], 5, v0
	;; [unrolled: 1-line block ×3, first 2 shown]
	v_cndmask_b32_e64 v78, v78, v33, s[8:9]
	v_cndmask_b32_e64 v78, v78, v35, s[10:11]
	;; [unrolled: 1-line block ×3, first 2 shown]
	v_cmp_eq_u32_e64 s[14:15], 7, v0
	v_cmp_eq_u32_e64 s[16:17], 8, v0
	;; [unrolled: 1-line block ×3, first 2 shown]
	v_cndmask_b32_e64 v78, v78, v39, s[14:15]
	v_cndmask_b32_e64 v78, v78, v41, s[16:17]
	;; [unrolled: 1-line block ×3, first 2 shown]
	v_cmp_eq_u32_e64 s[20:21], 10, v0
	ds_read_b64 v[80:81], v83
	s_nop 0
	v_cndmask_b32_e64 v79, v78, v45, s[20:21]
	v_cndmask_b32_e32 v78, v24, v26, vcc
	v_cndmask_b32_e64 v78, v78, v28, s[4:5]
	v_cndmask_b32_e64 v78, v78, v30, s[6:7]
	;; [unrolled: 1-line block ×9, first 2 shown]
	s_waitcnt lgkmcnt(0)
	v_mul_f64 v[78:79], v[78:79], v[80:81]
	s_cbranch_execz .LBB10_53
	s_branch .LBB10_54
.LBB10_52:
                                        ; implicit-def: $vgpr78_vgpr79
.LBB10_53:
	ds_read_b64 v[78:79], v83
.LBB10_54:
	s_and_saveexec_b64 s[6:7], s[0:1]
	s_cbranch_execz .LBB10_64
; %bb.55:
	v_add_u32_e32 v82, -7, v0
	v_add_u32_e32 v81, -6, v0
	v_mov_b32_e32 v80, 6
	v_cmp_lt_u32_e32 vcc, 6, v82
	s_and_saveexec_b64 s[0:1], vcc
	s_cbranch_execz .LBB10_59
; %bb.56:
	v_and_b32_e32 v80, -8, v81
	v_sub_u32_e32 v82, 0, v80
	s_mov_b64 s[4:5], 13
	s_movk_i32 s10, 0x90
	s_mov_b64 s[8:9], 0
.LBB10_57:                              ; =>This Inner Loop Header: Depth=1
	s_lshl_b32 s11, s4, 1
	s_add_i32 s12, s11, -13
	s_add_i32 s13, s11, -14
	s_set_gpr_idx_on s12, gpr_idx(SRC0)
	v_mov_b32_e32 v101, v24
	s_set_gpr_idx_off
	v_mov_b32_e32 v80, s10
	s_add_i32 s14, s11, -11
	s_set_gpr_idx_on s13, gpr_idx(SRC0)
	v_mov_b32_e32 v100, v24
	s_set_gpr_idx_off
	s_add_i32 s15, s11, -12
	ds_read_b128 v[84:87], v80
	ds_read_b128 v[88:91], v80 offset:16
	ds_read_b128 v[92:95], v80 offset:32
	;; [unrolled: 1-line block ×3, first 2 shown]
	s_set_gpr_idx_on s14, gpr_idx(SRC0)
	v_mov_b32_e32 v103, v24
	s_set_gpr_idx_off
	s_add_i32 s16, s11, -9
	s_set_gpr_idx_on s15, gpr_idx(SRC0)
	v_mov_b32_e32 v102, v24
	s_set_gpr_idx_off
	s_add_i32 s17, s11, -10
	;; [unrolled: 4-line block ×4, first 2 shown]
	s_waitcnt lgkmcnt(3)
	v_fmac_f64_e32 v[78:79], v[100:101], v[84:85]
	s_set_gpr_idx_on s18, gpr_idx(SRC0)
	v_mov_b32_e32 v85, v24
	s_set_gpr_idx_off
	s_add_i32 s20, s11, -5
	v_fmac_f64_e32 v[78:79], v[102:103], v[86:87]
	s_set_gpr_idx_on s19, gpr_idx(SRC0)
	v_mov_b32_e32 v84, v24
	s_set_gpr_idx_off
	s_add_i32 s21, s11, -6
	s_waitcnt lgkmcnt(2)
	v_fmac_f64_e32 v[78:79], v[104:105], v[88:89]
	s_set_gpr_idx_on s20, gpr_idx(SRC0)
	v_mov_b32_e32 v87, v24
	s_set_gpr_idx_off
	s_add_i32 s26, s11, -3
	v_fmac_f64_e32 v[78:79], v[84:85], v[90:91]
	s_set_gpr_idx_on s21, gpr_idx(SRC0)
	v_mov_b32_e32 v86, v24
	s_set_gpr_idx_off
	s_add_i32 s27, s11, -4
	s_waitcnt lgkmcnt(1)
	v_fmac_f64_e32 v[78:79], v[86:87], v[92:93]
	s_set_gpr_idx_on s26, gpr_idx(SRC0)
	v_mov_b32_e32 v85, v24
	s_set_gpr_idx_off
	s_add_i32 s28, s11, -1
	s_set_gpr_idx_on s27, gpr_idx(SRC0)
	v_mov_b32_e32 v84, v24
	s_set_gpr_idx_off
	s_add_i32 s29, s11, -2
	v_fmac_f64_e32 v[78:79], v[84:85], v[94:95]
	s_set_gpr_idx_on s28, gpr_idx(SRC0)
	v_mov_b32_e32 v85, v24
	s_set_gpr_idx_off
	s_add_u32 s4, s4, 8
	s_set_gpr_idx_on s29, gpr_idx(SRC0)
	v_mov_b32_e32 v84, v24
	s_set_gpr_idx_off
	v_add_u32_e32 v80, s4, v82
	s_waitcnt lgkmcnt(0)
	v_fmac_f64_e32 v[78:79], v[84:85], v[96:97]
	s_set_gpr_idx_on s11, gpr_idx(SRC0)
	v_mov_b32_e32 v85, v25
	s_set_gpr_idx_off
	s_addc_u32 s5, s5, 0
	s_add_i32 s10, s10, 64
	s_add_i32 s12, s4, -7
	v_cmp_eq_u32_e32 vcc, 13, v80
	s_set_gpr_idx_on s11, gpr_idx(SRC0)
	v_mov_b32_e32 v84, v24
	s_set_gpr_idx_off
	v_mov_b32_e32 v80, s12
	s_or_b64 s[8:9], vcc, s[8:9]
	v_fmac_f64_e32 v[78:79], v[84:85], v[98:99]
	s_andn2_b64 exec, exec, s[8:9]
	s_cbranch_execnz .LBB10_57
; %bb.58:
	s_or_b64 exec, exec, s[8:9]
.LBB10_59:
	s_or_b64 exec, exec, s[0:1]
	v_and_b32_e32 v46, 7, v81
	v_cmp_ne_u32_e32 vcc, 0, v46
	s_and_saveexec_b64 s[8:9], vcc
	s_cbranch_execz .LBB10_63
; %bb.60:
	v_mov_b32_e32 v47, 0x60
	v_lshl_add_u32 v47, v80, 3, v47
	v_mov_b32_e32 v81, 0
	s_mov_b64 s[10:11], 0
.LBB10_61:                              ; =>This Inner Loop Header: Depth=1
	v_cmp_eq_u32_e32 vcc, 1, v80
	v_add_u32_e32 v46, -1, v46
	v_cmp_eq_u32_e64 s[0:1], 2, v80
	v_cndmask_b32_e32 v50, v25, v27, vcc
	v_cndmask_b32_e32 v51, v24, v26, vcc
	v_cndmask_b32_e64 v50, v50, v29, s[0:1]
	v_cmp_eq_u32_e32 vcc, 0, v46
	v_cmp_eq_u32_e64 s[4:5], 3, v80
	v_cndmask_b32_e64 v51, v51, v28, s[0:1]
	s_or_b64 s[10:11], vcc, s[10:11]
	v_cndmask_b32_e64 v50, v50, v31, s[4:5]
	v_cmp_eq_u32_e32 vcc, 4, v80
	v_cndmask_b32_e64 v51, v51, v30, s[4:5]
	v_cmp_eq_u32_e64 s[0:1], 5, v80
	v_cndmask_b32_e32 v50, v50, v33, vcc
	v_cndmask_b32_e32 v51, v51, v32, vcc
	v_cndmask_b32_e64 v50, v50, v35, s[0:1]
	v_cmp_eq_u32_e32 vcc, 6, v80
	v_cndmask_b32_e64 v51, v51, v34, s[0:1]
	v_cmp_eq_u32_e64 s[0:1], 7, v80
	v_cndmask_b32_e32 v50, v50, v37, vcc
	ds_read_b64 v[48:49], v47
	v_cndmask_b32_e64 v50, v50, v39, s[0:1]
	v_cndmask_b32_e32 v51, v51, v36, vcc
	v_cmp_eq_u32_e32 vcc, 8, v80
	v_cndmask_b32_e64 v51, v51, v38, s[0:1]
	v_cmp_eq_u32_e64 s[0:1], 9, v80
	v_cndmask_b32_e32 v50, v50, v41, vcc
	v_cmp_eq_u32_e64 s[4:5], 10, v80
	v_cndmask_b32_e64 v50, v50, v43, s[0:1]
	v_cndmask_b32_e32 v52, v51, v40, vcc
	v_cndmask_b32_e64 v51, v50, v45, s[4:5]
	v_cndmask_b32_e64 v50, v52, v42, s[0:1]
	;; [unrolled: 1-line block ×3, first 2 shown]
	v_add_u32_e32 v47, 8, v47
	v_lshl_add_u64 v[80:81], v[80:81], 0, 1
	s_waitcnt lgkmcnt(0)
	v_fmac_f64_e32 v[78:79], v[50:51], v[48:49]
	s_andn2_b64 exec, exec, s[10:11]
	s_cbranch_execnz .LBB10_61
; %bb.62:
	s_or_b64 exec, exec, s[10:11]
.LBB10_63:
	s_or_b64 exec, exec, s[8:9]
.LBB10_64:
	s_or_b64 exec, exec, s[6:7]
	v_mov_b32_e32 v34, 0
	ds_read_b64 v[34:35], v34 offset:40
	s_waitcnt lgkmcnt(0)
	v_mul_f64 v[34:35], v[78:79], v[34:35]
.LBB10_65:
	s_or_b64 exec, exec, s[24:25]
	v_cmp_lt_u32_e64 s[0:1], 4, v0
	ds_write_b64 v83, v[32:33]
	s_waitcnt lgkmcnt(0)
	; wave barrier
	s_and_saveexec_b64 s[24:25], s[0:1]
	s_cbranch_execz .LBB10_81
; %bb.66:
	s_andn2_b64 vcc, exec, s[22:23]
	s_cbranch_vccnz .LBB10_68
; %bb.67:
	v_cmp_eq_u32_e32 vcc, 1, v0
	v_cmp_eq_u32_e64 s[4:5], 2, v0
	v_cmp_eq_u32_e64 s[6:7], 3, v0
	v_cndmask_b32_e32 v78, v25, v27, vcc
	v_cndmask_b32_e64 v78, v78, v29, s[4:5]
	v_cndmask_b32_e64 v78, v78, v31, s[6:7]
	v_cmp_eq_u32_e64 s[8:9], 4, v0
	v_cmp_eq_u32_e64 s[10:11], 5, v0
	;; [unrolled: 1-line block ×3, first 2 shown]
	v_cndmask_b32_e64 v78, v78, v33, s[8:9]
	v_cndmask_b32_e64 v78, v78, v35, s[10:11]
	;; [unrolled: 1-line block ×3, first 2 shown]
	v_cmp_eq_u32_e64 s[14:15], 7, v0
	v_cmp_eq_u32_e64 s[16:17], 8, v0
	;; [unrolled: 1-line block ×3, first 2 shown]
	v_cndmask_b32_e64 v78, v78, v39, s[14:15]
	v_cndmask_b32_e64 v78, v78, v41, s[16:17]
	;; [unrolled: 1-line block ×3, first 2 shown]
	v_cmp_eq_u32_e64 s[20:21], 10, v0
	ds_read_b64 v[80:81], v83
	s_nop 0
	v_cndmask_b32_e64 v79, v78, v45, s[20:21]
	v_cndmask_b32_e32 v78, v24, v26, vcc
	v_cndmask_b32_e64 v78, v78, v28, s[4:5]
	v_cndmask_b32_e64 v78, v78, v30, s[6:7]
	;; [unrolled: 1-line block ×9, first 2 shown]
	s_waitcnt lgkmcnt(0)
	v_mul_f64 v[78:79], v[78:79], v[80:81]
	s_cbranch_execz .LBB10_69
	s_branch .LBB10_70
.LBB10_68:
                                        ; implicit-def: $vgpr78_vgpr79
.LBB10_69:
	ds_read_b64 v[78:79], v83
.LBB10_70:
	s_and_saveexec_b64 s[6:7], s[2:3]
	s_cbranch_execz .LBB10_80
; %bb.71:
	v_add_u32_e32 v80, -6, v0
	v_add_u32_e32 v81, -5, v0
	v_cmp_lt_u32_e32 vcc, 6, v80
	v_mov_b32_e32 v80, 5
	s_and_saveexec_b64 s[2:3], vcc
	s_cbranch_execz .LBB10_75
; %bb.72:
	v_and_b32_e32 v80, -8, v81
	v_sub_u32_e32 v82, 0, v80
	s_mov_b64 s[4:5], 12
	s_movk_i32 s10, 0x88
	s_mov_b64 s[8:9], 0
.LBB10_73:                              ; =>This Inner Loop Header: Depth=1
	s_lshl_b32 s11, s4, 1
	s_add_i32 s12, s11, -13
	v_mov_b32_e32 v98, s10
	s_add_i32 s13, s11, -14
	s_set_gpr_idx_on s12, gpr_idx(SRC0)
	v_mov_b32_e32 v93, v24
	s_set_gpr_idx_off
	s_add_i32 s14, s11, -11
	s_set_gpr_idx_on s13, gpr_idx(SRC0)
	v_mov_b32_e32 v92, v24
	s_set_gpr_idx_off
	ds_read2_b64 v[84:87], v98 offset1:1
	s_add_i32 s15, s11, -12
	s_set_gpr_idx_on s14, gpr_idx(SRC0)
	v_mov_b32_e32 v95, v24
	s_set_gpr_idx_off
	s_add_i32 s16, s11, -9
	s_set_gpr_idx_on s15, gpr_idx(SRC0)
	v_mov_b32_e32 v94, v24
	s_set_gpr_idx_off
	;; [unrolled: 4-line block ×4, first 2 shown]
	ds_read2_b64 v[88:91], v98 offset0:2 offset1:3
	s_add_i32 s19, s11, -8
	s_waitcnt lgkmcnt(1)
	v_fmac_f64_e32 v[78:79], v[92:93], v[84:85]
	s_set_gpr_idx_on s18, gpr_idx(SRC0)
	v_mov_b32_e32 v93, v24
	s_set_gpr_idx_off
	s_add_i32 s20, s11, -5
	v_fmac_f64_e32 v[78:79], v[94:95], v[86:87]
	s_set_gpr_idx_on s19, gpr_idx(SRC0)
	v_mov_b32_e32 v92, v24
	s_set_gpr_idx_off
	s_add_i32 s21, s11, -6
	s_set_gpr_idx_on s20, gpr_idx(SRC0)
	v_mov_b32_e32 v95, v24
	s_set_gpr_idx_off
	s_add_i32 s26, s11, -3
	;; [unrolled: 4-line block ×3, first 2 shown]
	ds_read2_b64 v[84:87], v98 offset0:4 offset1:5
	s_waitcnt lgkmcnt(1)
	v_fmac_f64_e32 v[78:79], v[96:97], v[88:89]
	s_set_gpr_idx_on s26, gpr_idx(SRC0)
	v_mov_b32_e32 v97, v24
	s_set_gpr_idx_off
	s_add_i32 s28, s11, -1
	v_fmac_f64_e32 v[78:79], v[92:93], v[90:91]
	s_set_gpr_idx_on s27, gpr_idx(SRC0)
	v_mov_b32_e32 v96, v24
	s_set_gpr_idx_off
	s_add_i32 s29, s11, -2
	s_set_gpr_idx_on s28, gpr_idx(SRC0)
	v_mov_b32_e32 v93, v24
	s_set_gpr_idx_off
	s_set_gpr_idx_on s29, gpr_idx(SRC0)
	v_mov_b32_e32 v92, v24
	s_set_gpr_idx_off
	ds_read2_b64 v[88:91], v98 offset0:6 offset1:7
	s_add_u32 s4, s4, 8
	s_waitcnt lgkmcnt(1)
	v_fmac_f64_e32 v[78:79], v[94:95], v[84:85]
	s_set_gpr_idx_on s11, gpr_idx(SRC0)
	v_mov_b32_e32 v85, v25
	s_set_gpr_idx_off
	v_add_u32_e32 v80, s4, v82
	v_fmac_f64_e32 v[78:79], v[96:97], v[86:87]
	s_set_gpr_idx_on s11, gpr_idx(SRC0)
	v_mov_b32_e32 v84, v24
	s_set_gpr_idx_off
	s_addc_u32 s5, s5, 0
	s_add_i32 s10, s10, 64
	s_add_i32 s12, s4, -7
	v_cmp_eq_u32_e32 vcc, 12, v80
	s_waitcnt lgkmcnt(0)
	v_fmac_f64_e32 v[78:79], v[92:93], v[88:89]
	v_mov_b32_e32 v80, s12
	s_or_b64 s[8:9], vcc, s[8:9]
	v_fmac_f64_e32 v[78:79], v[84:85], v[90:91]
	s_andn2_b64 exec, exec, s[8:9]
	s_cbranch_execnz .LBB10_73
; %bb.74:
	s_or_b64 exec, exec, s[8:9]
.LBB10_75:
	s_or_b64 exec, exec, s[2:3]
	v_and_b32_e32 v46, 7, v81
	v_cmp_ne_u32_e32 vcc, 0, v46
	s_and_saveexec_b64 s[8:9], vcc
	s_cbranch_execz .LBB10_79
; %bb.76:
	v_mov_b32_e32 v47, 0x60
	v_lshl_add_u32 v47, v80, 3, v47
	v_mov_b32_e32 v81, 0
	s_mov_b64 s[10:11], 0
.LBB10_77:                              ; =>This Inner Loop Header: Depth=1
	v_cmp_eq_u32_e32 vcc, 1, v80
	v_add_u32_e32 v46, -1, v46
	v_cmp_eq_u32_e64 s[2:3], 2, v80
	v_cndmask_b32_e32 v50, v25, v27, vcc
	v_cndmask_b32_e32 v51, v24, v26, vcc
	v_cndmask_b32_e64 v50, v50, v29, s[2:3]
	v_cmp_eq_u32_e32 vcc, 0, v46
	v_cmp_eq_u32_e64 s[4:5], 3, v80
	v_cndmask_b32_e64 v51, v51, v28, s[2:3]
	s_or_b64 s[10:11], vcc, s[10:11]
	v_cndmask_b32_e64 v50, v50, v31, s[4:5]
	v_cmp_eq_u32_e32 vcc, 4, v80
	v_cndmask_b32_e64 v51, v51, v30, s[4:5]
	v_cmp_eq_u32_e64 s[2:3], 5, v80
	v_cndmask_b32_e32 v50, v50, v33, vcc
	v_cndmask_b32_e32 v51, v51, v32, vcc
	v_cndmask_b32_e64 v50, v50, v35, s[2:3]
	v_cmp_eq_u32_e32 vcc, 6, v80
	v_cndmask_b32_e64 v51, v51, v34, s[2:3]
	v_cmp_eq_u32_e64 s[2:3], 7, v80
	v_cndmask_b32_e32 v50, v50, v37, vcc
	ds_read_b64 v[48:49], v47
	v_cndmask_b32_e64 v50, v50, v39, s[2:3]
	v_cndmask_b32_e32 v51, v51, v36, vcc
	v_cmp_eq_u32_e32 vcc, 8, v80
	v_cndmask_b32_e64 v51, v51, v38, s[2:3]
	v_cmp_eq_u32_e64 s[2:3], 9, v80
	v_cndmask_b32_e32 v50, v50, v41, vcc
	v_cmp_eq_u32_e64 s[4:5], 10, v80
	v_cndmask_b32_e64 v50, v50, v43, s[2:3]
	v_cndmask_b32_e32 v52, v51, v40, vcc
	v_cndmask_b32_e64 v51, v50, v45, s[4:5]
	v_cndmask_b32_e64 v50, v52, v42, s[2:3]
	;; [unrolled: 1-line block ×3, first 2 shown]
	v_add_u32_e32 v47, 8, v47
	v_lshl_add_u64 v[80:81], v[80:81], 0, 1
	s_waitcnt lgkmcnt(0)
	v_fmac_f64_e32 v[78:79], v[50:51], v[48:49]
	s_andn2_b64 exec, exec, s[10:11]
	s_cbranch_execnz .LBB10_77
; %bb.78:
	s_or_b64 exec, exec, s[10:11]
.LBB10_79:
	s_or_b64 exec, exec, s[8:9]
.LBB10_80:
	s_or_b64 exec, exec, s[6:7]
	v_mov_b32_e32 v32, 0
	ds_read_b64 v[32:33], v32 offset:32
	s_waitcnt lgkmcnt(0)
	v_mul_f64 v[32:33], v[78:79], v[32:33]
.LBB10_81:
	s_or_b64 exec, exec, s[24:25]
	v_cmp_lt_u32_e64 s[2:3], 3, v0
	ds_write_b64 v83, v[30:31]
	s_waitcnt lgkmcnt(0)
	; wave barrier
	s_and_saveexec_b64 s[24:25], s[2:3]
	s_cbranch_execz .LBB10_97
; %bb.82:
	s_andn2_b64 vcc, exec, s[22:23]
	s_cbranch_vccnz .LBB10_84
; %bb.83:
	v_cmp_eq_u32_e32 vcc, 1, v0
	v_cmp_eq_u32_e64 s[4:5], 2, v0
	v_cmp_eq_u32_e64 s[6:7], 3, v0
	v_cndmask_b32_e32 v78, v25, v27, vcc
	v_cndmask_b32_e64 v78, v78, v29, s[4:5]
	v_cndmask_b32_e64 v78, v78, v31, s[6:7]
	v_cmp_eq_u32_e64 s[8:9], 4, v0
	v_cmp_eq_u32_e64 s[10:11], 5, v0
	;; [unrolled: 1-line block ×3, first 2 shown]
	v_cndmask_b32_e64 v78, v78, v33, s[8:9]
	v_cndmask_b32_e64 v78, v78, v35, s[10:11]
	v_cndmask_b32_e64 v78, v78, v37, s[12:13]
	v_cmp_eq_u32_e64 s[14:15], 7, v0
	v_cmp_eq_u32_e64 s[16:17], 8, v0
	;; [unrolled: 1-line block ×3, first 2 shown]
	v_cndmask_b32_e64 v78, v78, v39, s[14:15]
	v_cndmask_b32_e64 v78, v78, v41, s[16:17]
	;; [unrolled: 1-line block ×3, first 2 shown]
	v_cmp_eq_u32_e64 s[20:21], 10, v0
	ds_read_b64 v[80:81], v83
	s_nop 0
	v_cndmask_b32_e64 v79, v78, v45, s[20:21]
	v_cndmask_b32_e32 v78, v24, v26, vcc
	v_cndmask_b32_e64 v78, v78, v28, s[4:5]
	v_cndmask_b32_e64 v78, v78, v30, s[6:7]
	;; [unrolled: 1-line block ×9, first 2 shown]
	s_waitcnt lgkmcnt(0)
	v_mul_f64 v[78:79], v[78:79], v[80:81]
	s_cbranch_execz .LBB10_85
	s_branch .LBB10_86
.LBB10_84:
                                        ; implicit-def: $vgpr78_vgpr79
.LBB10_85:
	ds_read_b64 v[78:79], v83
.LBB10_86:
	s_and_saveexec_b64 s[6:7], s[0:1]
	s_cbranch_execz .LBB10_96
; %bb.87:
	v_add_u32_e32 v80, -5, v0
	v_add_u32_e32 v81, -4, v0
	v_cmp_lt_u32_e32 vcc, 6, v80
	v_mov_b32_e32 v80, 4
	s_and_saveexec_b64 s[0:1], vcc
	s_cbranch_execz .LBB10_91
; %bb.88:
	v_and_b32_e32 v80, -8, v81
	v_sub_u32_e32 v82, 0, v80
	s_mov_b64 s[4:5], 5
	s_movk_i32 s10, 0x80
	s_mov_b64 s[8:9], 0
.LBB10_89:                              ; =>This Inner Loop Header: Depth=1
	s_lshl_b32 s11, s4, 1
	s_add_i32 s12, s11, -1
	s_add_i32 s13, s11, -2
	s_set_gpr_idx_on s12, gpr_idx(SRC0)
	v_mov_b32_e32 v101, v24
	s_set_gpr_idx_off
	v_mov_b32_e32 v80, s10
	s_set_gpr_idx_on s13, gpr_idx(SRC0)
	v_mov_b32_e32 v100, v24
	s_set_gpr_idx_off
	ds_read_b128 v[84:87], v80
	ds_read_b128 v[88:91], v80 offset:16
	ds_read_b128 v[92:95], v80 offset:32
	;; [unrolled: 1-line block ×3, first 2 shown]
	s_set_gpr_idx_on s11, gpr_idx(SRC0)
	v_mov_b32_e32 v103, v25
	s_add_i32 s14, s11, 3
	v_mov_b32_e32 v102, v24
	s_set_gpr_idx_off
	s_add_i32 s15, s11, 2
	s_set_gpr_idx_on s14, gpr_idx(SRC0)
	v_mov_b32_e32 v105, v24
	s_set_gpr_idx_off
	s_add_i32 s16, s11, 5
	s_set_gpr_idx_on s15, gpr_idx(SRC0)
	v_mov_b32_e32 v104, v24
	s_set_gpr_idx_off
	s_add_i32 s17, s11, 4
	s_waitcnt lgkmcnt(3)
	v_fmac_f64_e32 v[78:79], v[100:101], v[84:85]
	s_set_gpr_idx_on s16, gpr_idx(SRC0)
	v_mov_b32_e32 v85, v24
	s_set_gpr_idx_off
	s_add_i32 s18, s11, 7
	v_fmac_f64_e32 v[78:79], v[102:103], v[86:87]
	s_set_gpr_idx_on s17, gpr_idx(SRC0)
	v_mov_b32_e32 v84, v24
	s_set_gpr_idx_off
	s_add_i32 s19, s11, 6
	s_waitcnt lgkmcnt(2)
	v_fmac_f64_e32 v[78:79], v[104:105], v[88:89]
	s_set_gpr_idx_on s18, gpr_idx(SRC0)
	v_mov_b32_e32 v87, v24
	s_set_gpr_idx_off
	s_add_i32 s20, s11, 9
	v_fmac_f64_e32 v[78:79], v[84:85], v[90:91]
	s_set_gpr_idx_on s19, gpr_idx(SRC0)
	v_mov_b32_e32 v86, v24
	s_set_gpr_idx_off
	s_add_i32 s21, s11, 8
	s_waitcnt lgkmcnt(1)
	v_fmac_f64_e32 v[78:79], v[86:87], v[92:93]
	s_set_gpr_idx_on s20, gpr_idx(SRC0)
	v_mov_b32_e32 v85, v24
	s_set_gpr_idx_off
	s_add_i32 s26, s11, 11
	s_set_gpr_idx_on s21, gpr_idx(SRC0)
	v_mov_b32_e32 v84, v24
	s_set_gpr_idx_off
	s_add_i32 s27, s11, 10
	s_add_i32 s28, s11, 13
	s_add_i32 s29, s11, 12
	v_fmac_f64_e32 v[78:79], v[84:85], v[94:95]
	s_set_gpr_idx_on s26, gpr_idx(SRC0)
	v_mov_b32_e32 v85, v24
	s_set_gpr_idx_off
	s_add_u32 s4, s4, 8
	s_set_gpr_idx_on s27, gpr_idx(SRC0)
	v_mov_b32_e32 v84, v24
	s_set_gpr_idx_off
	v_add_u32_e32 v80, s4, v82
	s_waitcnt lgkmcnt(0)
	v_fmac_f64_e32 v[78:79], v[84:85], v[96:97]
	s_set_gpr_idx_on s28, gpr_idx(SRC0)
	v_mov_b32_e32 v85, v24
	s_set_gpr_idx_off
	s_addc_u32 s5, s5, 0
	s_add_i32 s10, s10, 64
	s_add_i32 s12, s4, -1
	v_cmp_eq_u32_e32 vcc, 5, v80
	s_set_gpr_idx_on s29, gpr_idx(SRC0)
	v_mov_b32_e32 v84, v24
	s_set_gpr_idx_off
	v_mov_b32_e32 v80, s12
	s_or_b64 s[8:9], vcc, s[8:9]
	v_fmac_f64_e32 v[78:79], v[84:85], v[98:99]
	s_andn2_b64 exec, exec, s[8:9]
	s_cbranch_execnz .LBB10_89
; %bb.90:
	s_or_b64 exec, exec, s[8:9]
.LBB10_91:
	s_or_b64 exec, exec, s[0:1]
	v_and_b32_e32 v46, 7, v81
	v_cmp_ne_u32_e32 vcc, 0, v46
	s_and_saveexec_b64 s[8:9], vcc
	s_cbranch_execz .LBB10_95
; %bb.92:
	v_mov_b32_e32 v47, 0x60
	v_lshl_add_u32 v47, v80, 3, v47
	v_mov_b32_e32 v81, 0
	s_mov_b64 s[10:11], 0
.LBB10_93:                              ; =>This Inner Loop Header: Depth=1
	v_cmp_eq_u32_e32 vcc, 1, v80
	v_add_u32_e32 v46, -1, v46
	v_cmp_eq_u32_e64 s[0:1], 2, v80
	v_cndmask_b32_e32 v50, v25, v27, vcc
	v_cndmask_b32_e32 v51, v24, v26, vcc
	v_cndmask_b32_e64 v50, v50, v29, s[0:1]
	v_cmp_eq_u32_e32 vcc, 0, v46
	v_cmp_eq_u32_e64 s[4:5], 3, v80
	v_cndmask_b32_e64 v51, v51, v28, s[0:1]
	s_or_b64 s[10:11], vcc, s[10:11]
	v_cndmask_b32_e64 v50, v50, v31, s[4:5]
	v_cmp_eq_u32_e32 vcc, 4, v80
	v_cndmask_b32_e64 v51, v51, v30, s[4:5]
	v_cmp_eq_u32_e64 s[0:1], 5, v80
	v_cndmask_b32_e32 v50, v50, v33, vcc
	v_cndmask_b32_e32 v51, v51, v32, vcc
	v_cndmask_b32_e64 v50, v50, v35, s[0:1]
	v_cmp_eq_u32_e32 vcc, 6, v80
	v_cndmask_b32_e64 v51, v51, v34, s[0:1]
	v_cmp_eq_u32_e64 s[0:1], 7, v80
	v_cndmask_b32_e32 v50, v50, v37, vcc
	ds_read_b64 v[48:49], v47
	v_cndmask_b32_e64 v50, v50, v39, s[0:1]
	v_cndmask_b32_e32 v51, v51, v36, vcc
	v_cmp_eq_u32_e32 vcc, 8, v80
	v_cndmask_b32_e64 v51, v51, v38, s[0:1]
	v_cmp_eq_u32_e64 s[0:1], 9, v80
	v_cndmask_b32_e32 v50, v50, v41, vcc
	v_cmp_eq_u32_e64 s[4:5], 10, v80
	v_cndmask_b32_e64 v50, v50, v43, s[0:1]
	v_cndmask_b32_e32 v52, v51, v40, vcc
	v_cndmask_b32_e64 v51, v50, v45, s[4:5]
	v_cndmask_b32_e64 v50, v52, v42, s[0:1]
	;; [unrolled: 1-line block ×3, first 2 shown]
	v_add_u32_e32 v47, 8, v47
	v_lshl_add_u64 v[80:81], v[80:81], 0, 1
	s_waitcnt lgkmcnt(0)
	v_fmac_f64_e32 v[78:79], v[50:51], v[48:49]
	s_andn2_b64 exec, exec, s[10:11]
	s_cbranch_execnz .LBB10_93
; %bb.94:
	s_or_b64 exec, exec, s[10:11]
.LBB10_95:
	s_or_b64 exec, exec, s[8:9]
.LBB10_96:
	s_or_b64 exec, exec, s[6:7]
	v_mov_b32_e32 v30, 0
	ds_read_b64 v[30:31], v30 offset:24
	s_waitcnt lgkmcnt(0)
	v_mul_f64 v[30:31], v[78:79], v[30:31]
.LBB10_97:
	s_or_b64 exec, exec, s[24:25]
	v_cmp_lt_u32_e64 s[0:1], 2, v0
	ds_write_b64 v83, v[28:29]
	s_waitcnt lgkmcnt(0)
	; wave barrier
	s_and_saveexec_b64 s[24:25], s[0:1]
	s_cbranch_execz .LBB10_113
; %bb.98:
	s_andn2_b64 vcc, exec, s[22:23]
	s_cbranch_vccnz .LBB10_100
; %bb.99:
	v_cmp_eq_u32_e32 vcc, 1, v0
	v_cmp_eq_u32_e64 s[4:5], 2, v0
	v_cmp_eq_u32_e64 s[6:7], 3, v0
	v_cndmask_b32_e32 v78, v25, v27, vcc
	v_cndmask_b32_e64 v78, v78, v29, s[4:5]
	v_cndmask_b32_e64 v78, v78, v31, s[6:7]
	v_cmp_eq_u32_e64 s[8:9], 4, v0
	v_cmp_eq_u32_e64 s[10:11], 5, v0
	;; [unrolled: 1-line block ×3, first 2 shown]
	v_cndmask_b32_e64 v78, v78, v33, s[8:9]
	v_cndmask_b32_e64 v78, v78, v35, s[10:11]
	;; [unrolled: 1-line block ×3, first 2 shown]
	v_cmp_eq_u32_e64 s[14:15], 7, v0
	v_cmp_eq_u32_e64 s[16:17], 8, v0
	;; [unrolled: 1-line block ×3, first 2 shown]
	v_cndmask_b32_e64 v78, v78, v39, s[14:15]
	v_cndmask_b32_e64 v78, v78, v41, s[16:17]
	v_cndmask_b32_e64 v78, v78, v43, s[18:19]
	v_cmp_eq_u32_e64 s[20:21], 10, v0
	ds_read_b64 v[80:81], v83
	s_nop 0
	v_cndmask_b32_e64 v79, v78, v45, s[20:21]
	v_cndmask_b32_e32 v78, v24, v26, vcc
	v_cndmask_b32_e64 v78, v78, v28, s[4:5]
	v_cndmask_b32_e64 v78, v78, v30, s[6:7]
	;; [unrolled: 1-line block ×9, first 2 shown]
	s_waitcnt lgkmcnt(0)
	v_mul_f64 v[78:79], v[78:79], v[80:81]
	s_cbranch_execz .LBB10_101
	s_branch .LBB10_102
.LBB10_100:
                                        ; implicit-def: $vgpr78_vgpr79
.LBB10_101:
	ds_read_b64 v[78:79], v83
.LBB10_102:
	s_and_saveexec_b64 s[6:7], s[2:3]
	s_cbranch_execz .LBB10_112
; %bb.103:
	v_add_u32_e32 v80, -4, v0
	v_add_u32_e32 v81, -3, v0
	v_cmp_lt_u32_e32 vcc, 6, v80
	v_mov_b32_e32 v80, 3
	s_and_saveexec_b64 s[2:3], vcc
	s_cbranch_execz .LBB10_107
; %bb.104:
	v_and_b32_e32 v80, -8, v81
	v_sub_u32_e32 v82, 0, v80
	s_mov_b64 s[4:5], 10
	s_movk_i32 s10, 0x78
	s_mov_b64 s[8:9], 0
.LBB10_105:                             ; =>This Inner Loop Header: Depth=1
	s_lshl_b32 s11, s4, 1
	s_add_i32 s12, s11, -13
	v_mov_b32_e32 v98, s10
	s_add_i32 s13, s11, -14
	s_set_gpr_idx_on s12, gpr_idx(SRC0)
	v_mov_b32_e32 v93, v24
	s_set_gpr_idx_off
	s_add_i32 s14, s11, -11
	s_set_gpr_idx_on s13, gpr_idx(SRC0)
	v_mov_b32_e32 v92, v24
	s_set_gpr_idx_off
	ds_read2_b64 v[84:87], v98 offset1:1
	s_add_i32 s15, s11, -12
	s_set_gpr_idx_on s14, gpr_idx(SRC0)
	v_mov_b32_e32 v95, v24
	s_set_gpr_idx_off
	s_add_i32 s16, s11, -9
	s_set_gpr_idx_on s15, gpr_idx(SRC0)
	v_mov_b32_e32 v94, v24
	s_set_gpr_idx_off
	;; [unrolled: 4-line block ×4, first 2 shown]
	ds_read2_b64 v[88:91], v98 offset0:2 offset1:3
	s_add_i32 s19, s11, -8
	s_waitcnt lgkmcnt(1)
	v_fmac_f64_e32 v[78:79], v[92:93], v[84:85]
	s_set_gpr_idx_on s18, gpr_idx(SRC0)
	v_mov_b32_e32 v93, v24
	s_set_gpr_idx_off
	s_add_i32 s20, s11, -5
	v_fmac_f64_e32 v[78:79], v[94:95], v[86:87]
	s_set_gpr_idx_on s19, gpr_idx(SRC0)
	v_mov_b32_e32 v92, v24
	s_set_gpr_idx_off
	s_add_i32 s21, s11, -6
	s_set_gpr_idx_on s20, gpr_idx(SRC0)
	v_mov_b32_e32 v95, v24
	s_set_gpr_idx_off
	s_add_i32 s26, s11, -3
	;; [unrolled: 4-line block ×3, first 2 shown]
	ds_read2_b64 v[84:87], v98 offset0:4 offset1:5
	s_waitcnt lgkmcnt(1)
	v_fmac_f64_e32 v[78:79], v[96:97], v[88:89]
	s_set_gpr_idx_on s26, gpr_idx(SRC0)
	v_mov_b32_e32 v97, v24
	s_set_gpr_idx_off
	s_add_i32 s28, s11, -1
	v_fmac_f64_e32 v[78:79], v[92:93], v[90:91]
	s_set_gpr_idx_on s27, gpr_idx(SRC0)
	v_mov_b32_e32 v96, v24
	s_set_gpr_idx_off
	s_add_i32 s29, s11, -2
	s_set_gpr_idx_on s28, gpr_idx(SRC0)
	v_mov_b32_e32 v93, v24
	s_set_gpr_idx_off
	s_set_gpr_idx_on s29, gpr_idx(SRC0)
	v_mov_b32_e32 v92, v24
	s_set_gpr_idx_off
	ds_read2_b64 v[88:91], v98 offset0:6 offset1:7
	s_add_u32 s4, s4, 8
	s_waitcnt lgkmcnt(1)
	v_fmac_f64_e32 v[78:79], v[94:95], v[84:85]
	s_set_gpr_idx_on s11, gpr_idx(SRC0)
	v_mov_b32_e32 v85, v25
	s_set_gpr_idx_off
	v_add_u32_e32 v80, s4, v82
	v_fmac_f64_e32 v[78:79], v[96:97], v[86:87]
	s_set_gpr_idx_on s11, gpr_idx(SRC0)
	v_mov_b32_e32 v84, v24
	s_set_gpr_idx_off
	s_addc_u32 s5, s5, 0
	s_add_i32 s10, s10, 64
	s_add_i32 s12, s4, -7
	v_cmp_eq_u32_e32 vcc, 10, v80
	s_waitcnt lgkmcnt(0)
	v_fmac_f64_e32 v[78:79], v[92:93], v[88:89]
	v_mov_b32_e32 v80, s12
	s_or_b64 s[8:9], vcc, s[8:9]
	v_fmac_f64_e32 v[78:79], v[84:85], v[90:91]
	s_andn2_b64 exec, exec, s[8:9]
	s_cbranch_execnz .LBB10_105
; %bb.106:
	s_or_b64 exec, exec, s[8:9]
.LBB10_107:
	s_or_b64 exec, exec, s[2:3]
	v_and_b32_e32 v46, 7, v81
	v_cmp_ne_u32_e32 vcc, 0, v46
	s_and_saveexec_b64 s[8:9], vcc
	s_cbranch_execz .LBB10_111
; %bb.108:
	v_mov_b32_e32 v47, 0x60
	v_lshl_add_u32 v47, v80, 3, v47
	v_mov_b32_e32 v81, 0
	s_mov_b64 s[10:11], 0
.LBB10_109:                             ; =>This Inner Loop Header: Depth=1
	v_cmp_eq_u32_e32 vcc, 1, v80
	v_add_u32_e32 v46, -1, v46
	v_cmp_eq_u32_e64 s[2:3], 2, v80
	v_cndmask_b32_e32 v50, v25, v27, vcc
	v_cndmask_b32_e32 v51, v24, v26, vcc
	v_cndmask_b32_e64 v50, v50, v29, s[2:3]
	v_cmp_eq_u32_e32 vcc, 0, v46
	v_cmp_eq_u32_e64 s[4:5], 3, v80
	v_cndmask_b32_e64 v51, v51, v28, s[2:3]
	s_or_b64 s[10:11], vcc, s[10:11]
	v_cndmask_b32_e64 v50, v50, v31, s[4:5]
	v_cmp_eq_u32_e32 vcc, 4, v80
	v_cndmask_b32_e64 v51, v51, v30, s[4:5]
	v_cmp_eq_u32_e64 s[2:3], 5, v80
	v_cndmask_b32_e32 v50, v50, v33, vcc
	v_cndmask_b32_e32 v51, v51, v32, vcc
	v_cndmask_b32_e64 v50, v50, v35, s[2:3]
	v_cmp_eq_u32_e32 vcc, 6, v80
	v_cndmask_b32_e64 v51, v51, v34, s[2:3]
	v_cmp_eq_u32_e64 s[2:3], 7, v80
	v_cndmask_b32_e32 v50, v50, v37, vcc
	ds_read_b64 v[48:49], v47
	v_cndmask_b32_e64 v50, v50, v39, s[2:3]
	v_cndmask_b32_e32 v51, v51, v36, vcc
	v_cmp_eq_u32_e32 vcc, 8, v80
	v_cndmask_b32_e64 v51, v51, v38, s[2:3]
	v_cmp_eq_u32_e64 s[2:3], 9, v80
	v_cndmask_b32_e32 v50, v50, v41, vcc
	v_cmp_eq_u32_e64 s[4:5], 10, v80
	v_cndmask_b32_e64 v50, v50, v43, s[2:3]
	v_cndmask_b32_e32 v52, v51, v40, vcc
	v_cndmask_b32_e64 v51, v50, v45, s[4:5]
	v_cndmask_b32_e64 v50, v52, v42, s[2:3]
	;; [unrolled: 1-line block ×3, first 2 shown]
	v_add_u32_e32 v47, 8, v47
	v_lshl_add_u64 v[80:81], v[80:81], 0, 1
	s_waitcnt lgkmcnt(0)
	v_fmac_f64_e32 v[78:79], v[50:51], v[48:49]
	s_andn2_b64 exec, exec, s[10:11]
	s_cbranch_execnz .LBB10_109
; %bb.110:
	s_or_b64 exec, exec, s[10:11]
.LBB10_111:
	s_or_b64 exec, exec, s[8:9]
.LBB10_112:
	s_or_b64 exec, exec, s[6:7]
	v_mov_b32_e32 v28, 0
	ds_read_b64 v[28:29], v28 offset:16
	s_waitcnt lgkmcnt(0)
	v_mul_f64 v[28:29], v[78:79], v[28:29]
.LBB10_113:
	s_or_b64 exec, exec, s[24:25]
	v_cmp_lt_u32_e64 s[2:3], 1, v0
	ds_write_b64 v83, v[26:27]
	s_waitcnt lgkmcnt(0)
	; wave barrier
	s_and_saveexec_b64 s[24:25], s[2:3]
	s_cbranch_execz .LBB10_129
; %bb.114:
	s_andn2_b64 vcc, exec, s[22:23]
	s_cbranch_vccnz .LBB10_116
; %bb.115:
	v_cmp_eq_u32_e32 vcc, 1, v0
	v_cmp_eq_u32_e64 s[4:5], 2, v0
	v_cmp_eq_u32_e64 s[6:7], 3, v0
	v_cndmask_b32_e32 v78, v25, v27, vcc
	v_cndmask_b32_e64 v78, v78, v29, s[4:5]
	v_cndmask_b32_e64 v78, v78, v31, s[6:7]
	v_cmp_eq_u32_e64 s[8:9], 4, v0
	v_cmp_eq_u32_e64 s[10:11], 5, v0
	;; [unrolled: 1-line block ×3, first 2 shown]
	v_cndmask_b32_e64 v78, v78, v33, s[8:9]
	v_cndmask_b32_e64 v78, v78, v35, s[10:11]
	;; [unrolled: 1-line block ×3, first 2 shown]
	v_cmp_eq_u32_e64 s[14:15], 7, v0
	v_cmp_eq_u32_e64 s[16:17], 8, v0
	;; [unrolled: 1-line block ×3, first 2 shown]
	v_cndmask_b32_e64 v78, v78, v39, s[14:15]
	v_cndmask_b32_e64 v78, v78, v41, s[16:17]
	;; [unrolled: 1-line block ×3, first 2 shown]
	v_cmp_eq_u32_e64 s[20:21], 10, v0
	ds_read_b64 v[80:81], v83
	s_nop 0
	v_cndmask_b32_e64 v79, v78, v45, s[20:21]
	v_cndmask_b32_e32 v78, v24, v26, vcc
	v_cndmask_b32_e64 v78, v78, v28, s[4:5]
	v_cndmask_b32_e64 v78, v78, v30, s[6:7]
	;; [unrolled: 1-line block ×9, first 2 shown]
	s_waitcnt lgkmcnt(0)
	v_mul_f64 v[78:79], v[78:79], v[80:81]
	s_cbranch_execz .LBB10_117
	s_branch .LBB10_118
.LBB10_116:
                                        ; implicit-def: $vgpr78_vgpr79
.LBB10_117:
	ds_read_b64 v[78:79], v83
.LBB10_118:
	s_and_saveexec_b64 s[6:7], s[0:1]
	s_cbranch_execz .LBB10_128
; %bb.119:
	v_add_u32_e32 v80, -3, v0
	v_add_u32_e32 v81, -2, v0
	v_cmp_lt_u32_e32 vcc, 6, v80
	v_mov_b32_e32 v80, 2
	s_and_saveexec_b64 s[0:1], vcc
	s_cbranch_execz .LBB10_123
; %bb.120:
	v_and_b32_e32 v80, -8, v81
	v_sub_u32_e32 v82, 0, v80
	s_mov_b64 s[4:5], 9
	s_movk_i32 s10, 0x70
	s_mov_b64 s[8:9], 0
.LBB10_121:                             ; =>This Inner Loop Header: Depth=1
	s_lshl_b32 s11, s4, 1
	s_add_i32 s12, s11, -13
	s_add_i32 s13, s11, -14
	s_set_gpr_idx_on s12, gpr_idx(SRC0)
	v_mov_b32_e32 v101, v24
	s_set_gpr_idx_off
	v_mov_b32_e32 v80, s10
	s_add_i32 s14, s11, -11
	s_set_gpr_idx_on s13, gpr_idx(SRC0)
	v_mov_b32_e32 v100, v24
	s_set_gpr_idx_off
	s_add_i32 s15, s11, -12
	ds_read_b128 v[84:87], v80
	ds_read_b128 v[88:91], v80 offset:16
	ds_read_b128 v[92:95], v80 offset:32
	;; [unrolled: 1-line block ×3, first 2 shown]
	s_set_gpr_idx_on s14, gpr_idx(SRC0)
	v_mov_b32_e32 v103, v24
	s_set_gpr_idx_off
	s_add_i32 s16, s11, -9
	s_set_gpr_idx_on s15, gpr_idx(SRC0)
	v_mov_b32_e32 v102, v24
	s_set_gpr_idx_off
	s_add_i32 s17, s11, -10
	;; [unrolled: 4-line block ×4, first 2 shown]
	s_waitcnt lgkmcnt(3)
	v_fmac_f64_e32 v[78:79], v[100:101], v[84:85]
	s_set_gpr_idx_on s18, gpr_idx(SRC0)
	v_mov_b32_e32 v85, v24
	s_set_gpr_idx_off
	s_add_i32 s20, s11, -5
	v_fmac_f64_e32 v[78:79], v[102:103], v[86:87]
	s_set_gpr_idx_on s19, gpr_idx(SRC0)
	v_mov_b32_e32 v84, v24
	s_set_gpr_idx_off
	s_add_i32 s21, s11, -6
	s_waitcnt lgkmcnt(2)
	v_fmac_f64_e32 v[78:79], v[104:105], v[88:89]
	s_set_gpr_idx_on s20, gpr_idx(SRC0)
	v_mov_b32_e32 v87, v24
	s_set_gpr_idx_off
	s_add_i32 s26, s11, -3
	v_fmac_f64_e32 v[78:79], v[84:85], v[90:91]
	s_set_gpr_idx_on s21, gpr_idx(SRC0)
	v_mov_b32_e32 v86, v24
	s_set_gpr_idx_off
	s_add_i32 s27, s11, -4
	s_waitcnt lgkmcnt(1)
	v_fmac_f64_e32 v[78:79], v[86:87], v[92:93]
	s_set_gpr_idx_on s26, gpr_idx(SRC0)
	v_mov_b32_e32 v85, v24
	s_set_gpr_idx_off
	s_add_i32 s28, s11, -1
	s_set_gpr_idx_on s27, gpr_idx(SRC0)
	v_mov_b32_e32 v84, v24
	s_set_gpr_idx_off
	s_add_i32 s29, s11, -2
	v_fmac_f64_e32 v[78:79], v[84:85], v[94:95]
	s_set_gpr_idx_on s28, gpr_idx(SRC0)
	v_mov_b32_e32 v85, v24
	s_set_gpr_idx_off
	s_add_u32 s4, s4, 8
	s_set_gpr_idx_on s29, gpr_idx(SRC0)
	v_mov_b32_e32 v84, v24
	s_set_gpr_idx_off
	v_add_u32_e32 v80, s4, v82
	s_waitcnt lgkmcnt(0)
	v_fmac_f64_e32 v[78:79], v[84:85], v[96:97]
	s_set_gpr_idx_on s11, gpr_idx(SRC0)
	v_mov_b32_e32 v85, v25
	s_set_gpr_idx_off
	s_addc_u32 s5, s5, 0
	s_add_i32 s10, s10, 64
	s_add_i32 s12, s4, -7
	v_cmp_eq_u32_e32 vcc, 9, v80
	s_set_gpr_idx_on s11, gpr_idx(SRC0)
	v_mov_b32_e32 v84, v24
	s_set_gpr_idx_off
	v_mov_b32_e32 v80, s12
	s_or_b64 s[8:9], vcc, s[8:9]
	v_fmac_f64_e32 v[78:79], v[84:85], v[98:99]
	s_andn2_b64 exec, exec, s[8:9]
	s_cbranch_execnz .LBB10_121
; %bb.122:
	s_or_b64 exec, exec, s[8:9]
.LBB10_123:
	s_or_b64 exec, exec, s[0:1]
	v_and_b32_e32 v46, 7, v81
	v_cmp_ne_u32_e32 vcc, 0, v46
	s_and_saveexec_b64 s[8:9], vcc
	s_cbranch_execz .LBB10_127
; %bb.124:
	v_mov_b32_e32 v47, 0x60
	v_lshl_add_u32 v47, v80, 3, v47
	v_mov_b32_e32 v81, 0
	s_mov_b64 s[10:11], 0
.LBB10_125:                             ; =>This Inner Loop Header: Depth=1
	v_cmp_eq_u32_e32 vcc, 1, v80
	v_add_u32_e32 v46, -1, v46
	v_cmp_eq_u32_e64 s[0:1], 2, v80
	v_cndmask_b32_e32 v50, v25, v27, vcc
	v_cndmask_b32_e32 v51, v24, v26, vcc
	v_cndmask_b32_e64 v50, v50, v29, s[0:1]
	v_cmp_eq_u32_e32 vcc, 0, v46
	v_cmp_eq_u32_e64 s[4:5], 3, v80
	v_cndmask_b32_e64 v51, v51, v28, s[0:1]
	s_or_b64 s[10:11], vcc, s[10:11]
	v_cndmask_b32_e64 v50, v50, v31, s[4:5]
	v_cmp_eq_u32_e32 vcc, 4, v80
	v_cndmask_b32_e64 v51, v51, v30, s[4:5]
	v_cmp_eq_u32_e64 s[0:1], 5, v80
	v_cndmask_b32_e32 v50, v50, v33, vcc
	v_cndmask_b32_e32 v51, v51, v32, vcc
	v_cndmask_b32_e64 v50, v50, v35, s[0:1]
	v_cmp_eq_u32_e32 vcc, 6, v80
	v_cndmask_b32_e64 v51, v51, v34, s[0:1]
	v_cmp_eq_u32_e64 s[0:1], 7, v80
	v_cndmask_b32_e32 v50, v50, v37, vcc
	ds_read_b64 v[48:49], v47
	v_cndmask_b32_e64 v50, v50, v39, s[0:1]
	v_cndmask_b32_e32 v51, v51, v36, vcc
	v_cmp_eq_u32_e32 vcc, 8, v80
	v_cndmask_b32_e64 v51, v51, v38, s[0:1]
	v_cmp_eq_u32_e64 s[0:1], 9, v80
	v_cndmask_b32_e32 v50, v50, v41, vcc
	v_cmp_eq_u32_e64 s[4:5], 10, v80
	v_cndmask_b32_e64 v50, v50, v43, s[0:1]
	v_cndmask_b32_e32 v52, v51, v40, vcc
	v_cndmask_b32_e64 v51, v50, v45, s[4:5]
	v_cndmask_b32_e64 v50, v52, v42, s[0:1]
	;; [unrolled: 1-line block ×3, first 2 shown]
	v_add_u32_e32 v47, 8, v47
	v_lshl_add_u64 v[80:81], v[80:81], 0, 1
	s_waitcnt lgkmcnt(0)
	v_fmac_f64_e32 v[78:79], v[50:51], v[48:49]
	s_andn2_b64 exec, exec, s[10:11]
	s_cbranch_execnz .LBB10_125
; %bb.126:
	s_or_b64 exec, exec, s[10:11]
.LBB10_127:
	s_or_b64 exec, exec, s[8:9]
.LBB10_128:
	s_or_b64 exec, exec, s[6:7]
	v_mov_b32_e32 v26, 0
	ds_read_b64 v[26:27], v26 offset:8
	s_waitcnt lgkmcnt(0)
	v_mul_f64 v[26:27], v[78:79], v[26:27]
.LBB10_129:
	s_or_b64 exec, exec, s[24:25]
	v_cmp_ne_u32_e32 vcc, 0, v0
	ds_write_b64 v83, v[24:25]
	s_waitcnt lgkmcnt(0)
	; wave barrier
	s_and_saveexec_b64 s[20:21], vcc
	s_cbranch_execz .LBB10_145
; %bb.130:
	s_andn2_b64 vcc, exec, s[22:23]
	s_cbranch_vccnz .LBB10_132
; %bb.131:
	v_cmp_eq_u32_e32 vcc, 1, v0
	v_cmp_eq_u32_e64 s[0:1], 2, v0
	v_cmp_eq_u32_e64 s[4:5], 3, v0
	v_cndmask_b32_e32 v78, v25, v27, vcc
	v_cndmask_b32_e64 v78, v78, v29, s[0:1]
	v_cndmask_b32_e64 v78, v78, v31, s[4:5]
	v_cmp_eq_u32_e64 s[6:7], 4, v0
	v_cmp_eq_u32_e64 s[8:9], 5, v0
	;; [unrolled: 1-line block ×3, first 2 shown]
	v_cndmask_b32_e64 v78, v78, v33, s[6:7]
	v_cndmask_b32_e64 v78, v78, v35, s[8:9]
	;; [unrolled: 1-line block ×3, first 2 shown]
	v_cmp_eq_u32_e64 s[12:13], 7, v0
	v_cmp_eq_u32_e64 s[14:15], 8, v0
	v_cmp_eq_u32_e64 s[16:17], 9, v0
	v_cndmask_b32_e64 v78, v78, v39, s[12:13]
	v_cndmask_b32_e64 v78, v78, v41, s[14:15]
	;; [unrolled: 1-line block ×3, first 2 shown]
	v_cmp_eq_u32_e64 s[18:19], 10, v0
	ds_read_b64 v[80:81], v83
	s_nop 0
	v_cndmask_b32_e64 v79, v78, v45, s[18:19]
	v_cndmask_b32_e32 v78, v24, v26, vcc
	v_cndmask_b32_e64 v78, v78, v28, s[0:1]
	v_cndmask_b32_e64 v78, v78, v30, s[4:5]
	v_cndmask_b32_e64 v78, v78, v32, s[6:7]
	v_cndmask_b32_e64 v78, v78, v34, s[8:9]
	v_cndmask_b32_e64 v78, v78, v36, s[10:11]
	v_cndmask_b32_e64 v78, v78, v38, s[12:13]
	v_cndmask_b32_e64 v78, v78, v40, s[14:15]
	v_cndmask_b32_e64 v78, v78, v42, s[16:17]
	v_cndmask_b32_e64 v78, v78, v44, s[18:19]
	s_waitcnt lgkmcnt(0)
	v_mul_f64 v[78:79], v[78:79], v[80:81]
	s_cbranch_execz .LBB10_133
	s_branch .LBB10_134
.LBB10_132:
                                        ; implicit-def: $vgpr78_vgpr79
.LBB10_133:
	ds_read_b64 v[78:79], v83
.LBB10_134:
	s_and_saveexec_b64 s[4:5], s[2:3]
	s_cbranch_execz .LBB10_144
; %bb.135:
	v_add_u32_e32 v80, -2, v0
	v_add_u32_e32 v81, -1, v0
	v_cmp_lt_u32_e32 vcc, 6, v80
	v_mov_b32_e32 v80, 1
	s_and_saveexec_b64 s[0:1], vcc
	s_cbranch_execz .LBB10_139
; %bb.136:
	v_and_b32_e32 v80, -8, v81
	v_sub_u32_e32 v82, 0, v80
	s_mov_b64 s[2:3], 8
	s_movk_i32 s8, 0x68
	s_mov_b64 s[6:7], 0
.LBB10_137:                             ; =>This Inner Loop Header: Depth=1
	s_lshl_b32 s9, s2, 1
	s_add_i32 s10, s9, -13
	v_mov_b32_e32 v98, s8
	s_add_i32 s11, s9, -14
	s_set_gpr_idx_on s10, gpr_idx(SRC0)
	v_mov_b32_e32 v93, v24
	s_set_gpr_idx_off
	s_add_i32 s12, s9, -11
	s_set_gpr_idx_on s11, gpr_idx(SRC0)
	v_mov_b32_e32 v92, v24
	s_set_gpr_idx_off
	ds_read2_b64 v[84:87], v98 offset1:1
	s_add_i32 s13, s9, -12
	s_set_gpr_idx_on s12, gpr_idx(SRC0)
	v_mov_b32_e32 v95, v24
	s_set_gpr_idx_off
	s_add_i32 s14, s9, -9
	s_set_gpr_idx_on s13, gpr_idx(SRC0)
	v_mov_b32_e32 v94, v24
	s_set_gpr_idx_off
	;; [unrolled: 4-line block ×4, first 2 shown]
	ds_read2_b64 v[88:91], v98 offset0:2 offset1:3
	s_add_i32 s17, s9, -8
	s_waitcnt lgkmcnt(1)
	v_fmac_f64_e32 v[78:79], v[92:93], v[84:85]
	s_set_gpr_idx_on s16, gpr_idx(SRC0)
	v_mov_b32_e32 v93, v24
	s_set_gpr_idx_off
	s_add_i32 s18, s9, -5
	v_fmac_f64_e32 v[78:79], v[94:95], v[86:87]
	s_set_gpr_idx_on s17, gpr_idx(SRC0)
	v_mov_b32_e32 v92, v24
	s_set_gpr_idx_off
	s_add_i32 s19, s9, -6
	s_set_gpr_idx_on s18, gpr_idx(SRC0)
	v_mov_b32_e32 v95, v24
	s_set_gpr_idx_off
	s_add_i32 s24, s9, -3
	;; [unrolled: 4-line block ×3, first 2 shown]
	ds_read2_b64 v[84:87], v98 offset0:4 offset1:5
	s_waitcnt lgkmcnt(1)
	v_fmac_f64_e32 v[78:79], v[96:97], v[88:89]
	s_set_gpr_idx_on s24, gpr_idx(SRC0)
	v_mov_b32_e32 v97, v24
	s_set_gpr_idx_off
	s_add_i32 s26, s9, -1
	v_fmac_f64_e32 v[78:79], v[92:93], v[90:91]
	s_set_gpr_idx_on s25, gpr_idx(SRC0)
	v_mov_b32_e32 v96, v24
	s_set_gpr_idx_off
	s_add_i32 s27, s9, -2
	s_set_gpr_idx_on s26, gpr_idx(SRC0)
	v_mov_b32_e32 v93, v24
	s_set_gpr_idx_off
	s_set_gpr_idx_on s27, gpr_idx(SRC0)
	v_mov_b32_e32 v92, v24
	s_set_gpr_idx_off
	ds_read2_b64 v[88:91], v98 offset0:6 offset1:7
	s_add_u32 s2, s2, 8
	s_waitcnt lgkmcnt(1)
	v_fmac_f64_e32 v[78:79], v[94:95], v[84:85]
	s_set_gpr_idx_on s9, gpr_idx(SRC0)
	v_mov_b32_e32 v85, v25
	s_set_gpr_idx_off
	v_add_u32_e32 v80, s2, v82
	v_fmac_f64_e32 v[78:79], v[96:97], v[86:87]
	s_set_gpr_idx_on s9, gpr_idx(SRC0)
	v_mov_b32_e32 v84, v24
	s_set_gpr_idx_off
	s_addc_u32 s3, s3, 0
	s_add_i32 s8, s8, 64
	s_add_i32 s10, s2, -7
	v_cmp_eq_u32_e32 vcc, 8, v80
	s_waitcnt lgkmcnt(0)
	v_fmac_f64_e32 v[78:79], v[92:93], v[88:89]
	v_mov_b32_e32 v80, s10
	s_or_b64 s[6:7], vcc, s[6:7]
	v_fmac_f64_e32 v[78:79], v[84:85], v[90:91]
	s_andn2_b64 exec, exec, s[6:7]
	s_cbranch_execnz .LBB10_137
; %bb.138:
	s_or_b64 exec, exec, s[6:7]
.LBB10_139:
	s_or_b64 exec, exec, s[0:1]
	v_and_b32_e32 v46, 7, v81
	v_cmp_ne_u32_e32 vcc, 0, v46
	s_and_saveexec_b64 s[6:7], vcc
	s_cbranch_execz .LBB10_143
; %bb.140:
	v_mov_b32_e32 v47, 0x60
	v_lshl_add_u32 v47, v80, 3, v47
	v_mov_b32_e32 v81, 0
	s_mov_b64 s[8:9], 0
.LBB10_141:                             ; =>This Inner Loop Header: Depth=1
	v_cmp_eq_u32_e32 vcc, 1, v80
	v_add_u32_e32 v46, -1, v46
	v_cmp_eq_u32_e64 s[0:1], 2, v80
	v_cndmask_b32_e32 v50, v25, v27, vcc
	v_cndmask_b32_e32 v51, v24, v26, vcc
	v_cndmask_b32_e64 v50, v50, v29, s[0:1]
	v_cmp_eq_u32_e32 vcc, 0, v46
	v_cmp_eq_u32_e64 s[2:3], 3, v80
	v_cndmask_b32_e64 v51, v51, v28, s[0:1]
	s_or_b64 s[8:9], vcc, s[8:9]
	v_cndmask_b32_e64 v50, v50, v31, s[2:3]
	v_cmp_eq_u32_e32 vcc, 4, v80
	v_cndmask_b32_e64 v51, v51, v30, s[2:3]
	v_cmp_eq_u32_e64 s[0:1], 5, v80
	v_cndmask_b32_e32 v50, v50, v33, vcc
	v_cndmask_b32_e32 v51, v51, v32, vcc
	v_cndmask_b32_e64 v50, v50, v35, s[0:1]
	v_cmp_eq_u32_e32 vcc, 6, v80
	v_cndmask_b32_e64 v51, v51, v34, s[0:1]
	v_cmp_eq_u32_e64 s[0:1], 7, v80
	v_cndmask_b32_e32 v50, v50, v37, vcc
	ds_read_b64 v[48:49], v47
	v_cndmask_b32_e64 v50, v50, v39, s[0:1]
	v_cndmask_b32_e32 v51, v51, v36, vcc
	v_cmp_eq_u32_e32 vcc, 8, v80
	v_cndmask_b32_e64 v51, v51, v38, s[0:1]
	v_cmp_eq_u32_e64 s[0:1], 9, v80
	v_cndmask_b32_e32 v50, v50, v41, vcc
	v_cmp_eq_u32_e64 s[2:3], 10, v80
	v_cndmask_b32_e64 v50, v50, v43, s[0:1]
	v_cndmask_b32_e32 v52, v51, v40, vcc
	v_cndmask_b32_e64 v51, v50, v45, s[2:3]
	v_cndmask_b32_e64 v50, v52, v42, s[0:1]
	;; [unrolled: 1-line block ×3, first 2 shown]
	v_add_u32_e32 v47, 8, v47
	v_lshl_add_u64 v[80:81], v[80:81], 0, 1
	s_waitcnt lgkmcnt(0)
	v_fmac_f64_e32 v[78:79], v[50:51], v[48:49]
	s_andn2_b64 exec, exec, s[8:9]
	s_cbranch_execnz .LBB10_141
; %bb.142:
	s_or_b64 exec, exec, s[8:9]
.LBB10_143:
	s_or_b64 exec, exec, s[6:7]
.LBB10_144:
	s_or_b64 exec, exec, s[4:5]
	v_mov_b32_e32 v24, 0
	ds_read_b64 v[24:25], v24
	s_waitcnt lgkmcnt(0)
	v_mul_f64 v[24:25], v[78:79], v[24:25]
.LBB10_145:
	s_or_b64 exec, exec, s[20:21]
	s_branch .LBB10_249
.LBB10_146:
	v_cmp_eq_u32_e64 s[0:1], 0, v0
	s_waitcnt vmcnt(10)
	ds_write_b64 v83, v[4:5]
	s_waitcnt lgkmcnt(0)
	; wave barrier
	s_and_saveexec_b64 s[20:21], s[0:1]
	s_cbranch_execz .LBB10_152
; %bb.147:
	s_and_b64 vcc, exec, s[22:23]
	s_cbranch_vccz .LBB10_149
; %bb.148:
	v_cmp_eq_u32_e32 vcc, 1, v0
	v_cmp_eq_u32_e64 s[2:3], 2, v0
	v_cmp_eq_u32_e64 s[4:5], 3, v0
	s_waitcnt vmcnt(2)
	v_cndmask_b32_e32 v5, v3, v5, vcc
	v_cndmask_b32_e32 v4, v2, v4, vcc
	v_cndmask_b32_e64 v5, v5, v7, s[2:3]
	v_cndmask_b32_e64 v4, v4, v6, s[2:3]
	;; [unrolled: 1-line block ×3, first 2 shown]
	v_cmp_eq_u32_e64 s[6:7], 4, v0
	v_cndmask_b32_e64 v4, v4, v8, s[4:5]
	v_cmp_eq_u32_e64 s[8:9], 5, v0
	v_cndmask_b32_e64 v5, v5, v11, s[6:7]
	v_cndmask_b32_e64 v4, v4, v10, s[6:7]
	;; [unrolled: 1-line block ×3, first 2 shown]
	v_cmp_eq_u32_e64 s[10:11], 6, v0
	v_cndmask_b32_e64 v4, v4, v12, s[8:9]
	v_cmp_eq_u32_e64 s[12:13], 7, v0
	v_cndmask_b32_e64 v5, v5, v15, s[10:11]
	v_cndmask_b32_e64 v4, v4, v14, s[10:11]
	ds_read_b64 v[24:25], v83
	v_cndmask_b32_e64 v5, v5, v17, s[12:13]
	v_cmp_eq_u32_e64 s[14:15], 8, v0
	v_cndmask_b32_e64 v4, v4, v16, s[12:13]
	v_cmp_eq_u32_e64 s[16:17], 9, v0
	v_cndmask_b32_e64 v5, v5, v19, s[14:15]
	v_cndmask_b32_e64 v4, v4, v18, s[14:15]
	s_waitcnt vmcnt(1)
	v_cndmask_b32_e64 v5, v5, v21, s[16:17]
	v_cmp_eq_u32_e64 s[18:19], 10, v0
	v_cndmask_b32_e64 v4, v4, v20, s[16:17]
	s_waitcnt vmcnt(0)
	v_cndmask_b32_e64 v5, v5, v23, s[18:19]
	v_cndmask_b32_e64 v4, v4, v22, s[18:19]
	s_waitcnt lgkmcnt(0)
	v_mul_f64 v[4:5], v[4:5], v[24:25]
	s_cbranch_execz .LBB10_150
	s_branch .LBB10_151
.LBB10_149:
                                        ; implicit-def: $vgpr4_vgpr5
.LBB10_150:
	ds_read_b64 v[4:5], v83
.LBB10_151:
	v_mov_b32_e32 v24, 0
	ds_read_b64 v[24:25], v24 offset:8
	s_waitcnt lgkmcnt(0)
	v_mul_f64 v[4:5], v[4:5], v[24:25]
.LBB10_152:
	s_or_b64 exec, exec, s[20:21]
	v_cndmask_b32_e64 v24, 0, 1, s[22:23]
	v_cmp_gt_u32_e32 vcc, 2, v0
	v_cmp_ne_u32_e64 s[2:3], 1, v24
	s_waitcnt vmcnt(9)
	ds_write_b64 v83, v[6:7]
	s_waitcnt lgkmcnt(0)
	; wave barrier
	s_and_saveexec_b64 s[22:23], vcc
	s_cbranch_execz .LBB10_158
; %bb.153:
	s_and_b64 vcc, exec, s[2:3]
	s_cbranch_vccnz .LBB10_155
; %bb.154:
	v_cmp_eq_u32_e32 vcc, 1, v0
	v_cmp_eq_u32_e64 s[4:5], 2, v0
	v_cmp_eq_u32_e64 s[6:7], 3, v0
	s_waitcnt vmcnt(2)
	v_cndmask_b32_e32 v24, v3, v5, vcc
	v_cndmask_b32_e64 v7, v24, v7, s[4:5]
	v_cndmask_b32_e32 v24, v2, v4, vcc
	v_cndmask_b32_e64 v6, v24, v6, s[4:5]
	v_cndmask_b32_e64 v7, v7, v9, s[6:7]
	v_cmp_eq_u32_e64 s[8:9], 4, v0
	v_cndmask_b32_e64 v6, v6, v8, s[6:7]
	v_cmp_eq_u32_e64 s[10:11], 5, v0
	v_cndmask_b32_e64 v7, v7, v11, s[8:9]
	v_cndmask_b32_e64 v6, v6, v10, s[8:9]
	;; [unrolled: 1-line block ×3, first 2 shown]
	v_cmp_eq_u32_e64 s[12:13], 6, v0
	v_cndmask_b32_e64 v6, v6, v12, s[10:11]
	v_cmp_eq_u32_e64 s[14:15], 7, v0
	v_cndmask_b32_e64 v7, v7, v15, s[12:13]
	v_cndmask_b32_e64 v6, v6, v14, s[12:13]
	ds_read_b64 v[24:25], v83
	v_cndmask_b32_e64 v7, v7, v17, s[14:15]
	v_cmp_eq_u32_e64 s[16:17], 8, v0
	v_cndmask_b32_e64 v6, v6, v16, s[14:15]
	v_cmp_eq_u32_e64 s[18:19], 9, v0
	v_cndmask_b32_e64 v7, v7, v19, s[16:17]
	v_cndmask_b32_e64 v6, v6, v18, s[16:17]
	s_waitcnt vmcnt(1)
	v_cndmask_b32_e64 v7, v7, v21, s[18:19]
	v_cmp_eq_u32_e64 s[20:21], 10, v0
	v_cndmask_b32_e64 v6, v6, v20, s[18:19]
	s_waitcnt vmcnt(0)
	v_cndmask_b32_e64 v7, v7, v23, s[20:21]
	v_cndmask_b32_e64 v6, v6, v22, s[20:21]
	s_waitcnt lgkmcnt(0)
	v_mul_f64 v[6:7], v[6:7], v[24:25]
	s_cbranch_execz .LBB10_156
	s_branch .LBB10_157
.LBB10_155:
                                        ; implicit-def: $vgpr6_vgpr7
.LBB10_156:
	ds_read_b64 v[6:7], v83
.LBB10_157:
	v_mov_b32_e32 v24, 0
	ds_read2_b64 v[24:27], v24 offset0:2 offset1:13
	s_waitcnt lgkmcnt(0)
	v_fma_f64 v[26:27], v[4:5], v[26:27], v[6:7]
	v_cndmask_b32_e64 v7, v7, v27, s[0:1]
	v_cndmask_b32_e64 v6, v6, v26, s[0:1]
	v_mul_f64 v[6:7], v[6:7], v[24:25]
.LBB10_158:
	s_or_b64 exec, exec, s[22:23]
	v_add_u32_e32 v28, 1, v0
	v_cmp_gt_u32_e64 s[4:5], 3, v0
	s_waitcnt vmcnt(8)
	ds_write_b64 v83, v[8:9]
	s_waitcnt lgkmcnt(0)
	; wave barrier
	s_and_saveexec_b64 s[24:25], s[4:5]
	s_cbranch_execz .LBB10_166
; %bb.159:
	s_and_b64 vcc, exec, s[2:3]
	s_cbranch_vccnz .LBB10_161
; %bb.160:
	v_cmp_eq_u32_e32 vcc, 1, v0
	v_cmp_eq_u32_e64 s[6:7], 2, v0
	v_cmp_eq_u32_e64 s[8:9], 3, v0
	s_waitcnt vmcnt(2)
	v_cndmask_b32_e32 v24, v3, v5, vcc
	v_cndmask_b32_e64 v24, v24, v7, s[6:7]
	v_cndmask_b32_e64 v24, v24, v9, s[8:9]
	v_cmp_eq_u32_e64 s[10:11], 4, v0
	v_cmp_eq_u32_e64 s[12:13], 5, v0
	;; [unrolled: 1-line block ×3, first 2 shown]
	v_cndmask_b32_e64 v24, v24, v11, s[10:11]
	v_cndmask_b32_e64 v24, v24, v13, s[12:13]
	;; [unrolled: 1-line block ×3, first 2 shown]
	v_cmp_eq_u32_e64 s[16:17], 7, v0
	v_cmp_eq_u32_e64 s[18:19], 8, v0
	;; [unrolled: 1-line block ×3, first 2 shown]
	v_cndmask_b32_e64 v24, v24, v17, s[16:17]
	v_cndmask_b32_e64 v24, v24, v19, s[18:19]
	s_waitcnt vmcnt(1)
	v_cndmask_b32_e64 v24, v24, v21, s[20:21]
	v_cmp_eq_u32_e64 s[22:23], 10, v0
	ds_read_b64 v[26:27], v83
	s_waitcnt vmcnt(0)
	v_cndmask_b32_e64 v25, v24, v23, s[22:23]
	v_cndmask_b32_e32 v24, v2, v4, vcc
	v_cndmask_b32_e64 v24, v24, v6, s[6:7]
	v_cndmask_b32_e64 v24, v24, v8, s[8:9]
	;; [unrolled: 1-line block ×9, first 2 shown]
	s_waitcnt lgkmcnt(0)
	v_mul_f64 v[24:25], v[24:25], v[26:27]
	s_cbranch_execz .LBB10_162
	s_branch .LBB10_163
.LBB10_161:
                                        ; implicit-def: $vgpr24_vgpr25
.LBB10_162:
	ds_read_b64 v[24:25], v83
.LBB10_163:
	v_cmp_ne_u32_e32 vcc, 2, v0
	s_and_saveexec_b64 s[26:27], vcc
	s_cbranch_execz .LBB10_165
; %bb.164:
	v_cmp_eq_u32_e32 vcc, 1, v28
	v_cmp_eq_u32_e64 s[6:7], 2, v28
	v_cmp_eq_u32_e64 s[8:9], 3, v28
	s_waitcnt vmcnt(2)
	v_cndmask_b32_e32 v26, v3, v5, vcc
	v_cndmask_b32_e64 v26, v26, v7, s[6:7]
	v_cndmask_b32_e64 v9, v26, v9, s[8:9]
	v_cndmask_b32_e32 v26, v2, v4, vcc
	v_cndmask_b32_e64 v26, v26, v6, s[6:7]
	v_cmp_eq_u32_e64 s[10:11], 4, v28
	v_cndmask_b32_e64 v8, v26, v8, s[8:9]
	v_cmp_eq_u32_e64 s[12:13], 5, v28
	v_cndmask_b32_e64 v9, v9, v11, s[10:11]
	v_cndmask_b32_e64 v8, v8, v10, s[10:11]
	;; [unrolled: 1-line block ×3, first 2 shown]
	v_cmp_eq_u32_e64 s[14:15], 6, v28
	v_cndmask_b32_e64 v8, v8, v12, s[12:13]
	v_cmp_eq_u32_e64 s[16:17], 7, v28
	v_cndmask_b32_e64 v9, v9, v15, s[14:15]
	v_cndmask_b32_e64 v8, v8, v14, s[14:15]
	;; [unrolled: 1-line block ×3, first 2 shown]
	v_cmp_eq_u32_e64 s[18:19], 8, v28
	v_cndmask_b32_e64 v8, v8, v16, s[16:17]
	v_mov_b32_e32 v29, 0
	ds_read_b64 v[26:27], v83 offset:8
	ds_read_b64 v[30:31], v29 offset:112
	v_cndmask_b32_e64 v9, v9, v19, s[18:19]
	v_cmp_eq_u32_e64 s[20:21], 9, v28
	v_cndmask_b32_e64 v8, v8, v18, s[18:19]
	v_cmp_eq_u32_e64 s[22:23], 10, v28
	s_waitcnt vmcnt(1)
	v_cndmask_b32_e64 v9, v9, v21, s[20:21]
	v_cndmask_b32_e64 v8, v8, v20, s[20:21]
	s_waitcnt vmcnt(0)
	v_cndmask_b32_e64 v9, v9, v23, s[22:23]
	v_cndmask_b32_e64 v8, v8, v22, s[22:23]
	s_waitcnt lgkmcnt(1)
	v_fmac_f64_e32 v[24:25], v[8:9], v[26:27]
	s_waitcnt lgkmcnt(0)
	v_fma_f64 v[8:9], v[6:7], v[30:31], v[24:25]
	v_cndmask_b32_e64 v25, v25, v9, s[0:1]
	v_cndmask_b32_e64 v24, v24, v8, s[0:1]
.LBB10_165:
	s_or_b64 exec, exec, s[26:27]
	v_mov_b32_e32 v8, 0
	ds_read_b64 v[8:9], v8 offset:24
	s_waitcnt lgkmcnt(0)
	v_mul_f64 v[8:9], v[24:25], v[8:9]
.LBB10_166:
	s_or_b64 exec, exec, s[24:25]
	v_cmp_gt_u32_e32 vcc, 4, v0
	s_waitcnt vmcnt(7)
	ds_write_b64 v83, v[10:11]
	s_waitcnt lgkmcnt(0)
	; wave barrier
	s_and_saveexec_b64 s[24:25], vcc
	s_cbranch_execz .LBB10_176
; %bb.167:
	s_and_b64 vcc, exec, s[2:3]
	s_cbranch_vccnz .LBB10_169
; %bb.168:
	v_cmp_eq_u32_e32 vcc, 1, v0
	v_cmp_eq_u32_e64 s[6:7], 2, v0
	v_cmp_eq_u32_e64 s[8:9], 3, v0
	s_waitcnt vmcnt(2)
	v_cndmask_b32_e32 v24, v3, v5, vcc
	v_cndmask_b32_e64 v24, v24, v7, s[6:7]
	v_cndmask_b32_e64 v24, v24, v9, s[8:9]
	v_cmp_eq_u32_e64 s[10:11], 4, v0
	v_cmp_eq_u32_e64 s[12:13], 5, v0
	;; [unrolled: 1-line block ×3, first 2 shown]
	v_cndmask_b32_e64 v24, v24, v11, s[10:11]
	v_cndmask_b32_e64 v24, v24, v13, s[12:13]
	;; [unrolled: 1-line block ×3, first 2 shown]
	v_cmp_eq_u32_e64 s[16:17], 7, v0
	v_cmp_eq_u32_e64 s[18:19], 8, v0
	;; [unrolled: 1-line block ×3, first 2 shown]
	v_cndmask_b32_e64 v24, v24, v17, s[16:17]
	v_cndmask_b32_e64 v24, v24, v19, s[18:19]
	s_waitcnt vmcnt(1)
	v_cndmask_b32_e64 v24, v24, v21, s[20:21]
	v_cmp_eq_u32_e64 s[22:23], 10, v0
	ds_read_b64 v[26:27], v83
	s_waitcnt vmcnt(0)
	v_cndmask_b32_e64 v25, v24, v23, s[22:23]
	v_cndmask_b32_e32 v24, v2, v4, vcc
	v_cndmask_b32_e64 v24, v24, v6, s[6:7]
	v_cndmask_b32_e64 v24, v24, v8, s[8:9]
	;; [unrolled: 1-line block ×9, first 2 shown]
	s_waitcnt lgkmcnt(0)
	v_mul_f64 v[24:25], v[24:25], v[26:27]
	s_cbranch_execz .LBB10_170
	s_branch .LBB10_171
.LBB10_169:
                                        ; implicit-def: $vgpr24_vgpr25
.LBB10_170:
	ds_read_b64 v[24:25], v83
.LBB10_171:
	v_cmp_ne_u32_e32 vcc, 3, v0
	s_and_saveexec_b64 s[10:11], vcc
	s_cbranch_execz .LBB10_175
; %bb.172:
	v_mov_b32_e32 v26, 0x68
	v_lshl_add_u32 v29, v0, 3, v26
	s_mov_b64 s[12:13], 0
	v_mov_b64_e32 v[26:27], v[0:1]
.LBB10_173:                             ; =>This Inner Loop Header: Depth=1
	v_lshl_add_u64 v[26:27], v[26:27], 0, 1
	v_cmp_eq_u32_e32 vcc, 1, v26
	v_cmp_eq_u32_e64 s[8:9], 2, v26
	v_cmp_lt_u32_e64 s[6:7], 2, v26
	s_waitcnt vmcnt(2)
	v_cndmask_b32_e32 v32, v3, v5, vcc
	v_cndmask_b32_e64 v32, v32, v7, s[8:9]
	v_cndmask_b32_e32 v33, v2, v4, vcc
	v_cmp_eq_u32_e32 vcc, 3, v26
	s_or_b64 s[12:13], s[6:7], s[12:13]
	v_cndmask_b32_e64 v33, v33, v6, s[8:9]
	v_cndmask_b32_e32 v32, v32, v9, vcc
	v_cmp_eq_u32_e64 s[6:7], 4, v26
	v_cndmask_b32_e32 v33, v33, v8, vcc
	v_cmp_eq_u32_e32 vcc, 5, v26
	v_cndmask_b32_e64 v32, v32, v11, s[6:7]
	v_cndmask_b32_e64 v33, v33, v10, s[6:7]
	v_cndmask_b32_e32 v32, v32, v13, vcc
	v_cmp_eq_u32_e64 s[6:7], 6, v26
	v_cndmask_b32_e32 v33, v33, v12, vcc
	v_cmp_eq_u32_e32 vcc, 7, v26
	v_cndmask_b32_e64 v32, v32, v15, s[6:7]
	ds_read_b64 v[30:31], v29
	v_cndmask_b32_e32 v32, v32, v17, vcc
	v_cndmask_b32_e64 v33, v33, v14, s[6:7]
	v_cmp_eq_u32_e64 s[6:7], 8, v26
	v_cndmask_b32_e32 v33, v33, v16, vcc
	v_cmp_eq_u32_e32 vcc, 9, v26
	v_cndmask_b32_e64 v32, v32, v19, s[6:7]
	v_cndmask_b32_e64 v34, v33, v18, s[6:7]
	s_waitcnt vmcnt(1)
	v_cndmask_b32_e32 v32, v32, v21, vcc
	v_cmp_eq_u32_e64 s[6:7], 10, v26
	v_add_u32_e32 v29, 8, v29
	s_waitcnt vmcnt(0)
	v_cndmask_b32_e64 v33, v32, v23, s[6:7]
	v_cndmask_b32_e32 v32, v34, v20, vcc
	v_cndmask_b32_e64 v32, v32, v22, s[6:7]
	s_waitcnt lgkmcnt(0)
	v_fmac_f64_e32 v[24:25], v[32:33], v[30:31]
	s_andn2_b64 exec, exec, s[12:13]
	s_cbranch_execnz .LBB10_173
; %bb.174:
	s_or_b64 exec, exec, s[12:13]
.LBB10_175:
	s_or_b64 exec, exec, s[10:11]
	v_mov_b32_e32 v10, 0
	ds_read_b64 v[10:11], v10 offset:32
	s_waitcnt lgkmcnt(0)
	v_mul_f64 v[10:11], v[24:25], v[10:11]
.LBB10_176:
	s_or_b64 exec, exec, s[24:25]
	v_cmp_gt_u32_e64 s[6:7], 5, v0
	s_waitcnt vmcnt(6)
	ds_write_b64 v83, v[12:13]
	s_waitcnt lgkmcnt(0)
	; wave barrier
	s_and_saveexec_b64 s[26:27], s[6:7]
	s_cbranch_execz .LBB10_186
; %bb.177:
	s_and_b64 vcc, exec, s[2:3]
	s_cbranch_vccnz .LBB10_179
; %bb.178:
	v_cmp_eq_u32_e32 vcc, 1, v0
	v_cmp_eq_u32_e64 s[8:9], 2, v0
	v_cmp_eq_u32_e64 s[10:11], 3, v0
	s_waitcnt vmcnt(2)
	v_cndmask_b32_e32 v24, v3, v5, vcc
	v_cndmask_b32_e64 v24, v24, v7, s[8:9]
	v_cndmask_b32_e64 v24, v24, v9, s[10:11]
	v_cmp_eq_u32_e64 s[12:13], 4, v0
	v_cmp_eq_u32_e64 s[14:15], 5, v0
	;; [unrolled: 1-line block ×3, first 2 shown]
	v_cndmask_b32_e64 v24, v24, v11, s[12:13]
	v_cndmask_b32_e64 v24, v24, v13, s[14:15]
	;; [unrolled: 1-line block ×3, first 2 shown]
	v_cmp_eq_u32_e64 s[18:19], 7, v0
	v_cmp_eq_u32_e64 s[20:21], 8, v0
	;; [unrolled: 1-line block ×3, first 2 shown]
	v_cndmask_b32_e64 v24, v24, v17, s[18:19]
	v_cndmask_b32_e64 v24, v24, v19, s[20:21]
	s_waitcnt vmcnt(1)
	v_cndmask_b32_e64 v24, v24, v21, s[22:23]
	v_cmp_eq_u32_e64 s[24:25], 10, v0
	ds_read_b64 v[26:27], v83
	s_waitcnt vmcnt(0)
	v_cndmask_b32_e64 v25, v24, v23, s[24:25]
	v_cndmask_b32_e32 v24, v2, v4, vcc
	v_cndmask_b32_e64 v24, v24, v6, s[8:9]
	v_cndmask_b32_e64 v24, v24, v8, s[10:11]
	;; [unrolled: 1-line block ×9, first 2 shown]
	s_waitcnt lgkmcnt(0)
	v_mul_f64 v[24:25], v[24:25], v[26:27]
	s_cbranch_execz .LBB10_180
	s_branch .LBB10_181
.LBB10_179:
                                        ; implicit-def: $vgpr24_vgpr25
.LBB10_180:
	ds_read_b64 v[24:25], v83
.LBB10_181:
	v_cmp_ne_u32_e32 vcc, 4, v0
	s_and_saveexec_b64 s[12:13], vcc
	s_cbranch_execz .LBB10_185
; %bb.182:
	v_mov_b32_e32 v26, 0x68
	v_lshl_add_u32 v29, v0, 3, v26
	s_mov_b64 s[14:15], 0
	v_mov_b64_e32 v[26:27], v[0:1]
.LBB10_183:                             ; =>This Inner Loop Header: Depth=1
	v_lshl_add_u64 v[26:27], v[26:27], 0, 1
	v_cmp_eq_u32_e32 vcc, 1, v26
	v_cmp_eq_u32_e64 s[10:11], 2, v26
	v_cmp_lt_u32_e64 s[8:9], 3, v26
	s_waitcnt vmcnt(2)
	v_cndmask_b32_e32 v32, v3, v5, vcc
	v_cndmask_b32_e64 v32, v32, v7, s[10:11]
	v_cndmask_b32_e32 v33, v2, v4, vcc
	v_cmp_eq_u32_e32 vcc, 3, v26
	s_or_b64 s[14:15], s[8:9], s[14:15]
	v_cndmask_b32_e64 v33, v33, v6, s[10:11]
	v_cndmask_b32_e32 v32, v32, v9, vcc
	v_cmp_eq_u32_e64 s[8:9], 4, v26
	v_cndmask_b32_e32 v33, v33, v8, vcc
	v_cmp_eq_u32_e32 vcc, 5, v26
	v_cndmask_b32_e64 v32, v32, v11, s[8:9]
	v_cndmask_b32_e64 v33, v33, v10, s[8:9]
	v_cndmask_b32_e32 v32, v32, v13, vcc
	v_cmp_eq_u32_e64 s[8:9], 6, v26
	v_cndmask_b32_e32 v33, v33, v12, vcc
	v_cmp_eq_u32_e32 vcc, 7, v26
	v_cndmask_b32_e64 v32, v32, v15, s[8:9]
	ds_read_b64 v[30:31], v29
	v_cndmask_b32_e32 v32, v32, v17, vcc
	v_cndmask_b32_e64 v33, v33, v14, s[8:9]
	v_cmp_eq_u32_e64 s[8:9], 8, v26
	v_cndmask_b32_e32 v33, v33, v16, vcc
	v_cmp_eq_u32_e32 vcc, 9, v26
	v_cndmask_b32_e64 v32, v32, v19, s[8:9]
	v_cndmask_b32_e64 v34, v33, v18, s[8:9]
	s_waitcnt vmcnt(1)
	v_cndmask_b32_e32 v32, v32, v21, vcc
	v_cmp_eq_u32_e64 s[8:9], 10, v26
	v_add_u32_e32 v29, 8, v29
	s_waitcnt vmcnt(0)
	v_cndmask_b32_e64 v33, v32, v23, s[8:9]
	v_cndmask_b32_e32 v32, v34, v20, vcc
	v_cndmask_b32_e64 v32, v32, v22, s[8:9]
	s_waitcnt lgkmcnt(0)
	v_fmac_f64_e32 v[24:25], v[32:33], v[30:31]
	s_andn2_b64 exec, exec, s[14:15]
	s_cbranch_execnz .LBB10_183
; %bb.184:
	s_or_b64 exec, exec, s[14:15]
.LBB10_185:
	s_or_b64 exec, exec, s[12:13]
	v_mov_b32_e32 v12, 0
	ds_read_b64 v[12:13], v12 offset:40
	s_waitcnt lgkmcnt(0)
	v_mul_f64 v[12:13], v[24:25], v[12:13]
.LBB10_186:
	s_or_b64 exec, exec, s[26:27]
	v_cmp_gt_u32_e32 vcc, 6, v0
	s_waitcnt vmcnt(5)
	ds_write_b64 v83, v[14:15]
	s_waitcnt lgkmcnt(0)
	; wave barrier
	s_and_saveexec_b64 s[26:27], vcc
	s_cbranch_execz .LBB10_196
; %bb.187:
	s_and_b64 vcc, exec, s[2:3]
	s_cbranch_vccnz .LBB10_189
; %bb.188:
	v_cmp_eq_u32_e32 vcc, 1, v0
	v_cmp_eq_u32_e64 s[8:9], 2, v0
	v_cmp_eq_u32_e64 s[10:11], 3, v0
	s_waitcnt vmcnt(2)
	v_cndmask_b32_e32 v24, v3, v5, vcc
	v_cndmask_b32_e64 v24, v24, v7, s[8:9]
	v_cndmask_b32_e64 v24, v24, v9, s[10:11]
	v_cmp_eq_u32_e64 s[12:13], 4, v0
	v_cmp_eq_u32_e64 s[14:15], 5, v0
	;; [unrolled: 1-line block ×3, first 2 shown]
	v_cndmask_b32_e64 v24, v24, v11, s[12:13]
	v_cndmask_b32_e64 v24, v24, v13, s[14:15]
	;; [unrolled: 1-line block ×3, first 2 shown]
	v_cmp_eq_u32_e64 s[18:19], 7, v0
	v_cmp_eq_u32_e64 s[20:21], 8, v0
	;; [unrolled: 1-line block ×3, first 2 shown]
	v_cndmask_b32_e64 v24, v24, v17, s[18:19]
	v_cndmask_b32_e64 v24, v24, v19, s[20:21]
	s_waitcnt vmcnt(1)
	v_cndmask_b32_e64 v24, v24, v21, s[22:23]
	v_cmp_eq_u32_e64 s[24:25], 10, v0
	ds_read_b64 v[26:27], v83
	s_waitcnt vmcnt(0)
	v_cndmask_b32_e64 v25, v24, v23, s[24:25]
	v_cndmask_b32_e32 v24, v2, v4, vcc
	v_cndmask_b32_e64 v24, v24, v6, s[8:9]
	v_cndmask_b32_e64 v24, v24, v8, s[10:11]
	;; [unrolled: 1-line block ×9, first 2 shown]
	s_waitcnt lgkmcnt(0)
	v_mul_f64 v[24:25], v[24:25], v[26:27]
	s_cbranch_execz .LBB10_190
	s_branch .LBB10_191
.LBB10_189:
                                        ; implicit-def: $vgpr24_vgpr25
.LBB10_190:
	ds_read_b64 v[24:25], v83
.LBB10_191:
	v_cmp_ne_u32_e32 vcc, 5, v0
	s_and_saveexec_b64 s[12:13], vcc
	s_cbranch_execz .LBB10_195
; %bb.192:
	v_mov_b32_e32 v26, 0x68
	v_lshl_add_u32 v29, v0, 3, v26
	s_mov_b64 s[14:15], 0
	v_mov_b64_e32 v[26:27], v[0:1]
.LBB10_193:                             ; =>This Inner Loop Header: Depth=1
	v_lshl_add_u64 v[26:27], v[26:27], 0, 1
	v_cmp_eq_u32_e32 vcc, 1, v26
	v_cmp_eq_u32_e64 s[10:11], 2, v26
	v_cmp_lt_u32_e64 s[8:9], 4, v26
	s_waitcnt vmcnt(2)
	v_cndmask_b32_e32 v32, v3, v5, vcc
	v_cndmask_b32_e64 v32, v32, v7, s[10:11]
	v_cndmask_b32_e32 v33, v2, v4, vcc
	v_cmp_eq_u32_e32 vcc, 3, v26
	s_or_b64 s[14:15], s[8:9], s[14:15]
	v_cndmask_b32_e64 v33, v33, v6, s[10:11]
	v_cndmask_b32_e32 v32, v32, v9, vcc
	v_cmp_eq_u32_e64 s[8:9], 4, v26
	v_cndmask_b32_e32 v33, v33, v8, vcc
	v_cmp_eq_u32_e32 vcc, 5, v26
	v_cndmask_b32_e64 v32, v32, v11, s[8:9]
	v_cndmask_b32_e64 v33, v33, v10, s[8:9]
	v_cndmask_b32_e32 v32, v32, v13, vcc
	v_cmp_eq_u32_e64 s[8:9], 6, v26
	v_cndmask_b32_e32 v33, v33, v12, vcc
	v_cmp_eq_u32_e32 vcc, 7, v26
	v_cndmask_b32_e64 v32, v32, v15, s[8:9]
	ds_read_b64 v[30:31], v29
	v_cndmask_b32_e32 v32, v32, v17, vcc
	v_cndmask_b32_e64 v33, v33, v14, s[8:9]
	v_cmp_eq_u32_e64 s[8:9], 8, v26
	v_cndmask_b32_e32 v33, v33, v16, vcc
	v_cmp_eq_u32_e32 vcc, 9, v26
	v_cndmask_b32_e64 v32, v32, v19, s[8:9]
	v_cndmask_b32_e64 v34, v33, v18, s[8:9]
	s_waitcnt vmcnt(1)
	v_cndmask_b32_e32 v32, v32, v21, vcc
	v_cmp_eq_u32_e64 s[8:9], 10, v26
	v_add_u32_e32 v29, 8, v29
	s_waitcnt vmcnt(0)
	v_cndmask_b32_e64 v33, v32, v23, s[8:9]
	v_cndmask_b32_e32 v32, v34, v20, vcc
	v_cndmask_b32_e64 v32, v32, v22, s[8:9]
	s_waitcnt lgkmcnt(0)
	v_fmac_f64_e32 v[24:25], v[32:33], v[30:31]
	s_andn2_b64 exec, exec, s[14:15]
	s_cbranch_execnz .LBB10_193
; %bb.194:
	s_or_b64 exec, exec, s[14:15]
.LBB10_195:
	s_or_b64 exec, exec, s[12:13]
	v_mov_b32_e32 v14, 0
	ds_read_b64 v[14:15], v14 offset:48
	s_waitcnt lgkmcnt(0)
	v_mul_f64 v[14:15], v[24:25], v[14:15]
.LBB10_196:
	s_or_b64 exec, exec, s[26:27]
	v_cmp_gt_u32_e64 s[10:11], 7, v0
	s_waitcnt vmcnt(4)
	ds_write_b64 v83, v[16:17]
	s_waitcnt lgkmcnt(0)
	; wave barrier
	s_and_saveexec_b64 s[28:29], s[10:11]
	s_cbranch_execz .LBB10_206
; %bb.197:
	s_and_b64 vcc, exec, s[2:3]
	s_cbranch_vccnz .LBB10_199
; %bb.198:
	v_cmp_eq_u32_e32 vcc, 1, v0
	v_cmp_eq_u32_e64 s[8:9], 2, v0
	v_cmp_eq_u32_e64 s[12:13], 3, v0
	s_waitcnt vmcnt(2)
	v_cndmask_b32_e32 v24, v3, v5, vcc
	v_cndmask_b32_e64 v24, v24, v7, s[8:9]
	v_cndmask_b32_e64 v24, v24, v9, s[12:13]
	v_cmp_eq_u32_e64 s[14:15], 4, v0
	v_cmp_eq_u32_e64 s[16:17], 5, v0
	;; [unrolled: 1-line block ×3, first 2 shown]
	v_cndmask_b32_e64 v24, v24, v11, s[14:15]
	v_cndmask_b32_e64 v24, v24, v13, s[16:17]
	;; [unrolled: 1-line block ×3, first 2 shown]
	v_cmp_eq_u32_e64 s[20:21], 7, v0
	v_cmp_eq_u32_e64 s[22:23], 8, v0
	;; [unrolled: 1-line block ×3, first 2 shown]
	v_cndmask_b32_e64 v24, v24, v17, s[20:21]
	v_cndmask_b32_e64 v24, v24, v19, s[22:23]
	s_waitcnt vmcnt(1)
	v_cndmask_b32_e64 v24, v24, v21, s[24:25]
	v_cmp_eq_u32_e64 s[26:27], 10, v0
	ds_read_b64 v[26:27], v83
	s_waitcnt vmcnt(0)
	v_cndmask_b32_e64 v25, v24, v23, s[26:27]
	v_cndmask_b32_e32 v24, v2, v4, vcc
	v_cndmask_b32_e64 v24, v24, v6, s[8:9]
	v_cndmask_b32_e64 v24, v24, v8, s[12:13]
	;; [unrolled: 1-line block ×9, first 2 shown]
	s_waitcnt lgkmcnt(0)
	v_mul_f64 v[24:25], v[24:25], v[26:27]
	s_cbranch_execz .LBB10_200
	s_branch .LBB10_201
.LBB10_199:
                                        ; implicit-def: $vgpr24_vgpr25
.LBB10_200:
	ds_read_b64 v[24:25], v83
.LBB10_201:
	v_cmp_ne_u32_e32 vcc, 6, v0
	s_and_saveexec_b64 s[14:15], vcc
	s_cbranch_execz .LBB10_205
; %bb.202:
	v_mov_b32_e32 v26, 0x68
	v_lshl_add_u32 v29, v0, 3, v26
	s_mov_b64 s[16:17], 0
	v_mov_b64_e32 v[26:27], v[0:1]
.LBB10_203:                             ; =>This Inner Loop Header: Depth=1
	v_lshl_add_u64 v[26:27], v[26:27], 0, 1
	v_cmp_eq_u32_e32 vcc, 1, v26
	v_cmp_eq_u32_e64 s[12:13], 2, v26
	v_cmp_lt_u32_e64 s[8:9], 5, v26
	s_waitcnt vmcnt(2)
	v_cndmask_b32_e32 v32, v3, v5, vcc
	v_cndmask_b32_e64 v32, v32, v7, s[12:13]
	v_cndmask_b32_e32 v33, v2, v4, vcc
	v_cmp_eq_u32_e32 vcc, 3, v26
	s_or_b64 s[16:17], s[8:9], s[16:17]
	v_cndmask_b32_e64 v33, v33, v6, s[12:13]
	v_cndmask_b32_e32 v32, v32, v9, vcc
	v_cmp_eq_u32_e64 s[8:9], 4, v26
	v_cndmask_b32_e32 v33, v33, v8, vcc
	v_cmp_eq_u32_e32 vcc, 5, v26
	v_cndmask_b32_e64 v32, v32, v11, s[8:9]
	v_cndmask_b32_e64 v33, v33, v10, s[8:9]
	v_cndmask_b32_e32 v32, v32, v13, vcc
	v_cmp_eq_u32_e64 s[8:9], 6, v26
	v_cndmask_b32_e32 v33, v33, v12, vcc
	v_cmp_eq_u32_e32 vcc, 7, v26
	v_cndmask_b32_e64 v32, v32, v15, s[8:9]
	ds_read_b64 v[30:31], v29
	v_cndmask_b32_e32 v32, v32, v17, vcc
	v_cndmask_b32_e64 v33, v33, v14, s[8:9]
	v_cmp_eq_u32_e64 s[8:9], 8, v26
	v_cndmask_b32_e32 v33, v33, v16, vcc
	v_cmp_eq_u32_e32 vcc, 9, v26
	v_cndmask_b32_e64 v32, v32, v19, s[8:9]
	v_cndmask_b32_e64 v34, v33, v18, s[8:9]
	s_waitcnt vmcnt(1)
	v_cndmask_b32_e32 v32, v32, v21, vcc
	v_cmp_eq_u32_e64 s[8:9], 10, v26
	v_add_u32_e32 v29, 8, v29
	s_waitcnt vmcnt(0)
	v_cndmask_b32_e64 v33, v32, v23, s[8:9]
	v_cndmask_b32_e32 v32, v34, v20, vcc
	v_cndmask_b32_e64 v32, v32, v22, s[8:9]
	s_waitcnt lgkmcnt(0)
	v_fmac_f64_e32 v[24:25], v[32:33], v[30:31]
	s_andn2_b64 exec, exec, s[16:17]
	s_cbranch_execnz .LBB10_203
; %bb.204:
	s_or_b64 exec, exec, s[16:17]
.LBB10_205:
	s_or_b64 exec, exec, s[14:15]
	v_mov_b32_e32 v16, 0
	ds_read_b64 v[16:17], v16 offset:56
	s_waitcnt lgkmcnt(0)
	v_mul_f64 v[16:17], v[24:25], v[16:17]
.LBB10_206:
	s_or_b64 exec, exec, s[28:29]
	v_cmp_gt_u32_e32 vcc, 8, v0
	s_waitcnt vmcnt(3)
	ds_write_b64 v83, v[18:19]
	s_waitcnt lgkmcnt(0)
	; wave barrier
	s_and_saveexec_b64 s[28:29], vcc
	s_cbranch_execz .LBB10_216
; %bb.207:
	s_and_b64 vcc, exec, s[2:3]
	s_cbranch_vccnz .LBB10_209
; %bb.208:
	v_cmp_eq_u32_e32 vcc, 1, v0
	v_cmp_eq_u32_e64 s[8:9], 2, v0
	v_cmp_eq_u32_e64 s[12:13], 3, v0
	s_waitcnt vmcnt(2)
	v_cndmask_b32_e32 v24, v3, v5, vcc
	v_cndmask_b32_e64 v24, v24, v7, s[8:9]
	v_cndmask_b32_e64 v24, v24, v9, s[12:13]
	v_cmp_eq_u32_e64 s[14:15], 4, v0
	v_cmp_eq_u32_e64 s[16:17], 5, v0
	;; [unrolled: 1-line block ×3, first 2 shown]
	v_cndmask_b32_e64 v24, v24, v11, s[14:15]
	v_cndmask_b32_e64 v24, v24, v13, s[16:17]
	;; [unrolled: 1-line block ×3, first 2 shown]
	v_cmp_eq_u32_e64 s[20:21], 7, v0
	v_cmp_eq_u32_e64 s[22:23], 8, v0
	;; [unrolled: 1-line block ×3, first 2 shown]
	v_cndmask_b32_e64 v24, v24, v17, s[20:21]
	v_cndmask_b32_e64 v24, v24, v19, s[22:23]
	s_waitcnt vmcnt(1)
	v_cndmask_b32_e64 v24, v24, v21, s[24:25]
	v_cmp_eq_u32_e64 s[26:27], 10, v0
	ds_read_b64 v[26:27], v83
	s_waitcnt vmcnt(0)
	v_cndmask_b32_e64 v25, v24, v23, s[26:27]
	v_cndmask_b32_e32 v24, v2, v4, vcc
	v_cndmask_b32_e64 v24, v24, v6, s[8:9]
	v_cndmask_b32_e64 v24, v24, v8, s[12:13]
	;; [unrolled: 1-line block ×9, first 2 shown]
	s_waitcnt lgkmcnt(0)
	v_mul_f64 v[24:25], v[24:25], v[26:27]
	s_cbranch_execz .LBB10_210
	s_branch .LBB10_211
.LBB10_209:
                                        ; implicit-def: $vgpr24_vgpr25
.LBB10_210:
	ds_read_b64 v[24:25], v83
.LBB10_211:
	v_cmp_ne_u32_e32 vcc, 7, v0
	s_and_saveexec_b64 s[14:15], vcc
	s_cbranch_execz .LBB10_215
; %bb.212:
	v_mov_b32_e32 v26, 0x68
	v_lshl_add_u32 v29, v0, 3, v26
	s_mov_b64 s[16:17], 0
	v_mov_b64_e32 v[26:27], v[0:1]
.LBB10_213:                             ; =>This Inner Loop Header: Depth=1
	v_lshl_add_u64 v[26:27], v[26:27], 0, 1
	v_cmp_eq_u32_e32 vcc, 1, v26
	v_cmp_eq_u32_e64 s[12:13], 2, v26
	v_cmp_lt_u32_e64 s[8:9], 6, v26
	s_waitcnt vmcnt(2)
	v_cndmask_b32_e32 v32, v3, v5, vcc
	v_cndmask_b32_e64 v32, v32, v7, s[12:13]
	v_cndmask_b32_e32 v33, v2, v4, vcc
	v_cmp_eq_u32_e32 vcc, 3, v26
	s_or_b64 s[16:17], s[8:9], s[16:17]
	v_cndmask_b32_e64 v33, v33, v6, s[12:13]
	v_cndmask_b32_e32 v32, v32, v9, vcc
	v_cmp_eq_u32_e64 s[8:9], 4, v26
	v_cndmask_b32_e32 v33, v33, v8, vcc
	v_cmp_eq_u32_e32 vcc, 5, v26
	v_cndmask_b32_e64 v32, v32, v11, s[8:9]
	v_cndmask_b32_e64 v33, v33, v10, s[8:9]
	v_cndmask_b32_e32 v32, v32, v13, vcc
	v_cmp_eq_u32_e64 s[8:9], 6, v26
	v_cndmask_b32_e32 v33, v33, v12, vcc
	v_cmp_eq_u32_e32 vcc, 7, v26
	v_cndmask_b32_e64 v32, v32, v15, s[8:9]
	ds_read_b64 v[30:31], v29
	v_cndmask_b32_e32 v32, v32, v17, vcc
	v_cndmask_b32_e64 v33, v33, v14, s[8:9]
	v_cmp_eq_u32_e64 s[8:9], 8, v26
	v_cndmask_b32_e32 v33, v33, v16, vcc
	v_cmp_eq_u32_e32 vcc, 9, v26
	v_cndmask_b32_e64 v32, v32, v19, s[8:9]
	v_cndmask_b32_e64 v34, v33, v18, s[8:9]
	s_waitcnt vmcnt(1)
	v_cndmask_b32_e32 v32, v32, v21, vcc
	v_cmp_eq_u32_e64 s[8:9], 10, v26
	v_add_u32_e32 v29, 8, v29
	s_waitcnt vmcnt(0)
	v_cndmask_b32_e64 v33, v32, v23, s[8:9]
	v_cndmask_b32_e32 v32, v34, v20, vcc
	v_cndmask_b32_e64 v32, v32, v22, s[8:9]
	s_waitcnt lgkmcnt(0)
	v_fmac_f64_e32 v[24:25], v[32:33], v[30:31]
	s_andn2_b64 exec, exec, s[16:17]
	s_cbranch_execnz .LBB10_213
; %bb.214:
	s_or_b64 exec, exec, s[16:17]
.LBB10_215:
	s_or_b64 exec, exec, s[14:15]
	v_mov_b32_e32 v18, 0
	ds_read_b64 v[18:19], v18 offset:64
	s_waitcnt lgkmcnt(0)
	v_mul_f64 v[18:19], v[24:25], v[18:19]
.LBB10_216:
	s_or_b64 exec, exec, s[28:29]
	v_cmp_gt_u32_e64 s[8:9], 9, v0
	s_waitcnt vmcnt(1)
	ds_write_b64 v83, v[20:21]
	s_waitcnt lgkmcnt(0)
	; wave barrier
	s_and_saveexec_b64 s[30:31], s[8:9]
	s_cbranch_execz .LBB10_238
; %bb.217:
	s_and_b64 vcc, exec, s[2:3]
	s_cbranch_vccnz .LBB10_219
; %bb.218:
	v_cmp_eq_u32_e32 vcc, 1, v0
	v_cmp_eq_u32_e64 s[12:13], 2, v0
	v_cmp_eq_u32_e64 s[14:15], 3, v0
	v_cndmask_b32_e32 v24, v3, v5, vcc
	v_cndmask_b32_e64 v24, v24, v7, s[12:13]
	v_cndmask_b32_e64 v24, v24, v9, s[14:15]
	v_cmp_eq_u32_e64 s[16:17], 4, v0
	v_cmp_eq_u32_e64 s[18:19], 5, v0
	;; [unrolled: 1-line block ×3, first 2 shown]
	v_cndmask_b32_e64 v24, v24, v11, s[16:17]
	v_cndmask_b32_e64 v24, v24, v13, s[18:19]
	;; [unrolled: 1-line block ×3, first 2 shown]
	v_cmp_eq_u32_e64 s[22:23], 7, v0
	v_cmp_eq_u32_e64 s[24:25], 8, v0
	;; [unrolled: 1-line block ×3, first 2 shown]
	v_cndmask_b32_e64 v24, v24, v17, s[22:23]
	v_cndmask_b32_e64 v24, v24, v19, s[24:25]
	v_cndmask_b32_e64 v24, v24, v21, s[26:27]
	v_cmp_eq_u32_e64 s[28:29], 10, v0
	ds_read_b64 v[26:27], v83
	s_waitcnt vmcnt(0)
	v_cndmask_b32_e64 v25, v24, v23, s[28:29]
	v_cndmask_b32_e32 v24, v2, v4, vcc
	v_cndmask_b32_e64 v24, v24, v6, s[12:13]
	v_cndmask_b32_e64 v24, v24, v8, s[14:15]
	;; [unrolled: 1-line block ×9, first 2 shown]
	s_waitcnt lgkmcnt(0)
	v_mul_f64 v[24:25], v[24:25], v[26:27]
	s_cbranch_execz .LBB10_220
	s_branch .LBB10_221
.LBB10_219:
                                        ; implicit-def: $vgpr24_vgpr25
.LBB10_220:
	ds_read_b64 v[24:25], v83
.LBB10_221:
	v_cmp_ne_u32_e32 vcc, 8, v0
	s_and_saveexec_b64 s[34:35], vcc
	s_cbranch_execz .LBB10_237
; %bb.222:
	v_cmp_eq_u32_e32 vcc, 1, v28
	v_cmp_eq_u32_e64 s[12:13], 2, v28
	v_cmp_eq_u32_e64 s[14:15], 3, v28
	v_cndmask_b32_e32 v26, v3, v5, vcc
	v_cndmask_b32_e64 v26, v26, v7, s[12:13]
	v_cndmask_b32_e64 v26, v26, v9, s[14:15]
	v_cmp_eq_u32_e64 s[16:17], 4, v28
	v_cmp_eq_u32_e64 s[18:19], 5, v28
	;; [unrolled: 1-line block ×3, first 2 shown]
	v_cndmask_b32_e64 v26, v26, v11, s[16:17]
	v_cndmask_b32_e64 v26, v26, v13, s[18:19]
	;; [unrolled: 1-line block ×3, first 2 shown]
	v_cmp_eq_u32_e64 s[22:23], 7, v28
	v_cmp_eq_u32_e64 s[24:25], 8, v28
	;; [unrolled: 1-line block ×3, first 2 shown]
	v_cndmask_b32_e64 v26, v26, v17, s[22:23]
	v_cndmask_b32_e64 v26, v26, v19, s[24:25]
	;; [unrolled: 1-line block ×3, first 2 shown]
	v_cmp_eq_u32_e64 s[28:29], 10, v28
	ds_read_b64 v[28:29], v83 offset:8
	s_waitcnt vmcnt(0)
	v_cndmask_b32_e64 v27, v26, v23, s[28:29]
	v_cndmask_b32_e32 v26, v2, v4, vcc
	v_cndmask_b32_e64 v26, v26, v6, s[12:13]
	v_cndmask_b32_e64 v26, v26, v8, s[14:15]
	;; [unrolled: 1-line block ×9, first 2 shown]
	s_waitcnt lgkmcnt(0)
	v_fmac_f64_e32 v[24:25], v[26:27], v[28:29]
	s_and_saveexec_b64 s[28:29], s[10:11]
	s_cbranch_execz .LBB10_236
; %bb.223:
	v_add_u32_e32 v26, 2, v0
	v_cmp_eq_u32_e32 vcc, 1, v26
	v_cmp_eq_u32_e64 s[10:11], 2, v26
	v_cmp_eq_u32_e64 s[12:13], 3, v26
	v_cndmask_b32_e32 v27, v3, v5, vcc
	v_cmp_eq_u32_e64 s[14:15], 4, v26
	v_cmp_eq_u32_e64 s[16:17], 5, v26
	;; [unrolled: 1-line block ×7, first 2 shown]
	v_cndmask_b32_e32 v26, v2, v4, vcc
	v_cndmask_b32_e64 v27, v27, v7, s[10:11]
	v_cndmask_b32_e64 v26, v26, v6, s[10:11]
	;; [unrolled: 1-line block ×10, first 2 shown]
	ds_read_b64 v[28:29], v83 offset:16
	v_cndmask_b32_e64 v27, v27, v17, s[20:21]
	v_cndmask_b32_e64 v26, v26, v16, s[20:21]
	;; [unrolled: 1-line block ×8, first 2 shown]
	s_waitcnt lgkmcnt(0)
	v_fmac_f64_e32 v[24:25], v[26:27], v[28:29]
	v_cmp_ne_u32_e32 vcc, 6, v0
	s_and_saveexec_b64 s[36:37], vcc
	s_cbranch_execz .LBB10_235
; %bb.224:
	v_add_u32_e32 v26, 3, v0
	v_cmp_eq_u32_e32 vcc, 1, v26
	v_cmp_eq_u32_e64 s[10:11], 2, v26
	v_cmp_eq_u32_e64 s[12:13], 3, v26
	v_cndmask_b32_e32 v27, v3, v5, vcc
	v_cmp_eq_u32_e64 s[14:15], 4, v26
	v_cmp_eq_u32_e64 s[16:17], 5, v26
	;; [unrolled: 1-line block ×7, first 2 shown]
	v_cndmask_b32_e32 v26, v2, v4, vcc
	v_cndmask_b32_e64 v27, v27, v7, s[10:11]
	v_cndmask_b32_e64 v26, v26, v6, s[10:11]
	;; [unrolled: 1-line block ×10, first 2 shown]
	ds_read_b64 v[28:29], v83 offset:24
	v_cndmask_b32_e64 v27, v27, v17, s[20:21]
	v_cndmask_b32_e64 v26, v26, v16, s[20:21]
	;; [unrolled: 1-line block ×8, first 2 shown]
	s_waitcnt lgkmcnt(0)
	v_fmac_f64_e32 v[24:25], v[26:27], v[28:29]
	s_and_saveexec_b64 s[26:27], s[6:7]
	s_cbranch_execz .LBB10_234
; %bb.225:
	v_add_u32_e32 v26, 4, v0
	v_cmp_eq_u32_e32 vcc, 1, v26
	v_cmp_eq_u32_e64 s[6:7], 2, v26
	v_cmp_eq_u32_e64 s[10:11], 3, v26
	v_cndmask_b32_e32 v27, v3, v5, vcc
	v_cmp_eq_u32_e64 s[12:13], 4, v26
	v_cmp_eq_u32_e64 s[14:15], 5, v26
	;; [unrolled: 1-line block ×7, first 2 shown]
	v_cndmask_b32_e32 v26, v2, v4, vcc
	v_cndmask_b32_e64 v27, v27, v7, s[6:7]
	v_cndmask_b32_e64 v26, v26, v6, s[6:7]
	;; [unrolled: 1-line block ×10, first 2 shown]
	ds_read_b64 v[28:29], v83 offset:32
	v_cndmask_b32_e64 v27, v27, v17, s[18:19]
	v_cndmask_b32_e64 v26, v26, v16, s[18:19]
	;; [unrolled: 1-line block ×8, first 2 shown]
	s_waitcnt lgkmcnt(0)
	v_fmac_f64_e32 v[24:25], v[26:27], v[28:29]
	v_cmp_ne_u32_e32 vcc, 4, v0
	s_and_saveexec_b64 s[38:39], vcc
	s_cbranch_execz .LBB10_233
; %bb.226:
	v_add_u32_e32 v26, 5, v0
	v_cmp_eq_u32_e32 vcc, 1, v26
	v_cmp_eq_u32_e64 s[6:7], 2, v26
	v_cmp_eq_u32_e64 s[10:11], 3, v26
	v_cndmask_b32_e32 v27, v3, v5, vcc
	v_cmp_eq_u32_e64 s[12:13], 4, v26
	v_cmp_eq_u32_e64 s[14:15], 5, v26
	;; [unrolled: 1-line block ×7, first 2 shown]
	v_cndmask_b32_e32 v26, v2, v4, vcc
	v_cndmask_b32_e64 v27, v27, v7, s[6:7]
	v_cndmask_b32_e64 v26, v26, v6, s[6:7]
	;; [unrolled: 1-line block ×10, first 2 shown]
	ds_read_b64 v[28:29], v83 offset:40
	v_cndmask_b32_e64 v27, v27, v17, s[18:19]
	v_cndmask_b32_e64 v26, v26, v16, s[18:19]
	;; [unrolled: 1-line block ×8, first 2 shown]
	s_waitcnt lgkmcnt(0)
	v_fmac_f64_e32 v[24:25], v[26:27], v[28:29]
	s_and_saveexec_b64 s[24:25], s[4:5]
	s_cbranch_execz .LBB10_232
; %bb.227:
	v_add_u32_e32 v26, 6, v0
	v_cmp_eq_u32_e32 vcc, 1, v26
	v_cmp_eq_u32_e64 s[4:5], 2, v26
	v_cmp_eq_u32_e64 s[6:7], 3, v26
	v_cndmask_b32_e32 v27, v3, v5, vcc
	v_cmp_eq_u32_e64 s[10:11], 4, v26
	v_cmp_eq_u32_e64 s[12:13], 5, v26
	;; [unrolled: 1-line block ×7, first 2 shown]
	v_cndmask_b32_e32 v26, v2, v4, vcc
	v_cndmask_b32_e64 v27, v27, v7, s[4:5]
	v_cndmask_b32_e64 v26, v26, v6, s[4:5]
	;; [unrolled: 1-line block ×10, first 2 shown]
	ds_read_b64 v[28:29], v83 offset:48
	v_cndmask_b32_e64 v27, v27, v17, s[16:17]
	v_cndmask_b32_e64 v26, v26, v16, s[16:17]
	;; [unrolled: 1-line block ×8, first 2 shown]
	s_waitcnt lgkmcnt(0)
	v_fmac_f64_e32 v[24:25], v[26:27], v[28:29]
	v_cmp_ne_u32_e32 vcc, 2, v0
	s_and_saveexec_b64 s[40:41], vcc
	s_cbranch_execz .LBB10_231
; %bb.228:
	v_add_u32_e32 v26, 7, v0
	v_cmp_eq_u32_e32 vcc, 1, v26
	v_cmp_eq_u32_e64 s[4:5], 2, v26
	v_cmp_eq_u32_e64 s[6:7], 3, v26
	v_cndmask_b32_e32 v27, v3, v5, vcc
	v_cndmask_b32_e64 v27, v27, v7, s[4:5]
	v_cndmask_b32_e64 v27, v27, v9, s[6:7]
	v_cmp_eq_u32_e64 s[10:11], 4, v26
	v_cmp_eq_u32_e64 s[12:13], 5, v26
	;; [unrolled: 1-line block ×3, first 2 shown]
	v_cndmask_b32_e64 v27, v27, v11, s[10:11]
	v_cmp_eq_u32_e64 s[16:17], 7, v26
	v_cmp_eq_u32_e64 s[18:19], 8, v26
	;; [unrolled: 1-line block ×4, first 2 shown]
	v_cndmask_b32_e32 v26, v2, v4, vcc
	v_cndmask_b32_e64 v27, v27, v13, s[12:13]
	v_cndmask_b32_e64 v26, v26, v6, s[4:5]
	;; [unrolled: 1-line block ×10, first 2 shown]
	ds_read_b64 v[26:27], v83 offset:56
	v_cndmask_b32_e64 v28, v28, v16, s[16:17]
	v_cndmask_b32_e64 v28, v28, v18, s[18:19]
	;; [unrolled: 1-line block ×5, first 2 shown]
	s_waitcnt lgkmcnt(0)
	v_fmac_f64_e32 v[24:25], v[20:21], v[26:27]
	s_and_saveexec_b64 s[4:5], s[0:1]
	s_cbranch_execz .LBB10_230
; %bb.229:
	ds_read_b64 v[20:21], v83 offset:64
	s_waitcnt lgkmcnt(0)
	v_fmac_f64_e32 v[24:25], v[18:19], v[20:21]
.LBB10_230:
	s_or_b64 exec, exec, s[4:5]
.LBB10_231:
	s_or_b64 exec, exec, s[40:41]
.LBB10_232:
	s_or_b64 exec, exec, s[24:25]
.LBB10_233:
	s_or_b64 exec, exec, s[38:39]
.LBB10_234:
	s_or_b64 exec, exec, s[26:27]
.LBB10_235:
	s_or_b64 exec, exec, s[36:37]
.LBB10_236:
	s_or_b64 exec, exec, s[28:29]
.LBB10_237:
	s_or_b64 exec, exec, s[34:35]
	v_mov_b32_e32 v20, 0
	ds_read_b64 v[20:21], v20 offset:72
	s_waitcnt lgkmcnt(0)
	v_mul_f64 v[20:21], v[24:25], v[20:21]
.LBB10_238:
	s_or_b64 exec, exec, s[30:31]
	v_cmp_ne_u32_e32 vcc, 10, v0
	s_waitcnt vmcnt(0)
	ds_write_b64 v83, v[22:23]
	s_waitcnt lgkmcnt(0)
	; wave barrier
	s_and_saveexec_b64 s[20:21], vcc
	s_cbranch_execz .LBB10_248
; %bb.239:
	s_and_b64 vcc, exec, s[2:3]
	s_cbranch_vccnz .LBB10_241
; %bb.240:
	v_cmp_eq_u32_e32 vcc, 1, v0
	v_cmp_eq_u32_e64 s[0:1], 2, v0
	v_cmp_eq_u32_e64 s[2:3], 3, v0
	v_cndmask_b32_e32 v24, v3, v5, vcc
	v_cndmask_b32_e64 v24, v24, v7, s[0:1]
	v_cndmask_b32_e64 v24, v24, v9, s[2:3]
	v_cmp_eq_u32_e64 s[4:5], 4, v0
	v_cmp_eq_u32_e64 s[6:7], 5, v0
	;; [unrolled: 1-line block ×3, first 2 shown]
	v_cndmask_b32_e64 v24, v24, v11, s[4:5]
	v_cndmask_b32_e64 v24, v24, v13, s[6:7]
	;; [unrolled: 1-line block ×3, first 2 shown]
	v_cmp_eq_u32_e64 s[12:13], 7, v0
	v_cmp_eq_u32_e64 s[14:15], 8, v0
	;; [unrolled: 1-line block ×3, first 2 shown]
	v_cndmask_b32_e64 v24, v24, v17, s[12:13]
	v_cndmask_b32_e64 v24, v24, v19, s[14:15]
	;; [unrolled: 1-line block ×3, first 2 shown]
	v_cmp_eq_u32_e64 s[18:19], 10, v0
	ds_read_b64 v[26:27], v83
	s_nop 0
	v_cndmask_b32_e64 v25, v24, v23, s[18:19]
	v_cndmask_b32_e32 v24, v2, v4, vcc
	v_cndmask_b32_e64 v24, v24, v6, s[0:1]
	v_cndmask_b32_e64 v24, v24, v8, s[2:3]
	;; [unrolled: 1-line block ×9, first 2 shown]
	s_waitcnt lgkmcnt(0)
	v_mul_f64 v[24:25], v[24:25], v[26:27]
	s_cbranch_execz .LBB10_242
	s_branch .LBB10_243
.LBB10_241:
                                        ; implicit-def: $vgpr24_vgpr25
.LBB10_242:
	ds_read_b64 v[24:25], v83
.LBB10_243:
	s_and_saveexec_b64 s[4:5], s[8:9]
	s_cbranch_execz .LBB10_247
; %bb.244:
	v_mov_b32_e32 v26, 0x68
	v_lshl_add_u32 v26, v0, 3, v26
	s_mov_b64 s[6:7], 0
.LBB10_245:                             ; =>This Inner Loop Header: Depth=1
	v_lshl_add_u64 v[0:1], v[0:1], 0, 1
	v_cmp_eq_u32_e32 vcc, 1, v0
	v_cmp_eq_u32_e64 s[2:3], 2, v0
	v_cmp_lt_u32_e64 s[0:1], 8, v0
	v_cndmask_b32_e32 v27, v3, v5, vcc
	v_cndmask_b32_e64 v27, v27, v7, s[2:3]
	v_cndmask_b32_e32 v30, v2, v4, vcc
	v_cmp_eq_u32_e32 vcc, 3, v0
	s_or_b64 s[6:7], s[0:1], s[6:7]
	v_cndmask_b32_e64 v30, v30, v6, s[2:3]
	v_cndmask_b32_e32 v27, v27, v9, vcc
	v_cmp_eq_u32_e64 s[0:1], 4, v0
	v_cndmask_b32_e32 v30, v30, v8, vcc
	v_cmp_eq_u32_e32 vcc, 5, v0
	v_cndmask_b32_e64 v27, v27, v11, s[0:1]
	v_cndmask_b32_e64 v30, v30, v10, s[0:1]
	v_cndmask_b32_e32 v27, v27, v13, vcc
	v_cmp_eq_u32_e64 s[0:1], 6, v0
	v_cndmask_b32_e32 v30, v30, v12, vcc
	v_cmp_eq_u32_e32 vcc, 7, v0
	v_cndmask_b32_e64 v27, v27, v15, s[0:1]
	ds_read_b64 v[28:29], v26
	v_cndmask_b32_e32 v27, v27, v17, vcc
	v_cndmask_b32_e64 v30, v30, v14, s[0:1]
	v_cmp_eq_u32_e64 s[0:1], 8, v0
	v_cndmask_b32_e32 v30, v30, v16, vcc
	v_cmp_eq_u32_e32 vcc, 9, v0
	v_cndmask_b32_e64 v27, v27, v19, s[0:1]
	v_cndmask_b32_e64 v30, v30, v18, s[0:1]
	v_cndmask_b32_e32 v27, v27, v21, vcc
	v_cmp_eq_u32_e64 s[0:1], 10, v0
	v_add_u32_e32 v26, 8, v26
	s_nop 0
	v_cndmask_b32_e64 v31, v27, v23, s[0:1]
	v_cndmask_b32_e32 v27, v30, v20, vcc
	v_cndmask_b32_e64 v30, v27, v22, s[0:1]
	s_waitcnt lgkmcnt(0)
	v_fmac_f64_e32 v[24:25], v[30:31], v[28:29]
	s_andn2_b64 exec, exec, s[6:7]
	s_cbranch_execnz .LBB10_245
; %bb.246:
	s_or_b64 exec, exec, s[6:7]
.LBB10_247:
	s_or_b64 exec, exec, s[4:5]
	v_mov_b32_e32 v0, 0
	ds_read_b64 v[0:1], v0 offset:80
	s_waitcnt lgkmcnt(0)
	v_mul_f64 v[22:23], v[24:25], v[0:1]
.LBB10_248:
	s_or_b64 exec, exec, s[20:21]
	v_mov_b64_e32 v[54:55], v[32:33]
	v_mov_b64_e32 v[52:53], v[30:31]
	;; [unrolled: 1-line block ×16, first 2 shown]
.LBB10_249:
	global_store_dwordx2 v[56:57], v[24:25], off
	global_store_dwordx2 v[58:59], v[26:27], off
	;; [unrolled: 1-line block ×11, first 2 shown]
.LBB10_250:
	s_endpgm
	.section	.rodata,"a",@progbits
	.p2align	6, 0x0
	.amdhsa_kernel _ZN9rocsolver6v33100L18trti2_kernel_smallILi11EdPdEEv13rocblas_fill_17rocblas_diagonal_T1_iil
		.amdhsa_group_segment_fixed_size 184
		.amdhsa_private_segment_fixed_size 0
		.amdhsa_kernarg_size 32
		.amdhsa_user_sgpr_count 2
		.amdhsa_user_sgpr_dispatch_ptr 0
		.amdhsa_user_sgpr_queue_ptr 0
		.amdhsa_user_sgpr_kernarg_segment_ptr 1
		.amdhsa_user_sgpr_dispatch_id 0
		.amdhsa_user_sgpr_kernarg_preload_length 0
		.amdhsa_user_sgpr_kernarg_preload_offset 0
		.amdhsa_user_sgpr_private_segment_size 0
		.amdhsa_uses_dynamic_stack 0
		.amdhsa_enable_private_segment 0
		.amdhsa_system_sgpr_workgroup_id_x 1
		.amdhsa_system_sgpr_workgroup_id_y 0
		.amdhsa_system_sgpr_workgroup_id_z 0
		.amdhsa_system_sgpr_workgroup_info 0
		.amdhsa_system_vgpr_workitem_id 0
		.amdhsa_next_free_vgpr 106
		.amdhsa_next_free_sgpr 42
		.amdhsa_accum_offset 108
		.amdhsa_reserve_vcc 1
		.amdhsa_float_round_mode_32 0
		.amdhsa_float_round_mode_16_64 0
		.amdhsa_float_denorm_mode_32 3
		.amdhsa_float_denorm_mode_16_64 3
		.amdhsa_dx10_clamp 1
		.amdhsa_ieee_mode 1
		.amdhsa_fp16_overflow 0
		.amdhsa_tg_split 0
		.amdhsa_exception_fp_ieee_invalid_op 0
		.amdhsa_exception_fp_denorm_src 0
		.amdhsa_exception_fp_ieee_div_zero 0
		.amdhsa_exception_fp_ieee_overflow 0
		.amdhsa_exception_fp_ieee_underflow 0
		.amdhsa_exception_fp_ieee_inexact 0
		.amdhsa_exception_int_div_zero 0
	.end_amdhsa_kernel
	.section	.text._ZN9rocsolver6v33100L18trti2_kernel_smallILi11EdPdEEv13rocblas_fill_17rocblas_diagonal_T1_iil,"axG",@progbits,_ZN9rocsolver6v33100L18trti2_kernel_smallILi11EdPdEEv13rocblas_fill_17rocblas_diagonal_T1_iil,comdat
.Lfunc_end10:
	.size	_ZN9rocsolver6v33100L18trti2_kernel_smallILi11EdPdEEv13rocblas_fill_17rocblas_diagonal_T1_iil, .Lfunc_end10-_ZN9rocsolver6v33100L18trti2_kernel_smallILi11EdPdEEv13rocblas_fill_17rocblas_diagonal_T1_iil
                                        ; -- End function
	.set _ZN9rocsolver6v33100L18trti2_kernel_smallILi11EdPdEEv13rocblas_fill_17rocblas_diagonal_T1_iil.num_vgpr, 106
	.set _ZN9rocsolver6v33100L18trti2_kernel_smallILi11EdPdEEv13rocblas_fill_17rocblas_diagonal_T1_iil.num_agpr, 0
	.set _ZN9rocsolver6v33100L18trti2_kernel_smallILi11EdPdEEv13rocblas_fill_17rocblas_diagonal_T1_iil.numbered_sgpr, 42
	.set _ZN9rocsolver6v33100L18trti2_kernel_smallILi11EdPdEEv13rocblas_fill_17rocblas_diagonal_T1_iil.num_named_barrier, 0
	.set _ZN9rocsolver6v33100L18trti2_kernel_smallILi11EdPdEEv13rocblas_fill_17rocblas_diagonal_T1_iil.private_seg_size, 0
	.set _ZN9rocsolver6v33100L18trti2_kernel_smallILi11EdPdEEv13rocblas_fill_17rocblas_diagonal_T1_iil.uses_vcc, 1
	.set _ZN9rocsolver6v33100L18trti2_kernel_smallILi11EdPdEEv13rocblas_fill_17rocblas_diagonal_T1_iil.uses_flat_scratch, 0
	.set _ZN9rocsolver6v33100L18trti2_kernel_smallILi11EdPdEEv13rocblas_fill_17rocblas_diagonal_T1_iil.has_dyn_sized_stack, 0
	.set _ZN9rocsolver6v33100L18trti2_kernel_smallILi11EdPdEEv13rocblas_fill_17rocblas_diagonal_T1_iil.has_recursion, 0
	.set _ZN9rocsolver6v33100L18trti2_kernel_smallILi11EdPdEEv13rocblas_fill_17rocblas_diagonal_T1_iil.has_indirect_call, 0
	.section	.AMDGPU.csdata,"",@progbits
; Kernel info:
; codeLenInByte = 17700
; TotalNumSgprs: 48
; NumVgprs: 106
; NumAgprs: 0
; TotalNumVgprs: 106
; ScratchSize: 0
; MemoryBound: 0
; FloatMode: 240
; IeeeMode: 1
; LDSByteSize: 184 bytes/workgroup (compile time only)
; SGPRBlocks: 5
; VGPRBlocks: 13
; NumSGPRsForWavesPerEU: 48
; NumVGPRsForWavesPerEU: 106
; AccumOffset: 108
; Occupancy: 4
; WaveLimiterHint : 0
; COMPUTE_PGM_RSRC2:SCRATCH_EN: 0
; COMPUTE_PGM_RSRC2:USER_SGPR: 2
; COMPUTE_PGM_RSRC2:TRAP_HANDLER: 0
; COMPUTE_PGM_RSRC2:TGID_X_EN: 1
; COMPUTE_PGM_RSRC2:TGID_Y_EN: 0
; COMPUTE_PGM_RSRC2:TGID_Z_EN: 0
; COMPUTE_PGM_RSRC2:TIDIG_COMP_CNT: 0
; COMPUTE_PGM_RSRC3_GFX90A:ACCUM_OFFSET: 26
; COMPUTE_PGM_RSRC3_GFX90A:TG_SPLIT: 0
	.section	.text._ZN9rocsolver6v33100L18trti2_kernel_smallILi12EdPdEEv13rocblas_fill_17rocblas_diagonal_T1_iil,"axG",@progbits,_ZN9rocsolver6v33100L18trti2_kernel_smallILi12EdPdEEv13rocblas_fill_17rocblas_diagonal_T1_iil,comdat
	.globl	_ZN9rocsolver6v33100L18trti2_kernel_smallILi12EdPdEEv13rocblas_fill_17rocblas_diagonal_T1_iil ; -- Begin function _ZN9rocsolver6v33100L18trti2_kernel_smallILi12EdPdEEv13rocblas_fill_17rocblas_diagonal_T1_iil
	.p2align	8
	.type	_ZN9rocsolver6v33100L18trti2_kernel_smallILi12EdPdEEv13rocblas_fill_17rocblas_diagonal_T1_iil,@function
_ZN9rocsolver6v33100L18trti2_kernel_smallILi12EdPdEEv13rocblas_fill_17rocblas_diagonal_T1_iil: ; @_ZN9rocsolver6v33100L18trti2_kernel_smallILi12EdPdEEv13rocblas_fill_17rocblas_diagonal_T1_iil
; %bb.0:
	v_cmp_gt_u32_e32 vcc, 12, v0
	s_and_saveexec_b64 s[4:5], vcc
	s_cbranch_execz .LBB11_276
; %bb.1:
	s_load_dwordx8 s[24:31], s[0:1], 0x0
	s_ashr_i32 s3, s2, 31
	v_mov_b32_e32 v1, 0
	v_lshlrev_b32_e32 v26, 3, v0
	v_mov_b32_e32 v27, v1
	s_waitcnt lgkmcnt(0)
	s_mul_hi_u32 s4, s30, s2
	s_mul_i32 s3, s30, s3
	s_add_i32 s3, s4, s3
	s_mul_i32 s4, s31, s2
	s_add_i32 s3, s3, s4
	s_mul_i32 s2, s30, s2
	s_ashr_i32 s1, s28, 31
	s_lshl_b64 s[2:3], s[2:3], 3
	s_mov_b32 s0, s28
	s_add_u32 s2, s26, s2
	s_addc_u32 s3, s27, s3
	s_lshl_b64 s[0:1], s[0:1], 3
	s_add_u32 s0, s2, s0
	s_addc_u32 s1, s3, s1
	v_lshl_add_u64 v[58:59], s[0:1], 0, v[26:27]
	s_ashr_i32 s3, s29, 31
	s_mov_b32 s2, s29
	v_lshl_add_u64 v[60:61], s[2:3], 3, v[58:59]
	s_add_i32 s2, s29, s29
	v_add_u32_e32 v2, s2, v0
	v_ashrrev_i32_e32 v3, 31, v2
	v_lshl_add_u64 v[62:63], v[2:3], 3, s[0:1]
	v_add_u32_e32 v2, s29, v2
	v_ashrrev_i32_e32 v3, 31, v2
	v_lshl_add_u64 v[64:65], v[2:3], 3, s[0:1]
	;; [unrolled: 3-line block ×9, first 2 shown]
	v_add_u32_e32 v2, s29, v2
	v_ashrrev_i32_e32 v3, 31, v2
	global_load_dwordx2 v[4:5], v[60:61], off
	global_load_dwordx2 v[6:7], v[62:63], off
	;; [unrolled: 1-line block ×8, first 2 shown]
	v_lshl_add_u64 v[80:81], v[2:3], 3, s[0:1]
	global_load_dwordx2 v[2:3], v26, s[0:1]
	global_load_dwordx2 v[20:21], v[76:77], off
	global_load_dwordx2 v[22:23], v[78:79], off
	global_load_dwordx2 v[24:25], v[80:81], off
	s_cmpk_lg_i32 s25, 0x84
	s_cselect_b64 s[26:27], -1, 0
	s_cmpk_eq_i32 s25, 0x84
	v_mov_b64_e32 v[28:29], -1.0
	s_cbranch_scc1 .LBB11_3
; %bb.2:
	v_cmp_eq_u32_e64 s[0:1], 1, v0
	v_cmp_eq_u32_e64 s[2:3], 2, v0
	;; [unrolled: 1-line block ×3, first 2 shown]
	s_waitcnt vmcnt(3)
	v_cndmask_b32_e64 v27, v3, v5, s[0:1]
	v_cndmask_b32_e64 v27, v27, v7, s[2:3]
	;; [unrolled: 1-line block ×3, first 2 shown]
	v_cmp_eq_u32_e64 s[6:7], 4, v0
	v_cmp_eq_u32_e64 s[8:9], 5, v0
	v_cmp_eq_u32_e64 s[10:11], 6, v0
	v_cndmask_b32_e64 v27, v27, v11, s[6:7]
	v_cndmask_b32_e64 v27, v27, v13, s[8:9]
	;; [unrolled: 1-line block ×3, first 2 shown]
	v_cmp_eq_u32_e64 s[12:13], 7, v0
	v_cmp_eq_u32_e64 s[14:15], 8, v0
	v_cmp_eq_u32_e64 s[16:17], 9, v0
	v_cndmask_b32_e64 v27, v27, v17, s[12:13]
	v_cndmask_b32_e64 v27, v27, v19, s[14:15]
	s_waitcnt vmcnt(2)
	v_cndmask_b32_e64 v27, v27, v21, s[16:17]
	v_cmp_eq_u32_e64 s[18:19], 10, v0
	v_cmp_eq_u32_e64 s[20:21], 11, v0
	s_waitcnt vmcnt(1)
	v_cndmask_b32_e64 v27, v27, v23, s[18:19]
	s_waitcnt vmcnt(0)
	v_cndmask_b32_e64 v29, v27, v25, s[20:21]
	v_cndmask_b32_e64 v27, v2, v4, s[0:1]
	;; [unrolled: 1-line block ×12, first 2 shown]
	v_div_scale_f64 v[30:31], s[22:23], v[28:29], v[28:29], 1.0
	v_rcp_f64_e32 v[32:33], v[30:31]
	s_nop 0
	v_fma_f64 v[34:35], -v[30:31], v[32:33], 1.0
	v_fmac_f64_e32 v[32:33], v[32:33], v[34:35]
	v_fma_f64 v[34:35], -v[30:31], v[32:33], 1.0
	v_fmac_f64_e32 v[32:33], v[32:33], v[34:35]
	v_div_scale_f64 v[34:35], vcc, 1.0, v[28:29], 1.0
	v_mul_f64 v[36:37], v[34:35], v[32:33]
	v_fma_f64 v[30:31], -v[30:31], v[36:37], v[34:35]
	s_nop 1
	v_div_fmas_f64 v[30:31], v[30:31], v[32:33], v[36:37]
	v_div_fixup_f64 v[28:29], v[30:31], v[28:29], 1.0
	v_cmp_eq_u32_e32 vcc, 0, v0
	v_cndmask_b32_e64 v25, v25, v29, s[20:21]
	v_cndmask_b32_e64 v24, v24, v28, s[20:21]
	v_cndmask_b32_e64 v23, v23, v29, s[18:19]
	v_cndmask_b32_e64 v22, v22, v28, s[18:19]
	v_cndmask_b32_e64 v21, v21, v29, s[16:17]
	v_cndmask_b32_e64 v20, v20, v28, s[16:17]
	v_cndmask_b32_e64 v19, v19, v29, s[14:15]
	v_cndmask_b32_e64 v18, v18, v28, s[14:15]
	v_cndmask_b32_e64 v17, v17, v29, s[12:13]
	v_cndmask_b32_e64 v16, v16, v28, s[12:13]
	v_cndmask_b32_e64 v15, v15, v29, s[10:11]
	v_cndmask_b32_e64 v14, v14, v28, s[10:11]
	v_cndmask_b32_e64 v13, v13, v29, s[8:9]
	v_cndmask_b32_e64 v12, v12, v28, s[8:9]
	v_cndmask_b32_e64 v11, v11, v29, s[6:7]
	v_cndmask_b32_e64 v10, v10, v28, s[6:7]
	v_cndmask_b32_e64 v9, v9, v29, s[4:5]
	v_cndmask_b32_e64 v8, v8, v28, s[4:5]
	v_cndmask_b32_e64 v7, v7, v29, s[2:3]
	v_cndmask_b32_e64 v6, v6, v28, s[2:3]
	v_cndmask_b32_e64 v5, v5, v29, s[0:1]
	v_cndmask_b32_e64 v4, v4, v28, s[0:1]
	v_cndmask_b32_e32 v3, v3, v29, vcc
	v_cndmask_b32_e32 v2, v2, v28, vcc
	v_xor_b32_e32 v29, 0x80000000, v29
.LBB11_3:
	s_cmpk_eq_i32 s24, 0x79
	v_add_u32_e32 v87, 0x60, v26
	ds_write_b64 v26, v[28:29]
	s_cbranch_scc1 .LBB11_7
; %bb.4:
	s_waitcnt vmcnt(0)
	v_mov_b64_e32 v[56:57], v[32:33]
	v_cmp_eq_u32_e64 s[0:1], 11, v0
	v_mov_b64_e32 v[54:55], v[30:31]
	v_mov_b64_e32 v[52:53], v[28:29]
	;; [unrolled: 1-line block ×15, first 2 shown]
	ds_write_b64 v87, v[22:23]
	s_waitcnt lgkmcnt(0)
	; wave barrier
	s_and_saveexec_b64 s[22:23], s[0:1]
	s_cbranch_execz .LBB11_11
; %bb.5:
	s_and_b64 vcc, exec, s[26:27]
	s_cbranch_vccz .LBB11_8
; %bb.6:
	v_cmp_eq_u32_e32 vcc, 1, v0
	v_cmp_eq_u32_e64 s[2:3], 2, v0
	v_cmp_eq_u32_e64 s[4:5], 3, v0
	v_cndmask_b32_e32 v26, v3, v5, vcc
	v_cndmask_b32_e64 v26, v26, v7, s[2:3]
	v_cndmask_b32_e64 v26, v26, v9, s[4:5]
	v_cmp_eq_u32_e64 s[6:7], 4, v0
	v_cmp_eq_u32_e64 s[8:9], 5, v0
	;; [unrolled: 1-line block ×3, first 2 shown]
	v_cndmask_b32_e64 v26, v26, v11, s[6:7]
	v_cndmask_b32_e64 v26, v26, v13, s[8:9]
	;; [unrolled: 1-line block ×3, first 2 shown]
	v_cmp_eq_u32_e64 s[12:13], 7, v0
	v_cmp_eq_u32_e64 s[14:15], 8, v0
	;; [unrolled: 1-line block ×3, first 2 shown]
	v_cndmask_b32_e64 v26, v26, v17, s[12:13]
	v_cndmask_b32_e64 v26, v26, v19, s[14:15]
	;; [unrolled: 1-line block ×3, first 2 shown]
	v_cmp_eq_u32_e64 s[18:19], 10, v0
	v_cmp_eq_u32_e64 s[20:21], 11, v0
	ds_read_b64 v[28:29], v87
	v_cndmask_b32_e64 v26, v26, v23, s[18:19]
	v_cndmask_b32_e64 v27, v26, v25, s[20:21]
	v_cndmask_b32_e32 v26, v2, v4, vcc
	v_cndmask_b32_e64 v26, v26, v6, s[2:3]
	v_cndmask_b32_e64 v26, v26, v8, s[4:5]
	;; [unrolled: 1-line block ×10, first 2 shown]
	s_waitcnt lgkmcnt(0)
	v_mul_f64 v[30:31], v[26:27], v[28:29]
	s_cbranch_execz .LBB11_9
	s_branch .LBB11_10
.LBB11_7:
                                        ; implicit-def: $vgpr26_vgpr27_vgpr28_vgpr29_vgpr30_vgpr31_vgpr32_vgpr33_vgpr34_vgpr35_vgpr36_vgpr37_vgpr38_vgpr39_vgpr40_vgpr41_vgpr42_vgpr43_vgpr44_vgpr45_vgpr46_vgpr47_vgpr48_vgpr49_vgpr50_vgpr51_vgpr52_vgpr53_vgpr54_vgpr55_vgpr56_vgpr57
	s_cbranch_execnz .LBB11_162
	s_branch .LBB11_275
.LBB11_8:
                                        ; implicit-def: $vgpr30_vgpr31
.LBB11_9:
	ds_read_b64 v[30:31], v87
.LBB11_10:
	v_mov_b32_e32 v26, 0
	ds_read_b64 v[32:33], v26 offset:80
	v_mov_b32_e32 v26, v2
	v_mov_b32_e32 v27, v3
	;; [unrolled: 1-line block ×4, first 2 shown]
	s_waitcnt lgkmcnt(0)
	v_mul_f64 v[46:47], v[30:31], v[32:33]
	v_mov_b32_e32 v30, v6
	v_mov_b32_e32 v31, v7
	;; [unrolled: 1-line block ×18, first 2 shown]
.LBB11_11:
	s_or_b64 exec, exec, s[22:23]
	v_cmp_lt_u32_e64 s[2:3], 9, v0
	ds_write_b64 v87, v[44:45]
	s_waitcnt lgkmcnt(0)
	; wave barrier
	s_and_saveexec_b64 s[24:25], s[2:3]
	s_cbranch_execz .LBB11_17
; %bb.12:
	s_andn2_b64 vcc, exec, s[26:27]
	s_cbranch_vccnz .LBB11_14
; %bb.13:
	v_cmp_eq_u32_e32 vcc, 1, v0
	v_cmp_eq_u32_e64 s[4:5], 2, v0
	v_cmp_eq_u32_e64 s[6:7], 3, v0
	v_cndmask_b32_e32 v50, v27, v29, vcc
	v_cndmask_b32_e64 v50, v50, v31, s[4:5]
	v_cndmask_b32_e64 v50, v50, v33, s[6:7]
	v_cmp_eq_u32_e64 s[8:9], 4, v0
	v_cmp_eq_u32_e64 s[10:11], 5, v0
	;; [unrolled: 1-line block ×3, first 2 shown]
	v_cndmask_b32_e64 v50, v50, v35, s[8:9]
	v_cndmask_b32_e64 v50, v50, v37, s[10:11]
	;; [unrolled: 1-line block ×3, first 2 shown]
	v_cmp_eq_u32_e64 s[14:15], 7, v0
	v_cmp_eq_u32_e64 s[16:17], 8, v0
	;; [unrolled: 1-line block ×3, first 2 shown]
	v_cndmask_b32_e64 v50, v50, v41, s[14:15]
	v_cndmask_b32_e64 v50, v50, v43, s[16:17]
	;; [unrolled: 1-line block ×3, first 2 shown]
	v_cndmask_b32_e32 v50, v26, v28, vcc
	v_cndmask_b32_e64 v50, v50, v30, s[4:5]
	v_cndmask_b32_e64 v50, v50, v32, s[6:7]
	v_cndmask_b32_e64 v50, v50, v34, s[8:9]
	v_cndmask_b32_e64 v50, v50, v36, s[10:11]
	v_cndmask_b32_e64 v50, v50, v38, s[12:13]
	v_cndmask_b32_e64 v52, v50, v40, s[14:15]
	ds_read_b64 v[50:51], v87
	v_cndmask_b32_e64 v52, v52, v42, s[16:17]
	v_cmp_eq_u32_e64 s[20:21], 10, v0
	v_cndmask_b32_e64 v44, v52, v44, s[18:19]
	v_cmp_eq_u32_e64 s[22:23], 11, v0
	v_cndmask_b32_e64 v45, v45, v47, s[20:21]
	v_cndmask_b32_e64 v44, v44, v46, s[20:21]
	;; [unrolled: 1-line block ×4, first 2 shown]
	s_waitcnt lgkmcnt(0)
	v_mul_f64 v[44:45], v[44:45], v[50:51]
	s_cbranch_execz .LBB11_15
	s_branch .LBB11_16
.LBB11_14:
                                        ; implicit-def: $vgpr44_vgpr45
.LBB11_15:
	ds_read_b64 v[44:45], v87
.LBB11_16:
	v_mov_b32_e32 v50, 0
	ds_read2_b64 v[50:53], v50 offset0:9 offset1:22
	s_waitcnt lgkmcnt(0)
	v_fma_f64 v[52:53], v[46:47], v[52:53], v[44:45]
	v_cndmask_b32_e64 v45, v45, v53, s[0:1]
	v_cndmask_b32_e64 v44, v44, v52, s[0:1]
	v_mul_f64 v[44:45], v[44:45], v[50:51]
.LBB11_17:
	s_or_b64 exec, exec, s[24:25]
	v_cmp_lt_u32_e64 s[0:1], 8, v0
	ds_write_b64 v87, v[42:43]
	s_waitcnt lgkmcnt(0)
	; wave barrier
	s_and_saveexec_b64 s[24:25], s[0:1]
	s_cbranch_execz .LBB11_33
; %bb.18:
	s_andn2_b64 vcc, exec, s[26:27]
	s_cbranch_vccnz .LBB11_20
; %bb.19:
	v_cmp_eq_u32_e32 vcc, 1, v0
	v_cmp_eq_u32_e64 s[4:5], 2, v0
	v_cmp_eq_u32_e64 s[6:7], 3, v0
	v_cndmask_b32_e32 v82, v27, v29, vcc
	v_cndmask_b32_e64 v82, v82, v31, s[4:5]
	v_cndmask_b32_e64 v82, v82, v33, s[6:7]
	v_cmp_eq_u32_e64 s[8:9], 4, v0
	v_cmp_eq_u32_e64 s[10:11], 5, v0
	;; [unrolled: 1-line block ×3, first 2 shown]
	v_cndmask_b32_e64 v82, v82, v35, s[8:9]
	v_cndmask_b32_e64 v82, v82, v37, s[10:11]
	;; [unrolled: 1-line block ×3, first 2 shown]
	v_cmp_eq_u32_e64 s[14:15], 7, v0
	v_cmp_eq_u32_e64 s[16:17], 8, v0
	;; [unrolled: 1-line block ×3, first 2 shown]
	v_cndmask_b32_e64 v82, v82, v41, s[14:15]
	v_cndmask_b32_e64 v82, v82, v43, s[16:17]
	;; [unrolled: 1-line block ×3, first 2 shown]
	v_cmp_eq_u32_e64 s[20:21], 10, v0
	v_cmp_eq_u32_e64 s[22:23], 11, v0
	ds_read_b64 v[84:85], v87
	v_cndmask_b32_e64 v82, v82, v47, s[20:21]
	v_cndmask_b32_e64 v83, v82, v49, s[22:23]
	v_cndmask_b32_e32 v82, v26, v28, vcc
	v_cndmask_b32_e64 v82, v82, v30, s[4:5]
	v_cndmask_b32_e64 v82, v82, v32, s[6:7]
	;; [unrolled: 1-line block ×10, first 2 shown]
	s_waitcnt lgkmcnt(0)
	v_mul_f64 v[82:83], v[82:83], v[84:85]
	s_cbranch_execz .LBB11_21
	s_branch .LBB11_22
.LBB11_20:
                                        ; implicit-def: $vgpr82_vgpr83
.LBB11_21:
	ds_read_b64 v[82:83], v87
.LBB11_22:
	s_and_saveexec_b64 s[6:7], s[2:3]
	s_cbranch_execz .LBB11_32
; %bb.23:
	v_add_u32_e32 v84, -10, v0
	v_add_u32_e32 v85, -9, v0
	v_cmp_lt_u32_e32 vcc, 6, v84
	v_mov_b32_e32 v84, 9
	s_and_saveexec_b64 s[2:3], vcc
	s_cbranch_execz .LBB11_27
; %bb.24:
	v_and_b32_e32 v84, -8, v85
	v_sub_u32_e32 v86, 0, v84
	s_mov_b64 s[4:5], 16
	s_movk_i32 s10, 0xa8
	s_mov_b64 s[8:9], 0
.LBB11_25:                              ; =>This Inner Loop Header: Depth=1
	s_lshl_b32 s11, s4, 1
	s_add_i32 s12, s11, -13
	v_mov_b32_e32 v102, s10
	s_add_i32 s13, s11, -14
	s_set_gpr_idx_on s12, gpr_idx(SRC0)
	v_mov_b32_e32 v97, v26
	s_set_gpr_idx_off
	s_add_i32 s14, s11, -11
	s_set_gpr_idx_on s13, gpr_idx(SRC0)
	v_mov_b32_e32 v96, v26
	s_set_gpr_idx_off
	ds_read2_b64 v[88:91], v102 offset1:1
	s_add_i32 s15, s11, -12
	s_set_gpr_idx_on s14, gpr_idx(SRC0)
	v_mov_b32_e32 v99, v26
	s_set_gpr_idx_off
	s_add_i32 s16, s11, -9
	s_set_gpr_idx_on s15, gpr_idx(SRC0)
	v_mov_b32_e32 v98, v26
	s_set_gpr_idx_off
	;; [unrolled: 4-line block ×4, first 2 shown]
	ds_read2_b64 v[92:95], v102 offset0:2 offset1:3
	s_add_i32 s19, s11, -8
	s_waitcnt lgkmcnt(1)
	v_fmac_f64_e32 v[82:83], v[96:97], v[88:89]
	s_set_gpr_idx_on s18, gpr_idx(SRC0)
	v_mov_b32_e32 v97, v26
	s_set_gpr_idx_off
	s_add_i32 s20, s11, -5
	v_fmac_f64_e32 v[82:83], v[98:99], v[90:91]
	s_set_gpr_idx_on s19, gpr_idx(SRC0)
	v_mov_b32_e32 v96, v26
	s_set_gpr_idx_off
	s_add_i32 s21, s11, -6
	s_set_gpr_idx_on s20, gpr_idx(SRC0)
	v_mov_b32_e32 v99, v26
	s_set_gpr_idx_off
	s_add_i32 s22, s11, -3
	s_set_gpr_idx_on s21, gpr_idx(SRC0)
	v_mov_b32_e32 v98, v26
	s_set_gpr_idx_off
	s_add_i32 s23, s11, -4
	ds_read2_b64 v[88:91], v102 offset0:4 offset1:5
	s_waitcnt lgkmcnt(1)
	v_fmac_f64_e32 v[82:83], v[100:101], v[92:93]
	s_set_gpr_idx_on s22, gpr_idx(SRC0)
	v_mov_b32_e32 v101, v26
	s_set_gpr_idx_off
	s_add_i32 s28, s11, -1
	v_fmac_f64_e32 v[82:83], v[96:97], v[94:95]
	s_set_gpr_idx_on s23, gpr_idx(SRC0)
	v_mov_b32_e32 v100, v26
	s_set_gpr_idx_off
	s_add_i32 s29, s11, -2
	s_set_gpr_idx_on s28, gpr_idx(SRC0)
	v_mov_b32_e32 v97, v26
	s_set_gpr_idx_off
	s_set_gpr_idx_on s29, gpr_idx(SRC0)
	v_mov_b32_e32 v96, v26
	s_set_gpr_idx_off
	ds_read2_b64 v[92:95], v102 offset0:6 offset1:7
	s_add_u32 s4, s4, 8
	s_waitcnt lgkmcnt(1)
	v_fmac_f64_e32 v[82:83], v[98:99], v[88:89]
	s_set_gpr_idx_on s11, gpr_idx(SRC0)
	v_mov_b32_e32 v89, v27
	s_set_gpr_idx_off
	v_add_u32_e32 v84, s4, v86
	v_fmac_f64_e32 v[82:83], v[100:101], v[90:91]
	s_set_gpr_idx_on s11, gpr_idx(SRC0)
	v_mov_b32_e32 v88, v26
	s_set_gpr_idx_off
	s_addc_u32 s5, s5, 0
	s_add_i32 s10, s10, 64
	s_add_i32 s12, s4, -7
	v_cmp_eq_u32_e32 vcc, 16, v84
	s_waitcnt lgkmcnt(0)
	v_fmac_f64_e32 v[82:83], v[96:97], v[92:93]
	v_mov_b32_e32 v84, s12
	s_or_b64 s[8:9], vcc, s[8:9]
	v_fmac_f64_e32 v[82:83], v[88:89], v[94:95]
	s_andn2_b64 exec, exec, s[8:9]
	s_cbranch_execnz .LBB11_25
; %bb.26:
	s_or_b64 exec, exec, s[8:9]
.LBB11_27:
	s_or_b64 exec, exec, s[2:3]
	v_and_b32_e32 v50, 7, v85
	v_cmp_ne_u32_e32 vcc, 0, v50
	s_and_saveexec_b64 s[8:9], vcc
	s_cbranch_execz .LBB11_31
; %bb.28:
	v_mov_b32_e32 v51, 0x60
	v_lshl_add_u32 v51, v84, 3, v51
	v_mov_b32_e32 v85, 0
	s_mov_b64 s[10:11], 0
.LBB11_29:                              ; =>This Inner Loop Header: Depth=1
	v_cmp_eq_u32_e32 vcc, 1, v84
	v_add_u32_e32 v50, -1, v50
	v_cmp_eq_u32_e64 s[2:3], 2, v84
	v_cndmask_b32_e32 v54, v27, v29, vcc
	v_cndmask_b32_e32 v55, v26, v28, vcc
	v_cndmask_b32_e64 v54, v54, v31, s[2:3]
	v_cmp_eq_u32_e32 vcc, 0, v50
	v_cmp_eq_u32_e64 s[4:5], 3, v84
	v_cndmask_b32_e64 v55, v55, v30, s[2:3]
	s_or_b64 s[10:11], vcc, s[10:11]
	v_cndmask_b32_e64 v54, v54, v33, s[4:5]
	v_cmp_eq_u32_e32 vcc, 4, v84
	v_cndmask_b32_e64 v55, v55, v32, s[4:5]
	v_cmp_eq_u32_e64 s[2:3], 5, v84
	v_cndmask_b32_e32 v54, v54, v35, vcc
	v_cndmask_b32_e32 v55, v55, v34, vcc
	v_cndmask_b32_e64 v54, v54, v37, s[2:3]
	v_cmp_eq_u32_e32 vcc, 6, v84
	v_cndmask_b32_e64 v55, v55, v36, s[2:3]
	v_cmp_eq_u32_e64 s[2:3], 7, v84
	v_cndmask_b32_e32 v54, v54, v39, vcc
	v_cndmask_b32_e32 v55, v55, v38, vcc
	v_cndmask_b32_e64 v54, v54, v41, s[2:3]
	v_cmp_eq_u32_e32 vcc, 8, v84
	ds_read_b64 v[52:53], v51
	v_cndmask_b32_e64 v55, v55, v40, s[2:3]
	v_cndmask_b32_e32 v54, v54, v43, vcc
	v_cmp_eq_u32_e64 s[2:3], 9, v84
	v_cndmask_b32_e32 v55, v55, v42, vcc
	v_cmp_eq_u32_e32 vcc, 10, v84
	v_cndmask_b32_e64 v54, v54, v45, s[2:3]
	v_cmp_eq_u32_e64 s[4:5], 11, v84
	v_cndmask_b32_e32 v54, v54, v47, vcc
	v_cndmask_b32_e64 v56, v55, v44, s[2:3]
	v_cndmask_b32_e64 v55, v54, v49, s[4:5]
	v_cndmask_b32_e32 v54, v56, v46, vcc
	v_cndmask_b32_e64 v54, v54, v48, s[4:5]
	v_add_u32_e32 v51, 8, v51
	v_lshl_add_u64 v[84:85], v[84:85], 0, 1
	s_waitcnt lgkmcnt(0)
	v_fmac_f64_e32 v[82:83], v[54:55], v[52:53]
	s_andn2_b64 exec, exec, s[10:11]
	s_cbranch_execnz .LBB11_29
; %bb.30:
	s_or_b64 exec, exec, s[10:11]
.LBB11_31:
	s_or_b64 exec, exec, s[8:9]
.LBB11_32:
	s_or_b64 exec, exec, s[6:7]
	v_mov_b32_e32 v42, 0
	ds_read_b64 v[42:43], v42 offset:64
	s_waitcnt lgkmcnt(0)
	v_mul_f64 v[42:43], v[82:83], v[42:43]
.LBB11_33:
	s_or_b64 exec, exec, s[24:25]
	v_cmp_lt_u32_e64 s[2:3], 7, v0
	ds_write_b64 v87, v[40:41]
	s_waitcnt lgkmcnt(0)
	; wave barrier
	s_and_saveexec_b64 s[24:25], s[2:3]
	s_cbranch_execz .LBB11_49
; %bb.34:
	s_andn2_b64 vcc, exec, s[26:27]
	s_cbranch_vccnz .LBB11_36
; %bb.35:
	v_cmp_eq_u32_e32 vcc, 1, v0
	v_cmp_eq_u32_e64 s[4:5], 2, v0
	v_cmp_eq_u32_e64 s[6:7], 3, v0
	v_cndmask_b32_e32 v82, v27, v29, vcc
	v_cndmask_b32_e64 v82, v82, v31, s[4:5]
	v_cndmask_b32_e64 v82, v82, v33, s[6:7]
	v_cmp_eq_u32_e64 s[8:9], 4, v0
	v_cmp_eq_u32_e64 s[10:11], 5, v0
	;; [unrolled: 1-line block ×3, first 2 shown]
	v_cndmask_b32_e64 v82, v82, v35, s[8:9]
	v_cndmask_b32_e64 v82, v82, v37, s[10:11]
	v_cndmask_b32_e64 v82, v82, v39, s[12:13]
	v_cmp_eq_u32_e64 s[14:15], 7, v0
	v_cmp_eq_u32_e64 s[16:17], 8, v0
	;; [unrolled: 1-line block ×3, first 2 shown]
	v_cndmask_b32_e64 v82, v82, v41, s[14:15]
	v_cndmask_b32_e64 v82, v82, v43, s[16:17]
	;; [unrolled: 1-line block ×3, first 2 shown]
	v_cmp_eq_u32_e64 s[20:21], 10, v0
	v_cmp_eq_u32_e64 s[22:23], 11, v0
	ds_read_b64 v[84:85], v87
	v_cndmask_b32_e64 v82, v82, v47, s[20:21]
	v_cndmask_b32_e64 v83, v82, v49, s[22:23]
	v_cndmask_b32_e32 v82, v26, v28, vcc
	v_cndmask_b32_e64 v82, v82, v30, s[4:5]
	v_cndmask_b32_e64 v82, v82, v32, s[6:7]
	;; [unrolled: 1-line block ×10, first 2 shown]
	s_waitcnt lgkmcnt(0)
	v_mul_f64 v[82:83], v[82:83], v[84:85]
	s_cbranch_execz .LBB11_37
	s_branch .LBB11_38
.LBB11_36:
                                        ; implicit-def: $vgpr82_vgpr83
.LBB11_37:
	ds_read_b64 v[82:83], v87
.LBB11_38:
	s_and_saveexec_b64 s[6:7], s[0:1]
	s_cbranch_execz .LBB11_48
; %bb.39:
	v_add_u32_e32 v84, -9, v0
	v_cmp_lt_u32_e32 vcc, 6, v84
	v_mov_b32_e32 v84, 8
	s_and_saveexec_b64 s[0:1], vcc
	s_cbranch_execz .LBB11_43
; %bb.40:
	v_and_b32_e32 v84, 8, v0
	v_sub_u32_e32 v86, 0, v84
	s_mov_b64 s[4:5], 15
	s_movk_i32 s10, 0xa0
	s_mov_b64 s[8:9], 0
.LBB11_41:                              ; =>This Inner Loop Header: Depth=1
	s_lshl_b32 s11, s4, 1
	s_add_i32 s12, s11, -13
	s_add_i32 s13, s11, -14
	s_set_gpr_idx_on s12, gpr_idx(SRC0)
	v_mov_b32_e32 v105, v26
	s_set_gpr_idx_off
	v_mov_b32_e32 v84, s10
	s_add_i32 s14, s11, -11
	s_set_gpr_idx_on s13, gpr_idx(SRC0)
	v_mov_b32_e32 v104, v26
	s_set_gpr_idx_off
	s_add_i32 s15, s11, -12
	ds_read_b128 v[88:91], v84
	ds_read_b128 v[92:95], v84 offset:16
	ds_read_b128 v[96:99], v84 offset:32
	;; [unrolled: 1-line block ×3, first 2 shown]
	s_set_gpr_idx_on s14, gpr_idx(SRC0)
	v_mov_b32_e32 v107, v26
	s_set_gpr_idx_off
	s_add_i32 s16, s11, -9
	s_set_gpr_idx_on s15, gpr_idx(SRC0)
	v_mov_b32_e32 v106, v26
	s_set_gpr_idx_off
	s_add_i32 s17, s11, -10
	;; [unrolled: 4-line block ×4, first 2 shown]
	s_waitcnt lgkmcnt(3)
	v_fmac_f64_e32 v[82:83], v[104:105], v[88:89]
	s_set_gpr_idx_on s18, gpr_idx(SRC0)
	v_mov_b32_e32 v89, v26
	s_set_gpr_idx_off
	s_add_i32 s20, s11, -5
	v_fmac_f64_e32 v[82:83], v[106:107], v[90:91]
	s_set_gpr_idx_on s19, gpr_idx(SRC0)
	v_mov_b32_e32 v88, v26
	s_set_gpr_idx_off
	s_add_i32 s21, s11, -6
	s_waitcnt lgkmcnt(2)
	v_fmac_f64_e32 v[82:83], v[108:109], v[92:93]
	s_set_gpr_idx_on s20, gpr_idx(SRC0)
	v_mov_b32_e32 v91, v26
	s_set_gpr_idx_off
	s_add_i32 s22, s11, -3
	v_fmac_f64_e32 v[82:83], v[88:89], v[94:95]
	s_set_gpr_idx_on s21, gpr_idx(SRC0)
	v_mov_b32_e32 v90, v26
	s_set_gpr_idx_off
	s_add_i32 s23, s11, -4
	s_waitcnt lgkmcnt(1)
	v_fmac_f64_e32 v[82:83], v[90:91], v[96:97]
	s_set_gpr_idx_on s22, gpr_idx(SRC0)
	v_mov_b32_e32 v89, v26
	s_set_gpr_idx_off
	s_add_i32 s28, s11, -1
	s_set_gpr_idx_on s23, gpr_idx(SRC0)
	v_mov_b32_e32 v88, v26
	s_set_gpr_idx_off
	s_add_i32 s29, s11, -2
	v_fmac_f64_e32 v[82:83], v[88:89], v[98:99]
	s_set_gpr_idx_on s28, gpr_idx(SRC0)
	v_mov_b32_e32 v89, v26
	s_set_gpr_idx_off
	s_add_u32 s4, s4, 8
	s_set_gpr_idx_on s29, gpr_idx(SRC0)
	v_mov_b32_e32 v88, v26
	s_set_gpr_idx_off
	v_add_u32_e32 v84, s4, v86
	s_waitcnt lgkmcnt(0)
	v_fmac_f64_e32 v[82:83], v[88:89], v[100:101]
	s_set_gpr_idx_on s11, gpr_idx(SRC0)
	v_mov_b32_e32 v89, v27
	s_set_gpr_idx_off
	s_addc_u32 s5, s5, 0
	s_add_i32 s10, s10, 64
	s_add_i32 s12, s4, -7
	v_cmp_eq_u32_e32 vcc, 7, v84
	s_set_gpr_idx_on s11, gpr_idx(SRC0)
	v_mov_b32_e32 v88, v26
	s_set_gpr_idx_off
	v_mov_b32_e32 v84, s12
	s_or_b64 s[8:9], vcc, s[8:9]
	v_fmac_f64_e32 v[82:83], v[88:89], v[102:103]
	s_andn2_b64 exec, exec, s[8:9]
	s_cbranch_execnz .LBB11_41
; %bb.42:
	s_or_b64 exec, exec, s[8:9]
.LBB11_43:
	s_or_b64 exec, exec, s[0:1]
	v_and_b32_e32 v50, 7, v0
	v_cmp_ne_u32_e32 vcc, 0, v50
	s_and_saveexec_b64 s[8:9], vcc
	s_cbranch_execz .LBB11_47
; %bb.44:
	v_mov_b32_e32 v51, 0x60
	v_lshl_add_u32 v51, v84, 3, v51
	v_mov_b32_e32 v85, 0
	s_mov_b64 s[10:11], 0
.LBB11_45:                              ; =>This Inner Loop Header: Depth=1
	v_cmp_eq_u32_e32 vcc, 1, v84
	v_add_u32_e32 v50, -1, v50
	v_cmp_eq_u32_e64 s[0:1], 2, v84
	v_cndmask_b32_e32 v54, v27, v29, vcc
	v_cndmask_b32_e32 v55, v26, v28, vcc
	v_cndmask_b32_e64 v54, v54, v31, s[0:1]
	v_cmp_eq_u32_e32 vcc, 0, v50
	v_cmp_eq_u32_e64 s[4:5], 3, v84
	v_cndmask_b32_e64 v55, v55, v30, s[0:1]
	s_or_b64 s[10:11], vcc, s[10:11]
	v_cndmask_b32_e64 v54, v54, v33, s[4:5]
	v_cmp_eq_u32_e32 vcc, 4, v84
	v_cndmask_b32_e64 v55, v55, v32, s[4:5]
	v_cmp_eq_u32_e64 s[0:1], 5, v84
	v_cndmask_b32_e32 v54, v54, v35, vcc
	v_cndmask_b32_e32 v55, v55, v34, vcc
	v_cndmask_b32_e64 v54, v54, v37, s[0:1]
	v_cmp_eq_u32_e32 vcc, 6, v84
	v_cndmask_b32_e64 v55, v55, v36, s[0:1]
	v_cmp_eq_u32_e64 s[0:1], 7, v84
	v_cndmask_b32_e32 v54, v54, v39, vcc
	v_cndmask_b32_e32 v55, v55, v38, vcc
	v_cndmask_b32_e64 v54, v54, v41, s[0:1]
	v_cmp_eq_u32_e32 vcc, 8, v84
	ds_read_b64 v[52:53], v51
	v_cndmask_b32_e64 v55, v55, v40, s[0:1]
	v_cndmask_b32_e32 v54, v54, v43, vcc
	v_cmp_eq_u32_e64 s[0:1], 9, v84
	v_cndmask_b32_e32 v55, v55, v42, vcc
	v_cmp_eq_u32_e32 vcc, 10, v84
	v_cndmask_b32_e64 v54, v54, v45, s[0:1]
	v_cmp_eq_u32_e64 s[4:5], 11, v84
	v_cndmask_b32_e32 v54, v54, v47, vcc
	v_cndmask_b32_e64 v56, v55, v44, s[0:1]
	v_cndmask_b32_e64 v55, v54, v49, s[4:5]
	v_cndmask_b32_e32 v54, v56, v46, vcc
	v_cndmask_b32_e64 v54, v54, v48, s[4:5]
	v_add_u32_e32 v51, 8, v51
	v_lshl_add_u64 v[84:85], v[84:85], 0, 1
	s_waitcnt lgkmcnt(0)
	v_fmac_f64_e32 v[82:83], v[54:55], v[52:53]
	s_andn2_b64 exec, exec, s[10:11]
	s_cbranch_execnz .LBB11_45
; %bb.46:
	s_or_b64 exec, exec, s[10:11]
.LBB11_47:
	s_or_b64 exec, exec, s[8:9]
.LBB11_48:
	s_or_b64 exec, exec, s[6:7]
	v_mov_b32_e32 v40, 0
	ds_read_b64 v[40:41], v40 offset:56
	s_waitcnt lgkmcnt(0)
	v_mul_f64 v[40:41], v[82:83], v[40:41]
.LBB11_49:
	s_or_b64 exec, exec, s[24:25]
	v_cmp_lt_u32_e64 s[0:1], 6, v0
	ds_write_b64 v87, v[38:39]
	s_waitcnt lgkmcnt(0)
	; wave barrier
	s_and_saveexec_b64 s[24:25], s[0:1]
	s_cbranch_execz .LBB11_65
; %bb.50:
	s_andn2_b64 vcc, exec, s[26:27]
	s_cbranch_vccnz .LBB11_52
; %bb.51:
	v_cmp_eq_u32_e32 vcc, 1, v0
	v_cmp_eq_u32_e64 s[4:5], 2, v0
	v_cmp_eq_u32_e64 s[6:7], 3, v0
	v_cndmask_b32_e32 v82, v27, v29, vcc
	v_cndmask_b32_e64 v82, v82, v31, s[4:5]
	v_cndmask_b32_e64 v82, v82, v33, s[6:7]
	v_cmp_eq_u32_e64 s[8:9], 4, v0
	v_cmp_eq_u32_e64 s[10:11], 5, v0
	;; [unrolled: 1-line block ×3, first 2 shown]
	v_cndmask_b32_e64 v82, v82, v35, s[8:9]
	v_cndmask_b32_e64 v82, v82, v37, s[10:11]
	;; [unrolled: 1-line block ×3, first 2 shown]
	v_cmp_eq_u32_e64 s[14:15], 7, v0
	v_cmp_eq_u32_e64 s[16:17], 8, v0
	;; [unrolled: 1-line block ×3, first 2 shown]
	v_cndmask_b32_e64 v82, v82, v41, s[14:15]
	v_cndmask_b32_e64 v82, v82, v43, s[16:17]
	;; [unrolled: 1-line block ×3, first 2 shown]
	v_cmp_eq_u32_e64 s[20:21], 10, v0
	v_cmp_eq_u32_e64 s[22:23], 11, v0
	ds_read_b64 v[84:85], v87
	v_cndmask_b32_e64 v82, v82, v47, s[20:21]
	v_cndmask_b32_e64 v83, v82, v49, s[22:23]
	v_cndmask_b32_e32 v82, v26, v28, vcc
	v_cndmask_b32_e64 v82, v82, v30, s[4:5]
	v_cndmask_b32_e64 v82, v82, v32, s[6:7]
	;; [unrolled: 1-line block ×10, first 2 shown]
	s_waitcnt lgkmcnt(0)
	v_mul_f64 v[82:83], v[82:83], v[84:85]
	s_cbranch_execz .LBB11_53
	s_branch .LBB11_54
.LBB11_52:
                                        ; implicit-def: $vgpr82_vgpr83
.LBB11_53:
	ds_read_b64 v[82:83], v87
.LBB11_54:
	s_and_saveexec_b64 s[6:7], s[2:3]
	s_cbranch_execz .LBB11_64
; %bb.55:
	v_add_u32_e32 v84, -8, v0
	v_add_u32_e32 v85, -7, v0
	v_cmp_lt_u32_e32 vcc, 6, v84
	v_mov_b32_e32 v84, 7
	s_and_saveexec_b64 s[2:3], vcc
	s_cbranch_execz .LBB11_59
; %bb.56:
	v_and_b32_e32 v84, -8, v85
	v_sub_u32_e32 v86, 0, v84
	s_mov_b64 s[4:5], 14
	s_movk_i32 s10, 0x98
	s_mov_b64 s[8:9], 0
.LBB11_57:                              ; =>This Inner Loop Header: Depth=1
	s_lshl_b32 s11, s4, 1
	s_add_i32 s12, s11, -13
	v_mov_b32_e32 v102, s10
	s_add_i32 s13, s11, -14
	s_set_gpr_idx_on s12, gpr_idx(SRC0)
	v_mov_b32_e32 v97, v26
	s_set_gpr_idx_off
	s_add_i32 s14, s11, -11
	s_set_gpr_idx_on s13, gpr_idx(SRC0)
	v_mov_b32_e32 v96, v26
	s_set_gpr_idx_off
	ds_read2_b64 v[88:91], v102 offset1:1
	s_add_i32 s15, s11, -12
	s_set_gpr_idx_on s14, gpr_idx(SRC0)
	v_mov_b32_e32 v99, v26
	s_set_gpr_idx_off
	s_add_i32 s16, s11, -9
	s_set_gpr_idx_on s15, gpr_idx(SRC0)
	v_mov_b32_e32 v98, v26
	s_set_gpr_idx_off
	;; [unrolled: 4-line block ×4, first 2 shown]
	ds_read2_b64 v[92:95], v102 offset0:2 offset1:3
	s_add_i32 s19, s11, -8
	s_waitcnt lgkmcnt(1)
	v_fmac_f64_e32 v[82:83], v[96:97], v[88:89]
	s_set_gpr_idx_on s18, gpr_idx(SRC0)
	v_mov_b32_e32 v97, v26
	s_set_gpr_idx_off
	s_add_i32 s20, s11, -5
	v_fmac_f64_e32 v[82:83], v[98:99], v[90:91]
	s_set_gpr_idx_on s19, gpr_idx(SRC0)
	v_mov_b32_e32 v96, v26
	s_set_gpr_idx_off
	s_add_i32 s21, s11, -6
	s_set_gpr_idx_on s20, gpr_idx(SRC0)
	v_mov_b32_e32 v99, v26
	s_set_gpr_idx_off
	s_add_i32 s22, s11, -3
	;; [unrolled: 4-line block ×3, first 2 shown]
	ds_read2_b64 v[88:91], v102 offset0:4 offset1:5
	s_waitcnt lgkmcnt(1)
	v_fmac_f64_e32 v[82:83], v[100:101], v[92:93]
	s_set_gpr_idx_on s22, gpr_idx(SRC0)
	v_mov_b32_e32 v101, v26
	s_set_gpr_idx_off
	s_add_i32 s28, s11, -1
	v_fmac_f64_e32 v[82:83], v[96:97], v[94:95]
	s_set_gpr_idx_on s23, gpr_idx(SRC0)
	v_mov_b32_e32 v100, v26
	s_set_gpr_idx_off
	s_add_i32 s29, s11, -2
	s_set_gpr_idx_on s28, gpr_idx(SRC0)
	v_mov_b32_e32 v97, v26
	s_set_gpr_idx_off
	s_set_gpr_idx_on s29, gpr_idx(SRC0)
	v_mov_b32_e32 v96, v26
	s_set_gpr_idx_off
	ds_read2_b64 v[92:95], v102 offset0:6 offset1:7
	s_add_u32 s4, s4, 8
	s_waitcnt lgkmcnt(1)
	v_fmac_f64_e32 v[82:83], v[98:99], v[88:89]
	s_set_gpr_idx_on s11, gpr_idx(SRC0)
	v_mov_b32_e32 v89, v27
	s_set_gpr_idx_off
	v_add_u32_e32 v84, s4, v86
	v_fmac_f64_e32 v[82:83], v[100:101], v[90:91]
	s_set_gpr_idx_on s11, gpr_idx(SRC0)
	v_mov_b32_e32 v88, v26
	s_set_gpr_idx_off
	s_addc_u32 s5, s5, 0
	s_add_i32 s10, s10, 64
	s_add_i32 s12, s4, -7
	v_cmp_eq_u32_e32 vcc, 14, v84
	s_waitcnt lgkmcnt(0)
	v_fmac_f64_e32 v[82:83], v[96:97], v[92:93]
	v_mov_b32_e32 v84, s12
	s_or_b64 s[8:9], vcc, s[8:9]
	v_fmac_f64_e32 v[82:83], v[88:89], v[94:95]
	s_andn2_b64 exec, exec, s[8:9]
	s_cbranch_execnz .LBB11_57
; %bb.58:
	s_or_b64 exec, exec, s[8:9]
.LBB11_59:
	s_or_b64 exec, exec, s[2:3]
	v_and_b32_e32 v50, 7, v85
	v_cmp_ne_u32_e32 vcc, 0, v50
	s_and_saveexec_b64 s[8:9], vcc
	s_cbranch_execz .LBB11_63
; %bb.60:
	v_mov_b32_e32 v51, 0x60
	v_lshl_add_u32 v51, v84, 3, v51
	v_mov_b32_e32 v85, 0
	s_mov_b64 s[10:11], 0
.LBB11_61:                              ; =>This Inner Loop Header: Depth=1
	v_cmp_eq_u32_e32 vcc, 1, v84
	v_add_u32_e32 v50, -1, v50
	v_cmp_eq_u32_e64 s[2:3], 2, v84
	v_cndmask_b32_e32 v54, v27, v29, vcc
	v_cndmask_b32_e32 v55, v26, v28, vcc
	v_cndmask_b32_e64 v54, v54, v31, s[2:3]
	v_cmp_eq_u32_e32 vcc, 0, v50
	v_cmp_eq_u32_e64 s[4:5], 3, v84
	v_cndmask_b32_e64 v55, v55, v30, s[2:3]
	s_or_b64 s[10:11], vcc, s[10:11]
	v_cndmask_b32_e64 v54, v54, v33, s[4:5]
	v_cmp_eq_u32_e32 vcc, 4, v84
	v_cndmask_b32_e64 v55, v55, v32, s[4:5]
	v_cmp_eq_u32_e64 s[2:3], 5, v84
	v_cndmask_b32_e32 v54, v54, v35, vcc
	v_cndmask_b32_e32 v55, v55, v34, vcc
	v_cndmask_b32_e64 v54, v54, v37, s[2:3]
	v_cmp_eq_u32_e32 vcc, 6, v84
	v_cndmask_b32_e64 v55, v55, v36, s[2:3]
	v_cmp_eq_u32_e64 s[2:3], 7, v84
	v_cndmask_b32_e32 v54, v54, v39, vcc
	v_cndmask_b32_e32 v55, v55, v38, vcc
	v_cndmask_b32_e64 v54, v54, v41, s[2:3]
	v_cmp_eq_u32_e32 vcc, 8, v84
	ds_read_b64 v[52:53], v51
	v_cndmask_b32_e64 v55, v55, v40, s[2:3]
	v_cndmask_b32_e32 v54, v54, v43, vcc
	v_cmp_eq_u32_e64 s[2:3], 9, v84
	v_cndmask_b32_e32 v55, v55, v42, vcc
	v_cmp_eq_u32_e32 vcc, 10, v84
	v_cndmask_b32_e64 v54, v54, v45, s[2:3]
	v_cmp_eq_u32_e64 s[4:5], 11, v84
	v_cndmask_b32_e32 v54, v54, v47, vcc
	v_cndmask_b32_e64 v56, v55, v44, s[2:3]
	v_cndmask_b32_e64 v55, v54, v49, s[4:5]
	v_cndmask_b32_e32 v54, v56, v46, vcc
	v_cndmask_b32_e64 v54, v54, v48, s[4:5]
	v_add_u32_e32 v51, 8, v51
	v_lshl_add_u64 v[84:85], v[84:85], 0, 1
	s_waitcnt lgkmcnt(0)
	v_fmac_f64_e32 v[82:83], v[54:55], v[52:53]
	s_andn2_b64 exec, exec, s[10:11]
	s_cbranch_execnz .LBB11_61
; %bb.62:
	s_or_b64 exec, exec, s[10:11]
.LBB11_63:
	s_or_b64 exec, exec, s[8:9]
.LBB11_64:
	s_or_b64 exec, exec, s[6:7]
	v_mov_b32_e32 v38, 0
	ds_read_b64 v[38:39], v38 offset:48
	s_waitcnt lgkmcnt(0)
	v_mul_f64 v[38:39], v[82:83], v[38:39]
.LBB11_65:
	s_or_b64 exec, exec, s[24:25]
	v_cmp_lt_u32_e64 s[2:3], 5, v0
	ds_write_b64 v87, v[36:37]
	s_waitcnt lgkmcnt(0)
	; wave barrier
	s_and_saveexec_b64 s[24:25], s[2:3]
	s_cbranch_execz .LBB11_81
; %bb.66:
	s_andn2_b64 vcc, exec, s[26:27]
	s_cbranch_vccnz .LBB11_68
; %bb.67:
	v_cmp_eq_u32_e32 vcc, 1, v0
	v_cmp_eq_u32_e64 s[4:5], 2, v0
	v_cmp_eq_u32_e64 s[6:7], 3, v0
	v_cndmask_b32_e32 v82, v27, v29, vcc
	v_cndmask_b32_e64 v82, v82, v31, s[4:5]
	v_cndmask_b32_e64 v82, v82, v33, s[6:7]
	v_cmp_eq_u32_e64 s[8:9], 4, v0
	v_cmp_eq_u32_e64 s[10:11], 5, v0
	;; [unrolled: 1-line block ×3, first 2 shown]
	v_cndmask_b32_e64 v82, v82, v35, s[8:9]
	v_cndmask_b32_e64 v82, v82, v37, s[10:11]
	;; [unrolled: 1-line block ×3, first 2 shown]
	v_cmp_eq_u32_e64 s[14:15], 7, v0
	v_cmp_eq_u32_e64 s[16:17], 8, v0
	;; [unrolled: 1-line block ×3, first 2 shown]
	v_cndmask_b32_e64 v82, v82, v41, s[14:15]
	v_cndmask_b32_e64 v82, v82, v43, s[16:17]
	;; [unrolled: 1-line block ×3, first 2 shown]
	v_cmp_eq_u32_e64 s[20:21], 10, v0
	v_cmp_eq_u32_e64 s[22:23], 11, v0
	ds_read_b64 v[84:85], v87
	v_cndmask_b32_e64 v82, v82, v47, s[20:21]
	v_cndmask_b32_e64 v83, v82, v49, s[22:23]
	v_cndmask_b32_e32 v82, v26, v28, vcc
	v_cndmask_b32_e64 v82, v82, v30, s[4:5]
	v_cndmask_b32_e64 v82, v82, v32, s[6:7]
	;; [unrolled: 1-line block ×10, first 2 shown]
	s_waitcnt lgkmcnt(0)
	v_mul_f64 v[82:83], v[82:83], v[84:85]
	s_cbranch_execz .LBB11_69
	s_branch .LBB11_70
.LBB11_68:
                                        ; implicit-def: $vgpr82_vgpr83
.LBB11_69:
	ds_read_b64 v[82:83], v87
.LBB11_70:
	s_and_saveexec_b64 s[6:7], s[0:1]
	s_cbranch_execz .LBB11_80
; %bb.71:
	v_add_u32_e32 v86, -7, v0
	v_add_u32_e32 v85, -6, v0
	v_mov_b32_e32 v84, 6
	v_cmp_lt_u32_e32 vcc, 6, v86
	s_and_saveexec_b64 s[0:1], vcc
	s_cbranch_execz .LBB11_75
; %bb.72:
	v_and_b32_e32 v84, -8, v85
	v_sub_u32_e32 v86, 0, v84
	s_mov_b64 s[4:5], 13
	s_movk_i32 s10, 0x90
	s_mov_b64 s[8:9], 0
.LBB11_73:                              ; =>This Inner Loop Header: Depth=1
	s_lshl_b32 s11, s4, 1
	s_add_i32 s12, s11, -13
	s_add_i32 s13, s11, -14
	s_set_gpr_idx_on s12, gpr_idx(SRC0)
	v_mov_b32_e32 v105, v26
	s_set_gpr_idx_off
	v_mov_b32_e32 v84, s10
	s_add_i32 s14, s11, -11
	s_set_gpr_idx_on s13, gpr_idx(SRC0)
	v_mov_b32_e32 v104, v26
	s_set_gpr_idx_off
	s_add_i32 s15, s11, -12
	ds_read_b128 v[88:91], v84
	ds_read_b128 v[92:95], v84 offset:16
	ds_read_b128 v[96:99], v84 offset:32
	;; [unrolled: 1-line block ×3, first 2 shown]
	s_set_gpr_idx_on s14, gpr_idx(SRC0)
	v_mov_b32_e32 v107, v26
	s_set_gpr_idx_off
	s_add_i32 s16, s11, -9
	s_set_gpr_idx_on s15, gpr_idx(SRC0)
	v_mov_b32_e32 v106, v26
	s_set_gpr_idx_off
	s_add_i32 s17, s11, -10
	;; [unrolled: 4-line block ×4, first 2 shown]
	s_waitcnt lgkmcnt(3)
	v_fmac_f64_e32 v[82:83], v[104:105], v[88:89]
	s_set_gpr_idx_on s18, gpr_idx(SRC0)
	v_mov_b32_e32 v89, v26
	s_set_gpr_idx_off
	s_add_i32 s20, s11, -5
	v_fmac_f64_e32 v[82:83], v[106:107], v[90:91]
	s_set_gpr_idx_on s19, gpr_idx(SRC0)
	v_mov_b32_e32 v88, v26
	s_set_gpr_idx_off
	s_add_i32 s21, s11, -6
	s_waitcnt lgkmcnt(2)
	v_fmac_f64_e32 v[82:83], v[108:109], v[92:93]
	s_set_gpr_idx_on s20, gpr_idx(SRC0)
	v_mov_b32_e32 v91, v26
	s_set_gpr_idx_off
	s_add_i32 s22, s11, -3
	v_fmac_f64_e32 v[82:83], v[88:89], v[94:95]
	s_set_gpr_idx_on s21, gpr_idx(SRC0)
	v_mov_b32_e32 v90, v26
	s_set_gpr_idx_off
	s_add_i32 s23, s11, -4
	s_waitcnt lgkmcnt(1)
	v_fmac_f64_e32 v[82:83], v[90:91], v[96:97]
	s_set_gpr_idx_on s22, gpr_idx(SRC0)
	v_mov_b32_e32 v89, v26
	s_set_gpr_idx_off
	s_add_i32 s28, s11, -1
	s_set_gpr_idx_on s23, gpr_idx(SRC0)
	v_mov_b32_e32 v88, v26
	s_set_gpr_idx_off
	s_add_i32 s29, s11, -2
	v_fmac_f64_e32 v[82:83], v[88:89], v[98:99]
	s_set_gpr_idx_on s28, gpr_idx(SRC0)
	v_mov_b32_e32 v89, v26
	s_set_gpr_idx_off
	s_add_u32 s4, s4, 8
	s_set_gpr_idx_on s29, gpr_idx(SRC0)
	v_mov_b32_e32 v88, v26
	s_set_gpr_idx_off
	v_add_u32_e32 v84, s4, v86
	s_waitcnt lgkmcnt(0)
	v_fmac_f64_e32 v[82:83], v[88:89], v[100:101]
	s_set_gpr_idx_on s11, gpr_idx(SRC0)
	v_mov_b32_e32 v89, v27
	s_set_gpr_idx_off
	s_addc_u32 s5, s5, 0
	s_add_i32 s10, s10, 64
	s_add_i32 s12, s4, -7
	v_cmp_eq_u32_e32 vcc, 13, v84
	s_set_gpr_idx_on s11, gpr_idx(SRC0)
	v_mov_b32_e32 v88, v26
	s_set_gpr_idx_off
	v_mov_b32_e32 v84, s12
	s_or_b64 s[8:9], vcc, s[8:9]
	v_fmac_f64_e32 v[82:83], v[88:89], v[102:103]
	s_andn2_b64 exec, exec, s[8:9]
	s_cbranch_execnz .LBB11_73
; %bb.74:
	s_or_b64 exec, exec, s[8:9]
.LBB11_75:
	s_or_b64 exec, exec, s[0:1]
	v_and_b32_e32 v50, 7, v85
	v_cmp_ne_u32_e32 vcc, 0, v50
	s_and_saveexec_b64 s[8:9], vcc
	s_cbranch_execz .LBB11_79
; %bb.76:
	v_mov_b32_e32 v51, 0x60
	v_lshl_add_u32 v51, v84, 3, v51
	v_mov_b32_e32 v85, 0
	s_mov_b64 s[10:11], 0
.LBB11_77:                              ; =>This Inner Loop Header: Depth=1
	v_cmp_eq_u32_e32 vcc, 1, v84
	v_add_u32_e32 v50, -1, v50
	v_cmp_eq_u32_e64 s[0:1], 2, v84
	v_cndmask_b32_e32 v54, v27, v29, vcc
	v_cndmask_b32_e32 v55, v26, v28, vcc
	v_cndmask_b32_e64 v54, v54, v31, s[0:1]
	v_cmp_eq_u32_e32 vcc, 0, v50
	v_cmp_eq_u32_e64 s[4:5], 3, v84
	v_cndmask_b32_e64 v55, v55, v30, s[0:1]
	s_or_b64 s[10:11], vcc, s[10:11]
	v_cndmask_b32_e64 v54, v54, v33, s[4:5]
	v_cmp_eq_u32_e32 vcc, 4, v84
	v_cndmask_b32_e64 v55, v55, v32, s[4:5]
	v_cmp_eq_u32_e64 s[0:1], 5, v84
	v_cndmask_b32_e32 v54, v54, v35, vcc
	v_cndmask_b32_e32 v55, v55, v34, vcc
	v_cndmask_b32_e64 v54, v54, v37, s[0:1]
	v_cmp_eq_u32_e32 vcc, 6, v84
	v_cndmask_b32_e64 v55, v55, v36, s[0:1]
	v_cmp_eq_u32_e64 s[0:1], 7, v84
	v_cndmask_b32_e32 v54, v54, v39, vcc
	v_cndmask_b32_e32 v55, v55, v38, vcc
	v_cndmask_b32_e64 v54, v54, v41, s[0:1]
	v_cmp_eq_u32_e32 vcc, 8, v84
	ds_read_b64 v[52:53], v51
	v_cndmask_b32_e64 v55, v55, v40, s[0:1]
	v_cndmask_b32_e32 v54, v54, v43, vcc
	v_cmp_eq_u32_e64 s[0:1], 9, v84
	v_cndmask_b32_e32 v55, v55, v42, vcc
	v_cmp_eq_u32_e32 vcc, 10, v84
	v_cndmask_b32_e64 v54, v54, v45, s[0:1]
	v_cmp_eq_u32_e64 s[4:5], 11, v84
	v_cndmask_b32_e32 v54, v54, v47, vcc
	v_cndmask_b32_e64 v56, v55, v44, s[0:1]
	v_cndmask_b32_e64 v55, v54, v49, s[4:5]
	v_cndmask_b32_e32 v54, v56, v46, vcc
	v_cndmask_b32_e64 v54, v54, v48, s[4:5]
	v_add_u32_e32 v51, 8, v51
	v_lshl_add_u64 v[84:85], v[84:85], 0, 1
	s_waitcnt lgkmcnt(0)
	v_fmac_f64_e32 v[82:83], v[54:55], v[52:53]
	s_andn2_b64 exec, exec, s[10:11]
	s_cbranch_execnz .LBB11_77
; %bb.78:
	s_or_b64 exec, exec, s[10:11]
.LBB11_79:
	s_or_b64 exec, exec, s[8:9]
.LBB11_80:
	s_or_b64 exec, exec, s[6:7]
	v_mov_b32_e32 v36, 0
	ds_read_b64 v[36:37], v36 offset:40
	s_waitcnt lgkmcnt(0)
	v_mul_f64 v[36:37], v[82:83], v[36:37]
.LBB11_81:
	s_or_b64 exec, exec, s[24:25]
	v_cmp_lt_u32_e64 s[0:1], 4, v0
	ds_write_b64 v87, v[34:35]
	s_waitcnt lgkmcnt(0)
	; wave barrier
	s_and_saveexec_b64 s[24:25], s[0:1]
	s_cbranch_execz .LBB11_97
; %bb.82:
	s_andn2_b64 vcc, exec, s[26:27]
	s_cbranch_vccnz .LBB11_84
; %bb.83:
	v_cmp_eq_u32_e32 vcc, 1, v0
	v_cmp_eq_u32_e64 s[4:5], 2, v0
	v_cmp_eq_u32_e64 s[6:7], 3, v0
	v_cndmask_b32_e32 v82, v27, v29, vcc
	v_cndmask_b32_e64 v82, v82, v31, s[4:5]
	v_cndmask_b32_e64 v82, v82, v33, s[6:7]
	v_cmp_eq_u32_e64 s[8:9], 4, v0
	v_cmp_eq_u32_e64 s[10:11], 5, v0
	;; [unrolled: 1-line block ×3, first 2 shown]
	v_cndmask_b32_e64 v82, v82, v35, s[8:9]
	v_cndmask_b32_e64 v82, v82, v37, s[10:11]
	;; [unrolled: 1-line block ×3, first 2 shown]
	v_cmp_eq_u32_e64 s[14:15], 7, v0
	v_cmp_eq_u32_e64 s[16:17], 8, v0
	;; [unrolled: 1-line block ×3, first 2 shown]
	v_cndmask_b32_e64 v82, v82, v41, s[14:15]
	v_cndmask_b32_e64 v82, v82, v43, s[16:17]
	;; [unrolled: 1-line block ×3, first 2 shown]
	v_cmp_eq_u32_e64 s[20:21], 10, v0
	v_cmp_eq_u32_e64 s[22:23], 11, v0
	ds_read_b64 v[84:85], v87
	v_cndmask_b32_e64 v82, v82, v47, s[20:21]
	v_cndmask_b32_e64 v83, v82, v49, s[22:23]
	v_cndmask_b32_e32 v82, v26, v28, vcc
	v_cndmask_b32_e64 v82, v82, v30, s[4:5]
	v_cndmask_b32_e64 v82, v82, v32, s[6:7]
	;; [unrolled: 1-line block ×10, first 2 shown]
	s_waitcnt lgkmcnt(0)
	v_mul_f64 v[82:83], v[82:83], v[84:85]
	s_cbranch_execz .LBB11_85
	s_branch .LBB11_86
.LBB11_84:
                                        ; implicit-def: $vgpr82_vgpr83
.LBB11_85:
	ds_read_b64 v[82:83], v87
.LBB11_86:
	s_and_saveexec_b64 s[6:7], s[2:3]
	s_cbranch_execz .LBB11_96
; %bb.87:
	v_add_u32_e32 v84, -6, v0
	v_add_u32_e32 v85, -5, v0
	v_cmp_lt_u32_e32 vcc, 6, v84
	v_mov_b32_e32 v84, 5
	s_and_saveexec_b64 s[2:3], vcc
	s_cbranch_execz .LBB11_91
; %bb.88:
	v_and_b32_e32 v84, -8, v85
	v_sub_u32_e32 v86, 0, v84
	s_mov_b64 s[4:5], 12
	s_movk_i32 s10, 0x88
	s_mov_b64 s[8:9], 0
.LBB11_89:                              ; =>This Inner Loop Header: Depth=1
	s_lshl_b32 s11, s4, 1
	s_add_i32 s12, s11, -13
	v_mov_b32_e32 v102, s10
	s_add_i32 s13, s11, -14
	s_set_gpr_idx_on s12, gpr_idx(SRC0)
	v_mov_b32_e32 v97, v26
	s_set_gpr_idx_off
	s_add_i32 s14, s11, -11
	s_set_gpr_idx_on s13, gpr_idx(SRC0)
	v_mov_b32_e32 v96, v26
	s_set_gpr_idx_off
	ds_read2_b64 v[88:91], v102 offset1:1
	s_add_i32 s15, s11, -12
	s_set_gpr_idx_on s14, gpr_idx(SRC0)
	v_mov_b32_e32 v99, v26
	s_set_gpr_idx_off
	s_add_i32 s16, s11, -9
	s_set_gpr_idx_on s15, gpr_idx(SRC0)
	v_mov_b32_e32 v98, v26
	s_set_gpr_idx_off
	;; [unrolled: 4-line block ×4, first 2 shown]
	ds_read2_b64 v[92:95], v102 offset0:2 offset1:3
	s_add_i32 s19, s11, -8
	s_waitcnt lgkmcnt(1)
	v_fmac_f64_e32 v[82:83], v[96:97], v[88:89]
	s_set_gpr_idx_on s18, gpr_idx(SRC0)
	v_mov_b32_e32 v97, v26
	s_set_gpr_idx_off
	s_add_i32 s20, s11, -5
	v_fmac_f64_e32 v[82:83], v[98:99], v[90:91]
	s_set_gpr_idx_on s19, gpr_idx(SRC0)
	v_mov_b32_e32 v96, v26
	s_set_gpr_idx_off
	s_add_i32 s21, s11, -6
	s_set_gpr_idx_on s20, gpr_idx(SRC0)
	v_mov_b32_e32 v99, v26
	s_set_gpr_idx_off
	s_add_i32 s22, s11, -3
	;; [unrolled: 4-line block ×3, first 2 shown]
	ds_read2_b64 v[88:91], v102 offset0:4 offset1:5
	s_waitcnt lgkmcnt(1)
	v_fmac_f64_e32 v[82:83], v[100:101], v[92:93]
	s_set_gpr_idx_on s22, gpr_idx(SRC0)
	v_mov_b32_e32 v101, v26
	s_set_gpr_idx_off
	s_add_i32 s28, s11, -1
	v_fmac_f64_e32 v[82:83], v[96:97], v[94:95]
	s_set_gpr_idx_on s23, gpr_idx(SRC0)
	v_mov_b32_e32 v100, v26
	s_set_gpr_idx_off
	s_add_i32 s29, s11, -2
	s_set_gpr_idx_on s28, gpr_idx(SRC0)
	v_mov_b32_e32 v97, v26
	s_set_gpr_idx_off
	s_set_gpr_idx_on s29, gpr_idx(SRC0)
	v_mov_b32_e32 v96, v26
	s_set_gpr_idx_off
	ds_read2_b64 v[92:95], v102 offset0:6 offset1:7
	s_add_u32 s4, s4, 8
	s_waitcnt lgkmcnt(1)
	v_fmac_f64_e32 v[82:83], v[98:99], v[88:89]
	s_set_gpr_idx_on s11, gpr_idx(SRC0)
	v_mov_b32_e32 v89, v27
	s_set_gpr_idx_off
	v_add_u32_e32 v84, s4, v86
	v_fmac_f64_e32 v[82:83], v[100:101], v[90:91]
	s_set_gpr_idx_on s11, gpr_idx(SRC0)
	v_mov_b32_e32 v88, v26
	s_set_gpr_idx_off
	s_addc_u32 s5, s5, 0
	s_add_i32 s10, s10, 64
	s_add_i32 s12, s4, -7
	v_cmp_eq_u32_e32 vcc, 12, v84
	s_waitcnt lgkmcnt(0)
	v_fmac_f64_e32 v[82:83], v[96:97], v[92:93]
	v_mov_b32_e32 v84, s12
	s_or_b64 s[8:9], vcc, s[8:9]
	v_fmac_f64_e32 v[82:83], v[88:89], v[94:95]
	s_andn2_b64 exec, exec, s[8:9]
	s_cbranch_execnz .LBB11_89
; %bb.90:
	s_or_b64 exec, exec, s[8:9]
.LBB11_91:
	s_or_b64 exec, exec, s[2:3]
	v_and_b32_e32 v50, 7, v85
	v_cmp_ne_u32_e32 vcc, 0, v50
	s_and_saveexec_b64 s[8:9], vcc
	s_cbranch_execz .LBB11_95
; %bb.92:
	v_mov_b32_e32 v51, 0x60
	v_lshl_add_u32 v51, v84, 3, v51
	v_mov_b32_e32 v85, 0
	s_mov_b64 s[10:11], 0
.LBB11_93:                              ; =>This Inner Loop Header: Depth=1
	v_cmp_eq_u32_e32 vcc, 1, v84
	v_add_u32_e32 v50, -1, v50
	v_cmp_eq_u32_e64 s[2:3], 2, v84
	v_cndmask_b32_e32 v54, v27, v29, vcc
	v_cndmask_b32_e32 v55, v26, v28, vcc
	v_cndmask_b32_e64 v54, v54, v31, s[2:3]
	v_cmp_eq_u32_e32 vcc, 0, v50
	v_cmp_eq_u32_e64 s[4:5], 3, v84
	v_cndmask_b32_e64 v55, v55, v30, s[2:3]
	s_or_b64 s[10:11], vcc, s[10:11]
	v_cndmask_b32_e64 v54, v54, v33, s[4:5]
	v_cmp_eq_u32_e32 vcc, 4, v84
	v_cndmask_b32_e64 v55, v55, v32, s[4:5]
	v_cmp_eq_u32_e64 s[2:3], 5, v84
	v_cndmask_b32_e32 v54, v54, v35, vcc
	v_cndmask_b32_e32 v55, v55, v34, vcc
	v_cndmask_b32_e64 v54, v54, v37, s[2:3]
	v_cmp_eq_u32_e32 vcc, 6, v84
	v_cndmask_b32_e64 v55, v55, v36, s[2:3]
	v_cmp_eq_u32_e64 s[2:3], 7, v84
	v_cndmask_b32_e32 v54, v54, v39, vcc
	v_cndmask_b32_e32 v55, v55, v38, vcc
	v_cndmask_b32_e64 v54, v54, v41, s[2:3]
	v_cmp_eq_u32_e32 vcc, 8, v84
	ds_read_b64 v[52:53], v51
	v_cndmask_b32_e64 v55, v55, v40, s[2:3]
	v_cndmask_b32_e32 v54, v54, v43, vcc
	v_cmp_eq_u32_e64 s[2:3], 9, v84
	v_cndmask_b32_e32 v55, v55, v42, vcc
	v_cmp_eq_u32_e32 vcc, 10, v84
	v_cndmask_b32_e64 v54, v54, v45, s[2:3]
	v_cmp_eq_u32_e64 s[4:5], 11, v84
	v_cndmask_b32_e32 v54, v54, v47, vcc
	v_cndmask_b32_e64 v56, v55, v44, s[2:3]
	v_cndmask_b32_e64 v55, v54, v49, s[4:5]
	v_cndmask_b32_e32 v54, v56, v46, vcc
	v_cndmask_b32_e64 v54, v54, v48, s[4:5]
	v_add_u32_e32 v51, 8, v51
	v_lshl_add_u64 v[84:85], v[84:85], 0, 1
	s_waitcnt lgkmcnt(0)
	v_fmac_f64_e32 v[82:83], v[54:55], v[52:53]
	s_andn2_b64 exec, exec, s[10:11]
	s_cbranch_execnz .LBB11_93
; %bb.94:
	s_or_b64 exec, exec, s[10:11]
.LBB11_95:
	s_or_b64 exec, exec, s[8:9]
.LBB11_96:
	s_or_b64 exec, exec, s[6:7]
	v_mov_b32_e32 v34, 0
	ds_read_b64 v[34:35], v34 offset:32
	s_waitcnt lgkmcnt(0)
	v_mul_f64 v[34:35], v[82:83], v[34:35]
.LBB11_97:
	s_or_b64 exec, exec, s[24:25]
	v_cmp_lt_u32_e64 s[2:3], 3, v0
	ds_write_b64 v87, v[32:33]
	s_waitcnt lgkmcnt(0)
	; wave barrier
	s_and_saveexec_b64 s[24:25], s[2:3]
	s_cbranch_execz .LBB11_113
; %bb.98:
	s_andn2_b64 vcc, exec, s[26:27]
	s_cbranch_vccnz .LBB11_100
; %bb.99:
	v_cmp_eq_u32_e32 vcc, 1, v0
	v_cmp_eq_u32_e64 s[4:5], 2, v0
	v_cmp_eq_u32_e64 s[6:7], 3, v0
	v_cndmask_b32_e32 v82, v27, v29, vcc
	v_cndmask_b32_e64 v82, v82, v31, s[4:5]
	v_cndmask_b32_e64 v82, v82, v33, s[6:7]
	v_cmp_eq_u32_e64 s[8:9], 4, v0
	v_cmp_eq_u32_e64 s[10:11], 5, v0
	;; [unrolled: 1-line block ×3, first 2 shown]
	v_cndmask_b32_e64 v82, v82, v35, s[8:9]
	v_cndmask_b32_e64 v82, v82, v37, s[10:11]
	;; [unrolled: 1-line block ×3, first 2 shown]
	v_cmp_eq_u32_e64 s[14:15], 7, v0
	v_cmp_eq_u32_e64 s[16:17], 8, v0
	;; [unrolled: 1-line block ×3, first 2 shown]
	v_cndmask_b32_e64 v82, v82, v41, s[14:15]
	v_cndmask_b32_e64 v82, v82, v43, s[16:17]
	;; [unrolled: 1-line block ×3, first 2 shown]
	v_cmp_eq_u32_e64 s[20:21], 10, v0
	v_cmp_eq_u32_e64 s[22:23], 11, v0
	ds_read_b64 v[84:85], v87
	v_cndmask_b32_e64 v82, v82, v47, s[20:21]
	v_cndmask_b32_e64 v83, v82, v49, s[22:23]
	v_cndmask_b32_e32 v82, v26, v28, vcc
	v_cndmask_b32_e64 v82, v82, v30, s[4:5]
	v_cndmask_b32_e64 v82, v82, v32, s[6:7]
	;; [unrolled: 1-line block ×10, first 2 shown]
	s_waitcnt lgkmcnt(0)
	v_mul_f64 v[82:83], v[82:83], v[84:85]
	s_cbranch_execz .LBB11_101
	s_branch .LBB11_102
.LBB11_100:
                                        ; implicit-def: $vgpr82_vgpr83
.LBB11_101:
	ds_read_b64 v[82:83], v87
.LBB11_102:
	s_and_saveexec_b64 s[6:7], s[0:1]
	s_cbranch_execz .LBB11_112
; %bb.103:
	v_add_u32_e32 v84, -5, v0
	v_add_u32_e32 v85, -4, v0
	v_cmp_lt_u32_e32 vcc, 6, v84
	v_mov_b32_e32 v84, 4
	s_and_saveexec_b64 s[0:1], vcc
	s_cbranch_execz .LBB11_107
; %bb.104:
	v_and_b32_e32 v84, -8, v85
	v_sub_u32_e32 v86, 0, v84
	s_mov_b64 s[4:5], 5
	s_movk_i32 s10, 0x80
	s_mov_b64 s[8:9], 0
.LBB11_105:                             ; =>This Inner Loop Header: Depth=1
	s_lshl_b32 s11, s4, 1
	s_add_i32 s12, s11, -1
	s_add_i32 s13, s11, -2
	s_set_gpr_idx_on s12, gpr_idx(SRC0)
	v_mov_b32_e32 v105, v26
	s_set_gpr_idx_off
	v_mov_b32_e32 v84, s10
	s_set_gpr_idx_on s13, gpr_idx(SRC0)
	v_mov_b32_e32 v104, v26
	s_set_gpr_idx_off
	ds_read_b128 v[88:91], v84
	ds_read_b128 v[92:95], v84 offset:16
	ds_read_b128 v[96:99], v84 offset:32
	;; [unrolled: 1-line block ×3, first 2 shown]
	s_set_gpr_idx_on s11, gpr_idx(SRC0)
	v_mov_b32_e32 v107, v27
	s_add_i32 s14, s11, 3
	v_mov_b32_e32 v106, v26
	s_set_gpr_idx_off
	s_add_i32 s15, s11, 2
	s_set_gpr_idx_on s14, gpr_idx(SRC0)
	v_mov_b32_e32 v109, v26
	s_set_gpr_idx_off
	s_add_i32 s16, s11, 5
	s_set_gpr_idx_on s15, gpr_idx(SRC0)
	v_mov_b32_e32 v108, v26
	s_set_gpr_idx_off
	s_add_i32 s17, s11, 4
	s_waitcnt lgkmcnt(3)
	v_fmac_f64_e32 v[82:83], v[104:105], v[88:89]
	s_set_gpr_idx_on s16, gpr_idx(SRC0)
	v_mov_b32_e32 v89, v26
	s_set_gpr_idx_off
	s_add_i32 s18, s11, 7
	v_fmac_f64_e32 v[82:83], v[106:107], v[90:91]
	s_set_gpr_idx_on s17, gpr_idx(SRC0)
	v_mov_b32_e32 v88, v26
	s_set_gpr_idx_off
	s_add_i32 s19, s11, 6
	s_waitcnt lgkmcnt(2)
	v_fmac_f64_e32 v[82:83], v[108:109], v[92:93]
	s_set_gpr_idx_on s18, gpr_idx(SRC0)
	v_mov_b32_e32 v91, v26
	s_set_gpr_idx_off
	s_add_i32 s20, s11, 9
	v_fmac_f64_e32 v[82:83], v[88:89], v[94:95]
	s_set_gpr_idx_on s19, gpr_idx(SRC0)
	v_mov_b32_e32 v90, v26
	s_set_gpr_idx_off
	s_add_i32 s21, s11, 8
	s_waitcnt lgkmcnt(1)
	v_fmac_f64_e32 v[82:83], v[90:91], v[96:97]
	s_set_gpr_idx_on s20, gpr_idx(SRC0)
	v_mov_b32_e32 v89, v26
	s_set_gpr_idx_off
	s_add_i32 s22, s11, 11
	s_set_gpr_idx_on s21, gpr_idx(SRC0)
	v_mov_b32_e32 v88, v26
	s_set_gpr_idx_off
	s_add_i32 s23, s11, 10
	s_add_i32 s28, s11, 13
	s_add_i32 s29, s11, 12
	v_fmac_f64_e32 v[82:83], v[88:89], v[98:99]
	s_set_gpr_idx_on s22, gpr_idx(SRC0)
	v_mov_b32_e32 v89, v26
	s_set_gpr_idx_off
	s_add_u32 s4, s4, 8
	s_set_gpr_idx_on s23, gpr_idx(SRC0)
	v_mov_b32_e32 v88, v26
	s_set_gpr_idx_off
	v_add_u32_e32 v84, s4, v86
	s_waitcnt lgkmcnt(0)
	v_fmac_f64_e32 v[82:83], v[88:89], v[100:101]
	s_set_gpr_idx_on s28, gpr_idx(SRC0)
	v_mov_b32_e32 v89, v26
	s_set_gpr_idx_off
	s_addc_u32 s5, s5, 0
	s_add_i32 s10, s10, 64
	s_add_i32 s12, s4, -1
	v_cmp_eq_u32_e32 vcc, 5, v84
	s_set_gpr_idx_on s29, gpr_idx(SRC0)
	v_mov_b32_e32 v88, v26
	s_set_gpr_idx_off
	v_mov_b32_e32 v84, s12
	s_or_b64 s[8:9], vcc, s[8:9]
	v_fmac_f64_e32 v[82:83], v[88:89], v[102:103]
	s_andn2_b64 exec, exec, s[8:9]
	s_cbranch_execnz .LBB11_105
; %bb.106:
	s_or_b64 exec, exec, s[8:9]
.LBB11_107:
	s_or_b64 exec, exec, s[0:1]
	v_and_b32_e32 v50, 7, v85
	v_cmp_ne_u32_e32 vcc, 0, v50
	s_and_saveexec_b64 s[8:9], vcc
	s_cbranch_execz .LBB11_111
; %bb.108:
	v_mov_b32_e32 v51, 0x60
	v_lshl_add_u32 v51, v84, 3, v51
	v_mov_b32_e32 v85, 0
	s_mov_b64 s[10:11], 0
.LBB11_109:                             ; =>This Inner Loop Header: Depth=1
	v_cmp_eq_u32_e32 vcc, 1, v84
	v_add_u32_e32 v50, -1, v50
	v_cmp_eq_u32_e64 s[0:1], 2, v84
	v_cndmask_b32_e32 v54, v27, v29, vcc
	v_cndmask_b32_e32 v55, v26, v28, vcc
	v_cndmask_b32_e64 v54, v54, v31, s[0:1]
	v_cmp_eq_u32_e32 vcc, 0, v50
	v_cmp_eq_u32_e64 s[4:5], 3, v84
	v_cndmask_b32_e64 v55, v55, v30, s[0:1]
	s_or_b64 s[10:11], vcc, s[10:11]
	v_cndmask_b32_e64 v54, v54, v33, s[4:5]
	v_cmp_eq_u32_e32 vcc, 4, v84
	v_cndmask_b32_e64 v55, v55, v32, s[4:5]
	v_cmp_eq_u32_e64 s[0:1], 5, v84
	v_cndmask_b32_e32 v54, v54, v35, vcc
	v_cndmask_b32_e32 v55, v55, v34, vcc
	v_cndmask_b32_e64 v54, v54, v37, s[0:1]
	v_cmp_eq_u32_e32 vcc, 6, v84
	v_cndmask_b32_e64 v55, v55, v36, s[0:1]
	v_cmp_eq_u32_e64 s[0:1], 7, v84
	v_cndmask_b32_e32 v54, v54, v39, vcc
	v_cndmask_b32_e32 v55, v55, v38, vcc
	v_cndmask_b32_e64 v54, v54, v41, s[0:1]
	v_cmp_eq_u32_e32 vcc, 8, v84
	ds_read_b64 v[52:53], v51
	v_cndmask_b32_e64 v55, v55, v40, s[0:1]
	v_cndmask_b32_e32 v54, v54, v43, vcc
	v_cmp_eq_u32_e64 s[0:1], 9, v84
	v_cndmask_b32_e32 v55, v55, v42, vcc
	v_cmp_eq_u32_e32 vcc, 10, v84
	v_cndmask_b32_e64 v54, v54, v45, s[0:1]
	v_cmp_eq_u32_e64 s[4:5], 11, v84
	v_cndmask_b32_e32 v54, v54, v47, vcc
	v_cndmask_b32_e64 v56, v55, v44, s[0:1]
	v_cndmask_b32_e64 v55, v54, v49, s[4:5]
	v_cndmask_b32_e32 v54, v56, v46, vcc
	v_cndmask_b32_e64 v54, v54, v48, s[4:5]
	v_add_u32_e32 v51, 8, v51
	v_lshl_add_u64 v[84:85], v[84:85], 0, 1
	s_waitcnt lgkmcnt(0)
	v_fmac_f64_e32 v[82:83], v[54:55], v[52:53]
	s_andn2_b64 exec, exec, s[10:11]
	s_cbranch_execnz .LBB11_109
; %bb.110:
	s_or_b64 exec, exec, s[10:11]
.LBB11_111:
	s_or_b64 exec, exec, s[8:9]
.LBB11_112:
	s_or_b64 exec, exec, s[6:7]
	v_mov_b32_e32 v32, 0
	ds_read_b64 v[32:33], v32 offset:24
	s_waitcnt lgkmcnt(0)
	v_mul_f64 v[32:33], v[82:83], v[32:33]
.LBB11_113:
	s_or_b64 exec, exec, s[24:25]
	v_cmp_lt_u32_e64 s[0:1], 2, v0
	ds_write_b64 v87, v[30:31]
	s_waitcnt lgkmcnt(0)
	; wave barrier
	s_and_saveexec_b64 s[24:25], s[0:1]
	s_cbranch_execz .LBB11_129
; %bb.114:
	s_andn2_b64 vcc, exec, s[26:27]
	s_cbranch_vccnz .LBB11_116
; %bb.115:
	v_cmp_eq_u32_e32 vcc, 1, v0
	v_cmp_eq_u32_e64 s[4:5], 2, v0
	v_cmp_eq_u32_e64 s[6:7], 3, v0
	v_cndmask_b32_e32 v82, v27, v29, vcc
	v_cndmask_b32_e64 v82, v82, v31, s[4:5]
	v_cndmask_b32_e64 v82, v82, v33, s[6:7]
	v_cmp_eq_u32_e64 s[8:9], 4, v0
	v_cmp_eq_u32_e64 s[10:11], 5, v0
	v_cmp_eq_u32_e64 s[12:13], 6, v0
	v_cndmask_b32_e64 v82, v82, v35, s[8:9]
	v_cndmask_b32_e64 v82, v82, v37, s[10:11]
	;; [unrolled: 1-line block ×3, first 2 shown]
	v_cmp_eq_u32_e64 s[14:15], 7, v0
	v_cmp_eq_u32_e64 s[16:17], 8, v0
	;; [unrolled: 1-line block ×3, first 2 shown]
	v_cndmask_b32_e64 v82, v82, v41, s[14:15]
	v_cndmask_b32_e64 v82, v82, v43, s[16:17]
	;; [unrolled: 1-line block ×3, first 2 shown]
	v_cmp_eq_u32_e64 s[20:21], 10, v0
	v_cmp_eq_u32_e64 s[22:23], 11, v0
	ds_read_b64 v[84:85], v87
	v_cndmask_b32_e64 v82, v82, v47, s[20:21]
	v_cndmask_b32_e64 v83, v82, v49, s[22:23]
	v_cndmask_b32_e32 v82, v26, v28, vcc
	v_cndmask_b32_e64 v82, v82, v30, s[4:5]
	v_cndmask_b32_e64 v82, v82, v32, s[6:7]
	;; [unrolled: 1-line block ×10, first 2 shown]
	s_waitcnt lgkmcnt(0)
	v_mul_f64 v[82:83], v[82:83], v[84:85]
	s_cbranch_execz .LBB11_117
	s_branch .LBB11_118
.LBB11_116:
                                        ; implicit-def: $vgpr82_vgpr83
.LBB11_117:
	ds_read_b64 v[82:83], v87
.LBB11_118:
	s_and_saveexec_b64 s[6:7], s[2:3]
	s_cbranch_execz .LBB11_128
; %bb.119:
	v_add_u32_e32 v84, -4, v0
	v_add_u32_e32 v85, -3, v0
	v_cmp_lt_u32_e32 vcc, 6, v84
	v_mov_b32_e32 v84, 3
	s_and_saveexec_b64 s[2:3], vcc
	s_cbranch_execz .LBB11_123
; %bb.120:
	v_and_b32_e32 v84, -8, v85
	v_sub_u32_e32 v86, 0, v84
	s_mov_b64 s[4:5], 10
	s_movk_i32 s10, 0x78
	s_mov_b64 s[8:9], 0
.LBB11_121:                             ; =>This Inner Loop Header: Depth=1
	s_lshl_b32 s11, s4, 1
	s_add_i32 s12, s11, -13
	v_mov_b32_e32 v102, s10
	s_add_i32 s13, s11, -14
	s_set_gpr_idx_on s12, gpr_idx(SRC0)
	v_mov_b32_e32 v97, v26
	s_set_gpr_idx_off
	s_add_i32 s14, s11, -11
	s_set_gpr_idx_on s13, gpr_idx(SRC0)
	v_mov_b32_e32 v96, v26
	s_set_gpr_idx_off
	ds_read2_b64 v[88:91], v102 offset1:1
	s_add_i32 s15, s11, -12
	s_set_gpr_idx_on s14, gpr_idx(SRC0)
	v_mov_b32_e32 v99, v26
	s_set_gpr_idx_off
	s_add_i32 s16, s11, -9
	s_set_gpr_idx_on s15, gpr_idx(SRC0)
	v_mov_b32_e32 v98, v26
	s_set_gpr_idx_off
	;; [unrolled: 4-line block ×4, first 2 shown]
	ds_read2_b64 v[92:95], v102 offset0:2 offset1:3
	s_add_i32 s19, s11, -8
	s_waitcnt lgkmcnt(1)
	v_fmac_f64_e32 v[82:83], v[96:97], v[88:89]
	s_set_gpr_idx_on s18, gpr_idx(SRC0)
	v_mov_b32_e32 v97, v26
	s_set_gpr_idx_off
	s_add_i32 s20, s11, -5
	v_fmac_f64_e32 v[82:83], v[98:99], v[90:91]
	s_set_gpr_idx_on s19, gpr_idx(SRC0)
	v_mov_b32_e32 v96, v26
	s_set_gpr_idx_off
	s_add_i32 s21, s11, -6
	s_set_gpr_idx_on s20, gpr_idx(SRC0)
	v_mov_b32_e32 v99, v26
	s_set_gpr_idx_off
	s_add_i32 s22, s11, -3
	;; [unrolled: 4-line block ×3, first 2 shown]
	ds_read2_b64 v[88:91], v102 offset0:4 offset1:5
	s_waitcnt lgkmcnt(1)
	v_fmac_f64_e32 v[82:83], v[100:101], v[92:93]
	s_set_gpr_idx_on s22, gpr_idx(SRC0)
	v_mov_b32_e32 v101, v26
	s_set_gpr_idx_off
	s_add_i32 s28, s11, -1
	v_fmac_f64_e32 v[82:83], v[96:97], v[94:95]
	s_set_gpr_idx_on s23, gpr_idx(SRC0)
	v_mov_b32_e32 v100, v26
	s_set_gpr_idx_off
	s_add_i32 s29, s11, -2
	s_set_gpr_idx_on s28, gpr_idx(SRC0)
	v_mov_b32_e32 v97, v26
	s_set_gpr_idx_off
	s_set_gpr_idx_on s29, gpr_idx(SRC0)
	v_mov_b32_e32 v96, v26
	s_set_gpr_idx_off
	ds_read2_b64 v[92:95], v102 offset0:6 offset1:7
	s_add_u32 s4, s4, 8
	s_waitcnt lgkmcnt(1)
	v_fmac_f64_e32 v[82:83], v[98:99], v[88:89]
	s_set_gpr_idx_on s11, gpr_idx(SRC0)
	v_mov_b32_e32 v89, v27
	s_set_gpr_idx_off
	v_add_u32_e32 v84, s4, v86
	v_fmac_f64_e32 v[82:83], v[100:101], v[90:91]
	s_set_gpr_idx_on s11, gpr_idx(SRC0)
	v_mov_b32_e32 v88, v26
	s_set_gpr_idx_off
	s_addc_u32 s5, s5, 0
	s_add_i32 s10, s10, 64
	s_add_i32 s12, s4, -7
	v_cmp_eq_u32_e32 vcc, 10, v84
	s_waitcnt lgkmcnt(0)
	v_fmac_f64_e32 v[82:83], v[96:97], v[92:93]
	v_mov_b32_e32 v84, s12
	s_or_b64 s[8:9], vcc, s[8:9]
	v_fmac_f64_e32 v[82:83], v[88:89], v[94:95]
	s_andn2_b64 exec, exec, s[8:9]
	s_cbranch_execnz .LBB11_121
; %bb.122:
	s_or_b64 exec, exec, s[8:9]
.LBB11_123:
	s_or_b64 exec, exec, s[2:3]
	v_and_b32_e32 v50, 7, v85
	v_cmp_ne_u32_e32 vcc, 0, v50
	s_and_saveexec_b64 s[8:9], vcc
	s_cbranch_execz .LBB11_127
; %bb.124:
	v_mov_b32_e32 v51, 0x60
	v_lshl_add_u32 v51, v84, 3, v51
	v_mov_b32_e32 v85, 0
	s_mov_b64 s[10:11], 0
.LBB11_125:                             ; =>This Inner Loop Header: Depth=1
	v_cmp_eq_u32_e32 vcc, 1, v84
	v_add_u32_e32 v50, -1, v50
	v_cmp_eq_u32_e64 s[2:3], 2, v84
	v_cndmask_b32_e32 v54, v27, v29, vcc
	v_cndmask_b32_e32 v55, v26, v28, vcc
	v_cndmask_b32_e64 v54, v54, v31, s[2:3]
	v_cmp_eq_u32_e32 vcc, 0, v50
	v_cmp_eq_u32_e64 s[4:5], 3, v84
	v_cndmask_b32_e64 v55, v55, v30, s[2:3]
	s_or_b64 s[10:11], vcc, s[10:11]
	v_cndmask_b32_e64 v54, v54, v33, s[4:5]
	v_cmp_eq_u32_e32 vcc, 4, v84
	v_cndmask_b32_e64 v55, v55, v32, s[4:5]
	v_cmp_eq_u32_e64 s[2:3], 5, v84
	v_cndmask_b32_e32 v54, v54, v35, vcc
	v_cndmask_b32_e32 v55, v55, v34, vcc
	v_cndmask_b32_e64 v54, v54, v37, s[2:3]
	v_cmp_eq_u32_e32 vcc, 6, v84
	v_cndmask_b32_e64 v55, v55, v36, s[2:3]
	v_cmp_eq_u32_e64 s[2:3], 7, v84
	v_cndmask_b32_e32 v54, v54, v39, vcc
	v_cndmask_b32_e32 v55, v55, v38, vcc
	v_cndmask_b32_e64 v54, v54, v41, s[2:3]
	v_cmp_eq_u32_e32 vcc, 8, v84
	ds_read_b64 v[52:53], v51
	v_cndmask_b32_e64 v55, v55, v40, s[2:3]
	v_cndmask_b32_e32 v54, v54, v43, vcc
	v_cmp_eq_u32_e64 s[2:3], 9, v84
	v_cndmask_b32_e32 v55, v55, v42, vcc
	v_cmp_eq_u32_e32 vcc, 10, v84
	v_cndmask_b32_e64 v54, v54, v45, s[2:3]
	v_cmp_eq_u32_e64 s[4:5], 11, v84
	v_cndmask_b32_e32 v54, v54, v47, vcc
	v_cndmask_b32_e64 v56, v55, v44, s[2:3]
	v_cndmask_b32_e64 v55, v54, v49, s[4:5]
	v_cndmask_b32_e32 v54, v56, v46, vcc
	v_cndmask_b32_e64 v54, v54, v48, s[4:5]
	v_add_u32_e32 v51, 8, v51
	v_lshl_add_u64 v[84:85], v[84:85], 0, 1
	s_waitcnt lgkmcnt(0)
	v_fmac_f64_e32 v[82:83], v[54:55], v[52:53]
	s_andn2_b64 exec, exec, s[10:11]
	s_cbranch_execnz .LBB11_125
; %bb.126:
	s_or_b64 exec, exec, s[10:11]
.LBB11_127:
	s_or_b64 exec, exec, s[8:9]
.LBB11_128:
	s_or_b64 exec, exec, s[6:7]
	v_mov_b32_e32 v30, 0
	ds_read_b64 v[30:31], v30 offset:16
	s_waitcnt lgkmcnt(0)
	v_mul_f64 v[30:31], v[82:83], v[30:31]
.LBB11_129:
	s_or_b64 exec, exec, s[24:25]
	v_cmp_lt_u32_e64 s[2:3], 1, v0
	ds_write_b64 v87, v[28:29]
	s_waitcnt lgkmcnt(0)
	; wave barrier
	s_and_saveexec_b64 s[24:25], s[2:3]
	s_cbranch_execz .LBB11_145
; %bb.130:
	s_andn2_b64 vcc, exec, s[26:27]
	s_cbranch_vccnz .LBB11_132
; %bb.131:
	v_cmp_eq_u32_e32 vcc, 1, v0
	v_cmp_eq_u32_e64 s[4:5], 2, v0
	v_cmp_eq_u32_e64 s[6:7], 3, v0
	v_cndmask_b32_e32 v82, v27, v29, vcc
	v_cndmask_b32_e64 v82, v82, v31, s[4:5]
	v_cndmask_b32_e64 v82, v82, v33, s[6:7]
	v_cmp_eq_u32_e64 s[8:9], 4, v0
	v_cmp_eq_u32_e64 s[10:11], 5, v0
	;; [unrolled: 1-line block ×3, first 2 shown]
	v_cndmask_b32_e64 v82, v82, v35, s[8:9]
	v_cndmask_b32_e64 v82, v82, v37, s[10:11]
	;; [unrolled: 1-line block ×3, first 2 shown]
	v_cmp_eq_u32_e64 s[14:15], 7, v0
	v_cmp_eq_u32_e64 s[16:17], 8, v0
	;; [unrolled: 1-line block ×3, first 2 shown]
	v_cndmask_b32_e64 v82, v82, v41, s[14:15]
	v_cndmask_b32_e64 v82, v82, v43, s[16:17]
	;; [unrolled: 1-line block ×3, first 2 shown]
	v_cmp_eq_u32_e64 s[20:21], 10, v0
	v_cmp_eq_u32_e64 s[22:23], 11, v0
	ds_read_b64 v[84:85], v87
	v_cndmask_b32_e64 v82, v82, v47, s[20:21]
	v_cndmask_b32_e64 v83, v82, v49, s[22:23]
	v_cndmask_b32_e32 v82, v26, v28, vcc
	v_cndmask_b32_e64 v82, v82, v30, s[4:5]
	v_cndmask_b32_e64 v82, v82, v32, s[6:7]
	;; [unrolled: 1-line block ×10, first 2 shown]
	s_waitcnt lgkmcnt(0)
	v_mul_f64 v[82:83], v[82:83], v[84:85]
	s_cbranch_execz .LBB11_133
	s_branch .LBB11_134
.LBB11_132:
                                        ; implicit-def: $vgpr82_vgpr83
.LBB11_133:
	ds_read_b64 v[82:83], v87
.LBB11_134:
	s_and_saveexec_b64 s[6:7], s[0:1]
	s_cbranch_execz .LBB11_144
; %bb.135:
	v_add_u32_e32 v84, -3, v0
	v_add_u32_e32 v85, -2, v0
	v_cmp_lt_u32_e32 vcc, 6, v84
	v_mov_b32_e32 v84, 2
	s_and_saveexec_b64 s[0:1], vcc
	s_cbranch_execz .LBB11_139
; %bb.136:
	v_and_b32_e32 v84, -8, v85
	v_sub_u32_e32 v86, 0, v84
	s_mov_b64 s[4:5], 9
	s_movk_i32 s10, 0x70
	s_mov_b64 s[8:9], 0
.LBB11_137:                             ; =>This Inner Loop Header: Depth=1
	s_lshl_b32 s11, s4, 1
	s_add_i32 s12, s11, -13
	s_add_i32 s13, s11, -14
	s_set_gpr_idx_on s12, gpr_idx(SRC0)
	v_mov_b32_e32 v105, v26
	s_set_gpr_idx_off
	v_mov_b32_e32 v84, s10
	s_add_i32 s14, s11, -11
	s_set_gpr_idx_on s13, gpr_idx(SRC0)
	v_mov_b32_e32 v104, v26
	s_set_gpr_idx_off
	s_add_i32 s15, s11, -12
	ds_read_b128 v[88:91], v84
	ds_read_b128 v[92:95], v84 offset:16
	ds_read_b128 v[96:99], v84 offset:32
	ds_read_b128 v[100:103], v84 offset:48
	s_set_gpr_idx_on s14, gpr_idx(SRC0)
	v_mov_b32_e32 v107, v26
	s_set_gpr_idx_off
	s_add_i32 s16, s11, -9
	s_set_gpr_idx_on s15, gpr_idx(SRC0)
	v_mov_b32_e32 v106, v26
	s_set_gpr_idx_off
	s_add_i32 s17, s11, -10
	;; [unrolled: 4-line block ×4, first 2 shown]
	s_waitcnt lgkmcnt(3)
	v_fmac_f64_e32 v[82:83], v[104:105], v[88:89]
	s_set_gpr_idx_on s18, gpr_idx(SRC0)
	v_mov_b32_e32 v89, v26
	s_set_gpr_idx_off
	s_add_i32 s20, s11, -5
	v_fmac_f64_e32 v[82:83], v[106:107], v[90:91]
	s_set_gpr_idx_on s19, gpr_idx(SRC0)
	v_mov_b32_e32 v88, v26
	s_set_gpr_idx_off
	s_add_i32 s21, s11, -6
	s_waitcnt lgkmcnt(2)
	v_fmac_f64_e32 v[82:83], v[108:109], v[92:93]
	s_set_gpr_idx_on s20, gpr_idx(SRC0)
	v_mov_b32_e32 v91, v26
	s_set_gpr_idx_off
	s_add_i32 s22, s11, -3
	v_fmac_f64_e32 v[82:83], v[88:89], v[94:95]
	s_set_gpr_idx_on s21, gpr_idx(SRC0)
	v_mov_b32_e32 v90, v26
	s_set_gpr_idx_off
	s_add_i32 s23, s11, -4
	s_waitcnt lgkmcnt(1)
	v_fmac_f64_e32 v[82:83], v[90:91], v[96:97]
	s_set_gpr_idx_on s22, gpr_idx(SRC0)
	v_mov_b32_e32 v89, v26
	s_set_gpr_idx_off
	s_add_i32 s28, s11, -1
	s_set_gpr_idx_on s23, gpr_idx(SRC0)
	v_mov_b32_e32 v88, v26
	s_set_gpr_idx_off
	s_add_i32 s29, s11, -2
	v_fmac_f64_e32 v[82:83], v[88:89], v[98:99]
	s_set_gpr_idx_on s28, gpr_idx(SRC0)
	v_mov_b32_e32 v89, v26
	s_set_gpr_idx_off
	s_add_u32 s4, s4, 8
	s_set_gpr_idx_on s29, gpr_idx(SRC0)
	v_mov_b32_e32 v88, v26
	s_set_gpr_idx_off
	v_add_u32_e32 v84, s4, v86
	s_waitcnt lgkmcnt(0)
	v_fmac_f64_e32 v[82:83], v[88:89], v[100:101]
	s_set_gpr_idx_on s11, gpr_idx(SRC0)
	v_mov_b32_e32 v89, v27
	s_set_gpr_idx_off
	s_addc_u32 s5, s5, 0
	s_add_i32 s10, s10, 64
	s_add_i32 s12, s4, -7
	v_cmp_eq_u32_e32 vcc, 9, v84
	s_set_gpr_idx_on s11, gpr_idx(SRC0)
	v_mov_b32_e32 v88, v26
	s_set_gpr_idx_off
	v_mov_b32_e32 v84, s12
	s_or_b64 s[8:9], vcc, s[8:9]
	v_fmac_f64_e32 v[82:83], v[88:89], v[102:103]
	s_andn2_b64 exec, exec, s[8:9]
	s_cbranch_execnz .LBB11_137
; %bb.138:
	s_or_b64 exec, exec, s[8:9]
.LBB11_139:
	s_or_b64 exec, exec, s[0:1]
	v_and_b32_e32 v50, 7, v85
	v_cmp_ne_u32_e32 vcc, 0, v50
	s_and_saveexec_b64 s[8:9], vcc
	s_cbranch_execz .LBB11_143
; %bb.140:
	v_mov_b32_e32 v51, 0x60
	v_lshl_add_u32 v51, v84, 3, v51
	v_mov_b32_e32 v85, 0
	s_mov_b64 s[10:11], 0
.LBB11_141:                             ; =>This Inner Loop Header: Depth=1
	v_cmp_eq_u32_e32 vcc, 1, v84
	v_add_u32_e32 v50, -1, v50
	v_cmp_eq_u32_e64 s[0:1], 2, v84
	v_cndmask_b32_e32 v54, v27, v29, vcc
	v_cndmask_b32_e32 v55, v26, v28, vcc
	v_cndmask_b32_e64 v54, v54, v31, s[0:1]
	v_cmp_eq_u32_e32 vcc, 0, v50
	v_cmp_eq_u32_e64 s[4:5], 3, v84
	v_cndmask_b32_e64 v55, v55, v30, s[0:1]
	s_or_b64 s[10:11], vcc, s[10:11]
	v_cndmask_b32_e64 v54, v54, v33, s[4:5]
	v_cmp_eq_u32_e32 vcc, 4, v84
	v_cndmask_b32_e64 v55, v55, v32, s[4:5]
	v_cmp_eq_u32_e64 s[0:1], 5, v84
	v_cndmask_b32_e32 v54, v54, v35, vcc
	v_cndmask_b32_e32 v55, v55, v34, vcc
	v_cndmask_b32_e64 v54, v54, v37, s[0:1]
	v_cmp_eq_u32_e32 vcc, 6, v84
	v_cndmask_b32_e64 v55, v55, v36, s[0:1]
	v_cmp_eq_u32_e64 s[0:1], 7, v84
	v_cndmask_b32_e32 v54, v54, v39, vcc
	v_cndmask_b32_e32 v55, v55, v38, vcc
	v_cndmask_b32_e64 v54, v54, v41, s[0:1]
	v_cmp_eq_u32_e32 vcc, 8, v84
	ds_read_b64 v[52:53], v51
	v_cndmask_b32_e64 v55, v55, v40, s[0:1]
	v_cndmask_b32_e32 v54, v54, v43, vcc
	v_cmp_eq_u32_e64 s[0:1], 9, v84
	v_cndmask_b32_e32 v55, v55, v42, vcc
	v_cmp_eq_u32_e32 vcc, 10, v84
	v_cndmask_b32_e64 v54, v54, v45, s[0:1]
	v_cmp_eq_u32_e64 s[4:5], 11, v84
	v_cndmask_b32_e32 v54, v54, v47, vcc
	v_cndmask_b32_e64 v56, v55, v44, s[0:1]
	v_cndmask_b32_e64 v55, v54, v49, s[4:5]
	v_cndmask_b32_e32 v54, v56, v46, vcc
	v_cndmask_b32_e64 v54, v54, v48, s[4:5]
	v_add_u32_e32 v51, 8, v51
	v_lshl_add_u64 v[84:85], v[84:85], 0, 1
	s_waitcnt lgkmcnt(0)
	v_fmac_f64_e32 v[82:83], v[54:55], v[52:53]
	s_andn2_b64 exec, exec, s[10:11]
	s_cbranch_execnz .LBB11_141
; %bb.142:
	s_or_b64 exec, exec, s[10:11]
.LBB11_143:
	s_or_b64 exec, exec, s[8:9]
.LBB11_144:
	s_or_b64 exec, exec, s[6:7]
	v_mov_b32_e32 v28, 0
	ds_read_b64 v[28:29], v28 offset:8
	s_waitcnt lgkmcnt(0)
	v_mul_f64 v[28:29], v[82:83], v[28:29]
.LBB11_145:
	s_or_b64 exec, exec, s[24:25]
	v_cmp_ne_u32_e32 vcc, 0, v0
	ds_write_b64 v87, v[26:27]
	s_waitcnt lgkmcnt(0)
	; wave barrier
	s_and_saveexec_b64 s[22:23], vcc
	s_cbranch_execz .LBB11_161
; %bb.146:
	s_andn2_b64 vcc, exec, s[26:27]
	s_cbranch_vccnz .LBB11_148
; %bb.147:
	v_cmp_eq_u32_e32 vcc, 1, v0
	v_cmp_eq_u32_e64 s[0:1], 2, v0
	v_cmp_eq_u32_e64 s[4:5], 3, v0
	v_cndmask_b32_e32 v82, v27, v29, vcc
	v_cndmask_b32_e64 v82, v82, v31, s[0:1]
	v_cndmask_b32_e64 v82, v82, v33, s[4:5]
	v_cmp_eq_u32_e64 s[6:7], 4, v0
	v_cmp_eq_u32_e64 s[8:9], 5, v0
	;; [unrolled: 1-line block ×3, first 2 shown]
	v_cndmask_b32_e64 v82, v82, v35, s[6:7]
	v_cndmask_b32_e64 v82, v82, v37, s[8:9]
	;; [unrolled: 1-line block ×3, first 2 shown]
	v_cmp_eq_u32_e64 s[12:13], 7, v0
	v_cmp_eq_u32_e64 s[14:15], 8, v0
	;; [unrolled: 1-line block ×3, first 2 shown]
	v_cndmask_b32_e64 v82, v82, v41, s[12:13]
	v_cndmask_b32_e64 v82, v82, v43, s[14:15]
	;; [unrolled: 1-line block ×3, first 2 shown]
	v_cmp_eq_u32_e64 s[18:19], 10, v0
	v_cmp_eq_u32_e64 s[20:21], 11, v0
	ds_read_b64 v[84:85], v87
	v_cndmask_b32_e64 v82, v82, v47, s[18:19]
	v_cndmask_b32_e64 v83, v82, v49, s[20:21]
	v_cndmask_b32_e32 v82, v26, v28, vcc
	v_cndmask_b32_e64 v82, v82, v30, s[0:1]
	v_cndmask_b32_e64 v82, v82, v32, s[4:5]
	;; [unrolled: 1-line block ×10, first 2 shown]
	s_waitcnt lgkmcnt(0)
	v_mul_f64 v[82:83], v[82:83], v[84:85]
	s_cbranch_execz .LBB11_149
	s_branch .LBB11_150
.LBB11_148:
                                        ; implicit-def: $vgpr82_vgpr83
.LBB11_149:
	ds_read_b64 v[82:83], v87
.LBB11_150:
	s_and_saveexec_b64 s[4:5], s[2:3]
	s_cbranch_execz .LBB11_160
; %bb.151:
	v_add_u32_e32 v84, -2, v0
	v_add_u32_e32 v85, -1, v0
	v_cmp_lt_u32_e32 vcc, 6, v84
	v_mov_b32_e32 v84, 1
	s_and_saveexec_b64 s[0:1], vcc
	s_cbranch_execz .LBB11_155
; %bb.152:
	v_and_b32_e32 v84, -8, v85
	v_sub_u32_e32 v86, 0, v84
	s_mov_b64 s[2:3], 8
	s_movk_i32 s8, 0x68
	s_mov_b64 s[6:7], 0
.LBB11_153:                             ; =>This Inner Loop Header: Depth=1
	s_lshl_b32 s9, s2, 1
	s_add_i32 s10, s9, -13
	v_mov_b32_e32 v102, s8
	s_add_i32 s11, s9, -14
	s_set_gpr_idx_on s10, gpr_idx(SRC0)
	v_mov_b32_e32 v97, v26
	s_set_gpr_idx_off
	s_add_i32 s12, s9, -11
	s_set_gpr_idx_on s11, gpr_idx(SRC0)
	v_mov_b32_e32 v96, v26
	s_set_gpr_idx_off
	ds_read2_b64 v[88:91], v102 offset1:1
	s_add_i32 s13, s9, -12
	s_set_gpr_idx_on s12, gpr_idx(SRC0)
	v_mov_b32_e32 v99, v26
	s_set_gpr_idx_off
	s_add_i32 s14, s9, -9
	s_set_gpr_idx_on s13, gpr_idx(SRC0)
	v_mov_b32_e32 v98, v26
	s_set_gpr_idx_off
	;; [unrolled: 4-line block ×4, first 2 shown]
	ds_read2_b64 v[92:95], v102 offset0:2 offset1:3
	s_add_i32 s17, s9, -8
	s_waitcnt lgkmcnt(1)
	v_fmac_f64_e32 v[82:83], v[96:97], v[88:89]
	s_set_gpr_idx_on s16, gpr_idx(SRC0)
	v_mov_b32_e32 v97, v26
	s_set_gpr_idx_off
	s_add_i32 s18, s9, -5
	v_fmac_f64_e32 v[82:83], v[98:99], v[90:91]
	s_set_gpr_idx_on s17, gpr_idx(SRC0)
	v_mov_b32_e32 v96, v26
	s_set_gpr_idx_off
	s_add_i32 s19, s9, -6
	s_set_gpr_idx_on s18, gpr_idx(SRC0)
	v_mov_b32_e32 v99, v26
	s_set_gpr_idx_off
	s_add_i32 s20, s9, -3
	s_set_gpr_idx_on s19, gpr_idx(SRC0)
	v_mov_b32_e32 v98, v26
	s_set_gpr_idx_off
	s_add_i32 s21, s9, -4
	ds_read2_b64 v[88:91], v102 offset0:4 offset1:5
	s_waitcnt lgkmcnt(1)
	v_fmac_f64_e32 v[82:83], v[100:101], v[92:93]
	s_set_gpr_idx_on s20, gpr_idx(SRC0)
	v_mov_b32_e32 v101, v26
	s_set_gpr_idx_off
	s_add_i32 s24, s9, -1
	v_fmac_f64_e32 v[82:83], v[96:97], v[94:95]
	s_set_gpr_idx_on s21, gpr_idx(SRC0)
	v_mov_b32_e32 v100, v26
	s_set_gpr_idx_off
	s_add_i32 s25, s9, -2
	s_set_gpr_idx_on s24, gpr_idx(SRC0)
	v_mov_b32_e32 v97, v26
	s_set_gpr_idx_off
	s_set_gpr_idx_on s25, gpr_idx(SRC0)
	v_mov_b32_e32 v96, v26
	s_set_gpr_idx_off
	ds_read2_b64 v[92:95], v102 offset0:6 offset1:7
	s_add_u32 s2, s2, 8
	s_waitcnt lgkmcnt(1)
	v_fmac_f64_e32 v[82:83], v[98:99], v[88:89]
	s_set_gpr_idx_on s9, gpr_idx(SRC0)
	v_mov_b32_e32 v89, v27
	s_set_gpr_idx_off
	v_add_u32_e32 v84, s2, v86
	v_fmac_f64_e32 v[82:83], v[100:101], v[90:91]
	s_set_gpr_idx_on s9, gpr_idx(SRC0)
	v_mov_b32_e32 v88, v26
	s_set_gpr_idx_off
	s_addc_u32 s3, s3, 0
	s_add_i32 s8, s8, 64
	s_add_i32 s10, s2, -7
	v_cmp_eq_u32_e32 vcc, 8, v84
	s_waitcnt lgkmcnt(0)
	v_fmac_f64_e32 v[82:83], v[96:97], v[92:93]
	v_mov_b32_e32 v84, s10
	s_or_b64 s[6:7], vcc, s[6:7]
	v_fmac_f64_e32 v[82:83], v[88:89], v[94:95]
	s_andn2_b64 exec, exec, s[6:7]
	s_cbranch_execnz .LBB11_153
; %bb.154:
	s_or_b64 exec, exec, s[6:7]
.LBB11_155:
	s_or_b64 exec, exec, s[0:1]
	v_and_b32_e32 v50, 7, v85
	v_cmp_ne_u32_e32 vcc, 0, v50
	s_and_saveexec_b64 s[6:7], vcc
	s_cbranch_execz .LBB11_159
; %bb.156:
	v_mov_b32_e32 v51, 0x60
	v_lshl_add_u32 v51, v84, 3, v51
	v_mov_b32_e32 v85, 0
	s_mov_b64 s[8:9], 0
.LBB11_157:                             ; =>This Inner Loop Header: Depth=1
	v_cmp_eq_u32_e32 vcc, 1, v84
	v_add_u32_e32 v50, -1, v50
	v_cmp_eq_u32_e64 s[0:1], 2, v84
	v_cndmask_b32_e32 v54, v27, v29, vcc
	v_cndmask_b32_e32 v55, v26, v28, vcc
	v_cndmask_b32_e64 v54, v54, v31, s[0:1]
	v_cmp_eq_u32_e32 vcc, 0, v50
	v_cmp_eq_u32_e64 s[2:3], 3, v84
	v_cndmask_b32_e64 v55, v55, v30, s[0:1]
	s_or_b64 s[8:9], vcc, s[8:9]
	v_cndmask_b32_e64 v54, v54, v33, s[2:3]
	v_cmp_eq_u32_e32 vcc, 4, v84
	v_cndmask_b32_e64 v55, v55, v32, s[2:3]
	v_cmp_eq_u32_e64 s[0:1], 5, v84
	v_cndmask_b32_e32 v54, v54, v35, vcc
	v_cndmask_b32_e32 v55, v55, v34, vcc
	v_cndmask_b32_e64 v54, v54, v37, s[0:1]
	v_cmp_eq_u32_e32 vcc, 6, v84
	v_cndmask_b32_e64 v55, v55, v36, s[0:1]
	v_cmp_eq_u32_e64 s[0:1], 7, v84
	v_cndmask_b32_e32 v54, v54, v39, vcc
	v_cndmask_b32_e32 v55, v55, v38, vcc
	v_cndmask_b32_e64 v54, v54, v41, s[0:1]
	v_cmp_eq_u32_e32 vcc, 8, v84
	ds_read_b64 v[52:53], v51
	v_cndmask_b32_e64 v55, v55, v40, s[0:1]
	v_cndmask_b32_e32 v54, v54, v43, vcc
	v_cmp_eq_u32_e64 s[0:1], 9, v84
	v_cndmask_b32_e32 v55, v55, v42, vcc
	v_cmp_eq_u32_e32 vcc, 10, v84
	v_cndmask_b32_e64 v54, v54, v45, s[0:1]
	v_cmp_eq_u32_e64 s[2:3], 11, v84
	v_cndmask_b32_e32 v54, v54, v47, vcc
	v_cndmask_b32_e64 v56, v55, v44, s[0:1]
	v_cndmask_b32_e64 v55, v54, v49, s[2:3]
	v_cndmask_b32_e32 v54, v56, v46, vcc
	v_cndmask_b32_e64 v54, v54, v48, s[2:3]
	v_add_u32_e32 v51, 8, v51
	v_lshl_add_u64 v[84:85], v[84:85], 0, 1
	s_waitcnt lgkmcnt(0)
	v_fmac_f64_e32 v[82:83], v[54:55], v[52:53]
	s_andn2_b64 exec, exec, s[8:9]
	s_cbranch_execnz .LBB11_157
; %bb.158:
	s_or_b64 exec, exec, s[8:9]
.LBB11_159:
	s_or_b64 exec, exec, s[6:7]
.LBB11_160:
	s_or_b64 exec, exec, s[4:5]
	v_mov_b32_e32 v26, 0
	ds_read_b64 v[26:27], v26
	s_waitcnt lgkmcnt(0)
	v_mul_f64 v[26:27], v[82:83], v[26:27]
.LBB11_161:
	s_or_b64 exec, exec, s[22:23]
	s_branch .LBB11_275
.LBB11_162:
	v_cmp_eq_u32_e64 s[2:3], 0, v0
	s_waitcnt vmcnt(11)
	ds_write_b64 v87, v[4:5]
	s_waitcnt lgkmcnt(0)
	; wave barrier
	s_and_saveexec_b64 s[22:23], s[2:3]
	s_cbranch_execz .LBB11_168
; %bb.163:
	s_and_b64 vcc, exec, s[26:27]
	s_cbranch_vccz .LBB11_165
; %bb.164:
	v_cmp_eq_u32_e32 vcc, 1, v0
	v_cmp_eq_u32_e64 s[0:1], 2, v0
	v_cmp_eq_u32_e64 s[4:5], 3, v0
	s_waitcnt vmcnt(3)
	v_cndmask_b32_e32 v5, v3, v5, vcc
	v_cndmask_b32_e32 v4, v2, v4, vcc
	v_cndmask_b32_e64 v5, v5, v7, s[0:1]
	v_cndmask_b32_e64 v4, v4, v6, s[0:1]
	;; [unrolled: 1-line block ×3, first 2 shown]
	v_cmp_eq_u32_e64 s[6:7], 4, v0
	v_cndmask_b32_e64 v4, v4, v8, s[4:5]
	v_cmp_eq_u32_e64 s[8:9], 5, v0
	v_cndmask_b32_e64 v5, v5, v11, s[6:7]
	v_cndmask_b32_e64 v4, v4, v10, s[6:7]
	v_cndmask_b32_e64 v5, v5, v13, s[8:9]
	v_cmp_eq_u32_e64 s[10:11], 6, v0
	v_cndmask_b32_e64 v4, v4, v12, s[8:9]
	v_cmp_eq_u32_e64 s[12:13], 7, v0
	v_cndmask_b32_e64 v5, v5, v15, s[10:11]
	v_cndmask_b32_e64 v4, v4, v14, s[10:11]
	;; [unrolled: 1-line block ×3, first 2 shown]
	v_cmp_eq_u32_e64 s[14:15], 8, v0
	v_cndmask_b32_e64 v4, v4, v16, s[12:13]
	ds_read_b64 v[26:27], v87
	v_cndmask_b32_e64 v5, v5, v19, s[14:15]
	v_cmp_eq_u32_e64 s[16:17], 9, v0
	v_cndmask_b32_e64 v4, v4, v18, s[14:15]
	v_cmp_eq_u32_e64 s[18:19], 10, v0
	s_waitcnt vmcnt(2)
	v_cndmask_b32_e64 v5, v5, v21, s[16:17]
	v_cndmask_b32_e64 v4, v4, v20, s[16:17]
	s_waitcnt vmcnt(1)
	v_cndmask_b32_e64 v5, v5, v23, s[18:19]
	v_cmp_eq_u32_e64 s[20:21], 11, v0
	v_cndmask_b32_e64 v4, v4, v22, s[18:19]
	s_waitcnt vmcnt(0)
	v_cndmask_b32_e64 v5, v5, v25, s[20:21]
	v_cndmask_b32_e64 v4, v4, v24, s[20:21]
	s_waitcnt lgkmcnt(0)
	v_mul_f64 v[4:5], v[4:5], v[26:27]
	s_cbranch_execz .LBB11_166
	s_branch .LBB11_167
.LBB11_165:
                                        ; implicit-def: $vgpr4_vgpr5
.LBB11_166:
	ds_read_b64 v[4:5], v87
.LBB11_167:
	v_mov_b32_e32 v26, 0
	ds_read_b64 v[26:27], v26 offset:8
	s_waitcnt lgkmcnt(0)
	v_mul_f64 v[4:5], v[4:5], v[26:27]
.LBB11_168:
	s_or_b64 exec, exec, s[22:23]
	v_cndmask_b32_e64 v26, 0, 1, s[26:27]
	v_cmp_gt_u32_e32 vcc, 2, v0
	v_cmp_ne_u32_e64 s[0:1], 1, v26
	s_waitcnt vmcnt(10)
	ds_write_b64 v87, v[6:7]
	s_waitcnt lgkmcnt(0)
	; wave barrier
	s_and_saveexec_b64 s[24:25], vcc
	s_cbranch_execz .LBB11_174
; %bb.169:
	s_and_b64 vcc, exec, s[0:1]
	s_cbranch_vccnz .LBB11_171
; %bb.170:
	v_cmp_eq_u32_e32 vcc, 1, v0
	v_cmp_eq_u32_e64 s[4:5], 2, v0
	v_cmp_eq_u32_e64 s[6:7], 3, v0
	s_waitcnt vmcnt(3)
	v_cndmask_b32_e32 v26, v3, v5, vcc
	v_cndmask_b32_e64 v7, v26, v7, s[4:5]
	v_cndmask_b32_e32 v26, v2, v4, vcc
	v_cndmask_b32_e64 v6, v26, v6, s[4:5]
	v_cndmask_b32_e64 v7, v7, v9, s[6:7]
	v_cmp_eq_u32_e64 s[8:9], 4, v0
	v_cndmask_b32_e64 v6, v6, v8, s[6:7]
	v_cmp_eq_u32_e64 s[10:11], 5, v0
	v_cndmask_b32_e64 v7, v7, v11, s[8:9]
	v_cndmask_b32_e64 v6, v6, v10, s[8:9]
	;; [unrolled: 1-line block ×3, first 2 shown]
	v_cmp_eq_u32_e64 s[12:13], 6, v0
	v_cndmask_b32_e64 v6, v6, v12, s[10:11]
	v_cmp_eq_u32_e64 s[14:15], 7, v0
	v_cndmask_b32_e64 v7, v7, v15, s[12:13]
	v_cndmask_b32_e64 v6, v6, v14, s[12:13]
	;; [unrolled: 1-line block ×3, first 2 shown]
	v_cmp_eq_u32_e64 s[16:17], 8, v0
	v_cndmask_b32_e64 v6, v6, v16, s[14:15]
	ds_read_b64 v[26:27], v87
	v_cndmask_b32_e64 v7, v7, v19, s[16:17]
	v_cmp_eq_u32_e64 s[18:19], 9, v0
	v_cndmask_b32_e64 v6, v6, v18, s[16:17]
	v_cmp_eq_u32_e64 s[20:21], 10, v0
	s_waitcnt vmcnt(2)
	v_cndmask_b32_e64 v7, v7, v21, s[18:19]
	v_cndmask_b32_e64 v6, v6, v20, s[18:19]
	s_waitcnt vmcnt(1)
	v_cndmask_b32_e64 v7, v7, v23, s[20:21]
	v_cmp_eq_u32_e64 s[22:23], 11, v0
	v_cndmask_b32_e64 v6, v6, v22, s[20:21]
	s_waitcnt vmcnt(0)
	v_cndmask_b32_e64 v7, v7, v25, s[22:23]
	v_cndmask_b32_e64 v6, v6, v24, s[22:23]
	s_waitcnt lgkmcnt(0)
	v_mul_f64 v[6:7], v[6:7], v[26:27]
	s_cbranch_execz .LBB11_172
	s_branch .LBB11_173
.LBB11_171:
                                        ; implicit-def: $vgpr6_vgpr7
.LBB11_172:
	ds_read_b64 v[6:7], v87
.LBB11_173:
	v_mov_b32_e32 v26, 0
	ds_read2_b64 v[26:29], v26 offset0:2 offset1:13
	s_waitcnt lgkmcnt(0)
	v_fma_f64 v[28:29], v[4:5], v[28:29], v[6:7]
	v_cndmask_b32_e64 v7, v7, v29, s[2:3]
	v_cndmask_b32_e64 v6, v6, v28, s[2:3]
	v_mul_f64 v[6:7], v[6:7], v[26:27]
.LBB11_174:
	s_or_b64 exec, exec, s[24:25]
	v_add_u32_e32 v30, 1, v0
	v_cmp_gt_u32_e64 s[4:5], 3, v0
	s_waitcnt vmcnt(9)
	ds_write_b64 v87, v[8:9]
	s_waitcnt lgkmcnt(0)
	; wave barrier
	s_and_saveexec_b64 s[26:27], s[4:5]
	s_cbranch_execz .LBB11_182
; %bb.175:
	s_and_b64 vcc, exec, s[0:1]
	s_cbranch_vccnz .LBB11_177
; %bb.176:
	v_cmp_eq_u32_e32 vcc, 1, v0
	v_cmp_eq_u32_e64 s[6:7], 2, v0
	v_cmp_eq_u32_e64 s[8:9], 3, v0
	s_waitcnt vmcnt(3)
	v_cndmask_b32_e32 v26, v3, v5, vcc
	v_cndmask_b32_e64 v26, v26, v7, s[6:7]
	v_cndmask_b32_e64 v26, v26, v9, s[8:9]
	v_cmp_eq_u32_e64 s[10:11], 4, v0
	v_cmp_eq_u32_e64 s[12:13], 5, v0
	;; [unrolled: 1-line block ×3, first 2 shown]
	v_cndmask_b32_e64 v26, v26, v11, s[10:11]
	v_cndmask_b32_e64 v26, v26, v13, s[12:13]
	;; [unrolled: 1-line block ×3, first 2 shown]
	v_cmp_eq_u32_e64 s[16:17], 7, v0
	v_cmp_eq_u32_e64 s[18:19], 8, v0
	;; [unrolled: 1-line block ×3, first 2 shown]
	v_cndmask_b32_e64 v26, v26, v17, s[16:17]
	v_cndmask_b32_e64 v26, v26, v19, s[18:19]
	s_waitcnt vmcnt(2)
	v_cndmask_b32_e64 v26, v26, v21, s[20:21]
	v_cmp_eq_u32_e64 s[22:23], 10, v0
	v_cmp_eq_u32_e64 s[24:25], 11, v0
	ds_read_b64 v[28:29], v87
	s_waitcnt vmcnt(1)
	v_cndmask_b32_e64 v26, v26, v23, s[22:23]
	s_waitcnt vmcnt(0)
	v_cndmask_b32_e64 v27, v26, v25, s[24:25]
	v_cndmask_b32_e32 v26, v2, v4, vcc
	v_cndmask_b32_e64 v26, v26, v6, s[6:7]
	v_cndmask_b32_e64 v26, v26, v8, s[8:9]
	;; [unrolled: 1-line block ×10, first 2 shown]
	s_waitcnt lgkmcnt(0)
	v_mul_f64 v[26:27], v[26:27], v[28:29]
	s_cbranch_execz .LBB11_178
	s_branch .LBB11_179
.LBB11_177:
                                        ; implicit-def: $vgpr26_vgpr27
.LBB11_178:
	ds_read_b64 v[26:27], v87
.LBB11_179:
	v_cmp_ne_u32_e32 vcc, 2, v0
	s_and_saveexec_b64 s[28:29], vcc
	s_cbranch_execz .LBB11_181
; %bb.180:
	v_cmp_eq_u32_e32 vcc, 1, v30
	v_cmp_eq_u32_e64 s[6:7], 2, v30
	v_cmp_eq_u32_e64 s[8:9], 3, v30
	s_waitcnt vmcnt(3)
	v_cndmask_b32_e32 v28, v3, v5, vcc
	v_cndmask_b32_e64 v28, v28, v7, s[6:7]
	v_cndmask_b32_e64 v9, v28, v9, s[8:9]
	v_cndmask_b32_e32 v28, v2, v4, vcc
	v_cndmask_b32_e64 v28, v28, v6, s[6:7]
	v_cmp_eq_u32_e64 s[10:11], 4, v30
	v_cndmask_b32_e64 v8, v28, v8, s[8:9]
	v_cmp_eq_u32_e64 s[12:13], 5, v30
	v_cndmask_b32_e64 v9, v9, v11, s[10:11]
	v_cndmask_b32_e64 v8, v8, v10, s[10:11]
	v_cndmask_b32_e64 v9, v9, v13, s[12:13]
	v_cmp_eq_u32_e64 s[14:15], 6, v30
	v_cndmask_b32_e64 v8, v8, v12, s[12:13]
	v_cmp_eq_u32_e64 s[16:17], 7, v30
	v_cndmask_b32_e64 v9, v9, v15, s[14:15]
	v_cndmask_b32_e64 v8, v8, v14, s[14:15]
	v_cndmask_b32_e64 v9, v9, v17, s[16:17]
	v_cmp_eq_u32_e64 s[18:19], 8, v30
	v_cndmask_b32_e64 v8, v8, v16, s[16:17]
	v_cmp_eq_u32_e64 s[20:21], 9, v30
	v_cndmask_b32_e64 v9, v9, v19, s[18:19]
	v_cndmask_b32_e64 v8, v8, v18, s[18:19]
	v_mov_b32_e32 v31, 0
	ds_read_b64 v[28:29], v87 offset:8
	ds_read_b64 v[32:33], v31 offset:112
	s_waitcnt vmcnt(2)
	v_cndmask_b32_e64 v9, v9, v21, s[20:21]
	v_cmp_eq_u32_e64 s[22:23], 10, v30
	v_cndmask_b32_e64 v8, v8, v20, s[20:21]
	v_cmp_eq_u32_e64 s[24:25], 11, v30
	s_waitcnt vmcnt(1)
	v_cndmask_b32_e64 v9, v9, v23, s[22:23]
	v_cndmask_b32_e64 v8, v8, v22, s[22:23]
	s_waitcnt vmcnt(0)
	v_cndmask_b32_e64 v9, v9, v25, s[24:25]
	v_cndmask_b32_e64 v8, v8, v24, s[24:25]
	s_waitcnt lgkmcnt(1)
	v_fmac_f64_e32 v[26:27], v[8:9], v[28:29]
	s_waitcnt lgkmcnt(0)
	v_fma_f64 v[8:9], v[6:7], v[32:33], v[26:27]
	v_cndmask_b32_e64 v27, v27, v9, s[2:3]
	v_cndmask_b32_e64 v26, v26, v8, s[2:3]
.LBB11_181:
	s_or_b64 exec, exec, s[28:29]
	v_mov_b32_e32 v8, 0
	ds_read_b64 v[8:9], v8 offset:24
	s_waitcnt lgkmcnt(0)
	v_mul_f64 v[8:9], v[26:27], v[8:9]
.LBB11_182:
	s_or_b64 exec, exec, s[26:27]
	v_cmp_gt_u32_e32 vcc, 4, v0
	s_waitcnt vmcnt(8)
	ds_write_b64 v87, v[10:11]
	s_waitcnt lgkmcnt(0)
	; wave barrier
	s_and_saveexec_b64 s[26:27], vcc
	s_cbranch_execz .LBB11_192
; %bb.183:
	s_and_b64 vcc, exec, s[0:1]
	s_cbranch_vccnz .LBB11_185
; %bb.184:
	v_cmp_eq_u32_e32 vcc, 1, v0
	v_cmp_eq_u32_e64 s[6:7], 2, v0
	v_cmp_eq_u32_e64 s[8:9], 3, v0
	s_waitcnt vmcnt(3)
	v_cndmask_b32_e32 v26, v3, v5, vcc
	v_cndmask_b32_e64 v26, v26, v7, s[6:7]
	v_cndmask_b32_e64 v26, v26, v9, s[8:9]
	v_cmp_eq_u32_e64 s[10:11], 4, v0
	v_cmp_eq_u32_e64 s[12:13], 5, v0
	;; [unrolled: 1-line block ×3, first 2 shown]
	v_cndmask_b32_e64 v26, v26, v11, s[10:11]
	v_cndmask_b32_e64 v26, v26, v13, s[12:13]
	;; [unrolled: 1-line block ×3, first 2 shown]
	v_cmp_eq_u32_e64 s[16:17], 7, v0
	v_cmp_eq_u32_e64 s[18:19], 8, v0
	;; [unrolled: 1-line block ×3, first 2 shown]
	v_cndmask_b32_e64 v26, v26, v17, s[16:17]
	v_cndmask_b32_e64 v26, v26, v19, s[18:19]
	s_waitcnt vmcnt(2)
	v_cndmask_b32_e64 v26, v26, v21, s[20:21]
	v_cmp_eq_u32_e64 s[22:23], 10, v0
	v_cmp_eq_u32_e64 s[24:25], 11, v0
	ds_read_b64 v[28:29], v87
	s_waitcnt vmcnt(1)
	v_cndmask_b32_e64 v26, v26, v23, s[22:23]
	s_waitcnt vmcnt(0)
	v_cndmask_b32_e64 v27, v26, v25, s[24:25]
	v_cndmask_b32_e32 v26, v2, v4, vcc
	v_cndmask_b32_e64 v26, v26, v6, s[6:7]
	v_cndmask_b32_e64 v26, v26, v8, s[8:9]
	v_cndmask_b32_e64 v26, v26, v10, s[10:11]
	v_cndmask_b32_e64 v26, v26, v12, s[12:13]
	v_cndmask_b32_e64 v26, v26, v14, s[14:15]
	v_cndmask_b32_e64 v26, v26, v16, s[16:17]
	v_cndmask_b32_e64 v26, v26, v18, s[18:19]
	v_cndmask_b32_e64 v26, v26, v20, s[20:21]
	v_cndmask_b32_e64 v26, v26, v22, s[22:23]
	v_cndmask_b32_e64 v26, v26, v24, s[24:25]
	s_waitcnt lgkmcnt(0)
	v_mul_f64 v[26:27], v[26:27], v[28:29]
	s_cbranch_execz .LBB11_186
	s_branch .LBB11_187
.LBB11_185:
                                        ; implicit-def: $vgpr26_vgpr27
.LBB11_186:
	ds_read_b64 v[26:27], v87
.LBB11_187:
	v_cmp_ne_u32_e32 vcc, 3, v0
	s_and_saveexec_b64 s[10:11], vcc
	s_cbranch_execz .LBB11_191
; %bb.188:
	v_mov_b32_e32 v28, 0x68
	v_lshl_add_u32 v31, v0, 3, v28
	s_mov_b64 s[12:13], 0
	v_mov_b64_e32 v[28:29], v[0:1]
.LBB11_189:                             ; =>This Inner Loop Header: Depth=1
	v_lshl_add_u64 v[28:29], v[28:29], 0, 1
	v_cmp_eq_u32_e32 vcc, 1, v28
	v_cmp_eq_u32_e64 s[8:9], 2, v28
	v_cmp_lt_u32_e64 s[6:7], 2, v28
	s_waitcnt vmcnt(3)
	v_cndmask_b32_e32 v34, v3, v5, vcc
	v_cndmask_b32_e64 v34, v34, v7, s[8:9]
	v_cndmask_b32_e32 v35, v2, v4, vcc
	v_cmp_eq_u32_e32 vcc, 3, v28
	s_or_b64 s[12:13], s[6:7], s[12:13]
	v_cndmask_b32_e64 v35, v35, v6, s[8:9]
	v_cndmask_b32_e32 v34, v34, v9, vcc
	v_cmp_eq_u32_e64 s[6:7], 4, v28
	v_cndmask_b32_e32 v35, v35, v8, vcc
	v_cmp_eq_u32_e32 vcc, 5, v28
	v_cndmask_b32_e64 v34, v34, v11, s[6:7]
	v_cndmask_b32_e64 v35, v35, v10, s[6:7]
	v_cndmask_b32_e32 v34, v34, v13, vcc
	v_cmp_eq_u32_e64 s[6:7], 6, v28
	v_cndmask_b32_e32 v35, v35, v12, vcc
	v_cmp_eq_u32_e32 vcc, 7, v28
	v_cndmask_b32_e64 v34, v34, v15, s[6:7]
	v_cndmask_b32_e64 v35, v35, v14, s[6:7]
	v_cndmask_b32_e32 v34, v34, v17, vcc
	v_cmp_eq_u32_e64 s[6:7], 8, v28
	ds_read_b64 v[32:33], v31
	v_cndmask_b32_e32 v35, v35, v16, vcc
	v_cndmask_b32_e64 v34, v34, v19, s[6:7]
	v_cmp_eq_u32_e32 vcc, 9, v28
	v_cndmask_b32_e64 v35, v35, v18, s[6:7]
	v_cmp_eq_u32_e64 s[6:7], 10, v28
	s_waitcnt vmcnt(2)
	v_cndmask_b32_e32 v34, v34, v21, vcc
	v_cndmask_b32_e32 v36, v35, v20, vcc
	s_waitcnt vmcnt(1)
	v_cndmask_b32_e64 v34, v34, v23, s[6:7]
	v_cmp_eq_u32_e32 vcc, 11, v28
	v_add_u32_e32 v31, 8, v31
	s_waitcnt vmcnt(0)
	v_cndmask_b32_e32 v35, v34, v25, vcc
	v_cndmask_b32_e64 v34, v36, v22, s[6:7]
	v_cndmask_b32_e32 v34, v34, v24, vcc
	s_waitcnt lgkmcnt(0)
	v_fmac_f64_e32 v[26:27], v[34:35], v[32:33]
	s_andn2_b64 exec, exec, s[12:13]
	s_cbranch_execnz .LBB11_189
; %bb.190:
	s_or_b64 exec, exec, s[12:13]
.LBB11_191:
	s_or_b64 exec, exec, s[10:11]
	v_mov_b32_e32 v10, 0
	ds_read_b64 v[10:11], v10 offset:32
	s_waitcnt lgkmcnt(0)
	v_mul_f64 v[10:11], v[26:27], v[10:11]
.LBB11_192:
	s_or_b64 exec, exec, s[26:27]
	v_cmp_gt_u32_e64 s[6:7], 5, v0
	s_waitcnt vmcnt(7)
	ds_write_b64 v87, v[12:13]
	s_waitcnt lgkmcnt(0)
	; wave barrier
	s_and_saveexec_b64 s[28:29], s[6:7]
	s_cbranch_execz .LBB11_202
; %bb.193:
	s_and_b64 vcc, exec, s[0:1]
	s_cbranch_vccnz .LBB11_195
; %bb.194:
	v_cmp_eq_u32_e32 vcc, 1, v0
	v_cmp_eq_u32_e64 s[8:9], 2, v0
	v_cmp_eq_u32_e64 s[10:11], 3, v0
	s_waitcnt vmcnt(3)
	v_cndmask_b32_e32 v26, v3, v5, vcc
	v_cndmask_b32_e64 v26, v26, v7, s[8:9]
	v_cndmask_b32_e64 v26, v26, v9, s[10:11]
	v_cmp_eq_u32_e64 s[12:13], 4, v0
	v_cmp_eq_u32_e64 s[14:15], 5, v0
	;; [unrolled: 1-line block ×3, first 2 shown]
	v_cndmask_b32_e64 v26, v26, v11, s[12:13]
	v_cndmask_b32_e64 v26, v26, v13, s[14:15]
	;; [unrolled: 1-line block ×3, first 2 shown]
	v_cmp_eq_u32_e64 s[18:19], 7, v0
	v_cmp_eq_u32_e64 s[20:21], 8, v0
	;; [unrolled: 1-line block ×3, first 2 shown]
	v_cndmask_b32_e64 v26, v26, v17, s[18:19]
	v_cndmask_b32_e64 v26, v26, v19, s[20:21]
	s_waitcnt vmcnt(2)
	v_cndmask_b32_e64 v26, v26, v21, s[22:23]
	v_cmp_eq_u32_e64 s[24:25], 10, v0
	v_cmp_eq_u32_e64 s[26:27], 11, v0
	ds_read_b64 v[28:29], v87
	s_waitcnt vmcnt(1)
	v_cndmask_b32_e64 v26, v26, v23, s[24:25]
	s_waitcnt vmcnt(0)
	v_cndmask_b32_e64 v27, v26, v25, s[26:27]
	v_cndmask_b32_e32 v26, v2, v4, vcc
	v_cndmask_b32_e64 v26, v26, v6, s[8:9]
	v_cndmask_b32_e64 v26, v26, v8, s[10:11]
	;; [unrolled: 1-line block ×10, first 2 shown]
	s_waitcnt lgkmcnt(0)
	v_mul_f64 v[26:27], v[26:27], v[28:29]
	s_cbranch_execz .LBB11_196
	s_branch .LBB11_197
.LBB11_195:
                                        ; implicit-def: $vgpr26_vgpr27
.LBB11_196:
	ds_read_b64 v[26:27], v87
.LBB11_197:
	v_cmp_ne_u32_e32 vcc, 4, v0
	s_and_saveexec_b64 s[12:13], vcc
	s_cbranch_execz .LBB11_201
; %bb.198:
	v_mov_b32_e32 v28, 0x68
	v_lshl_add_u32 v31, v0, 3, v28
	s_mov_b64 s[14:15], 0
	v_mov_b64_e32 v[28:29], v[0:1]
.LBB11_199:                             ; =>This Inner Loop Header: Depth=1
	v_lshl_add_u64 v[28:29], v[28:29], 0, 1
	v_cmp_eq_u32_e32 vcc, 1, v28
	v_cmp_eq_u32_e64 s[10:11], 2, v28
	v_cmp_lt_u32_e64 s[8:9], 3, v28
	s_waitcnt vmcnt(3)
	v_cndmask_b32_e32 v34, v3, v5, vcc
	v_cndmask_b32_e64 v34, v34, v7, s[10:11]
	v_cndmask_b32_e32 v35, v2, v4, vcc
	v_cmp_eq_u32_e32 vcc, 3, v28
	s_or_b64 s[14:15], s[8:9], s[14:15]
	v_cndmask_b32_e64 v35, v35, v6, s[10:11]
	v_cndmask_b32_e32 v34, v34, v9, vcc
	v_cmp_eq_u32_e64 s[8:9], 4, v28
	v_cndmask_b32_e32 v35, v35, v8, vcc
	v_cmp_eq_u32_e32 vcc, 5, v28
	v_cndmask_b32_e64 v34, v34, v11, s[8:9]
	v_cndmask_b32_e64 v35, v35, v10, s[8:9]
	v_cndmask_b32_e32 v34, v34, v13, vcc
	v_cmp_eq_u32_e64 s[8:9], 6, v28
	v_cndmask_b32_e32 v35, v35, v12, vcc
	v_cmp_eq_u32_e32 vcc, 7, v28
	v_cndmask_b32_e64 v34, v34, v15, s[8:9]
	v_cndmask_b32_e64 v35, v35, v14, s[8:9]
	v_cndmask_b32_e32 v34, v34, v17, vcc
	v_cmp_eq_u32_e64 s[8:9], 8, v28
	ds_read_b64 v[32:33], v31
	v_cndmask_b32_e32 v35, v35, v16, vcc
	v_cndmask_b32_e64 v34, v34, v19, s[8:9]
	v_cmp_eq_u32_e32 vcc, 9, v28
	v_cndmask_b32_e64 v35, v35, v18, s[8:9]
	v_cmp_eq_u32_e64 s[8:9], 10, v28
	s_waitcnt vmcnt(2)
	v_cndmask_b32_e32 v34, v34, v21, vcc
	v_cndmask_b32_e32 v36, v35, v20, vcc
	s_waitcnt vmcnt(1)
	v_cndmask_b32_e64 v34, v34, v23, s[8:9]
	v_cmp_eq_u32_e32 vcc, 11, v28
	v_add_u32_e32 v31, 8, v31
	s_waitcnt vmcnt(0)
	v_cndmask_b32_e32 v35, v34, v25, vcc
	v_cndmask_b32_e64 v34, v36, v22, s[8:9]
	v_cndmask_b32_e32 v34, v34, v24, vcc
	s_waitcnt lgkmcnt(0)
	v_fmac_f64_e32 v[26:27], v[34:35], v[32:33]
	s_andn2_b64 exec, exec, s[14:15]
	s_cbranch_execnz .LBB11_199
; %bb.200:
	s_or_b64 exec, exec, s[14:15]
.LBB11_201:
	s_or_b64 exec, exec, s[12:13]
	v_mov_b32_e32 v12, 0
	ds_read_b64 v[12:13], v12 offset:40
	s_waitcnt lgkmcnt(0)
	v_mul_f64 v[12:13], v[26:27], v[12:13]
.LBB11_202:
	s_or_b64 exec, exec, s[28:29]
	v_cmp_gt_u32_e32 vcc, 6, v0
	s_waitcnt vmcnt(6)
	ds_write_b64 v87, v[14:15]
	s_waitcnt lgkmcnt(0)
	; wave barrier
	s_and_saveexec_b64 s[28:29], vcc
	s_cbranch_execz .LBB11_212
; %bb.203:
	s_and_b64 vcc, exec, s[0:1]
	s_cbranch_vccnz .LBB11_205
; %bb.204:
	v_cmp_eq_u32_e32 vcc, 1, v0
	v_cmp_eq_u32_e64 s[8:9], 2, v0
	v_cmp_eq_u32_e64 s[10:11], 3, v0
	s_waitcnt vmcnt(3)
	v_cndmask_b32_e32 v26, v3, v5, vcc
	v_cndmask_b32_e64 v26, v26, v7, s[8:9]
	v_cndmask_b32_e64 v26, v26, v9, s[10:11]
	v_cmp_eq_u32_e64 s[12:13], 4, v0
	v_cmp_eq_u32_e64 s[14:15], 5, v0
	;; [unrolled: 1-line block ×3, first 2 shown]
	v_cndmask_b32_e64 v26, v26, v11, s[12:13]
	v_cndmask_b32_e64 v26, v26, v13, s[14:15]
	;; [unrolled: 1-line block ×3, first 2 shown]
	v_cmp_eq_u32_e64 s[18:19], 7, v0
	v_cmp_eq_u32_e64 s[20:21], 8, v0
	v_cmp_eq_u32_e64 s[22:23], 9, v0
	v_cndmask_b32_e64 v26, v26, v17, s[18:19]
	v_cndmask_b32_e64 v26, v26, v19, s[20:21]
	s_waitcnt vmcnt(2)
	v_cndmask_b32_e64 v26, v26, v21, s[22:23]
	v_cmp_eq_u32_e64 s[24:25], 10, v0
	v_cmp_eq_u32_e64 s[26:27], 11, v0
	ds_read_b64 v[28:29], v87
	s_waitcnt vmcnt(1)
	v_cndmask_b32_e64 v26, v26, v23, s[24:25]
	s_waitcnt vmcnt(0)
	v_cndmask_b32_e64 v27, v26, v25, s[26:27]
	v_cndmask_b32_e32 v26, v2, v4, vcc
	v_cndmask_b32_e64 v26, v26, v6, s[8:9]
	v_cndmask_b32_e64 v26, v26, v8, s[10:11]
	v_cndmask_b32_e64 v26, v26, v10, s[12:13]
	v_cndmask_b32_e64 v26, v26, v12, s[14:15]
	v_cndmask_b32_e64 v26, v26, v14, s[16:17]
	v_cndmask_b32_e64 v26, v26, v16, s[18:19]
	v_cndmask_b32_e64 v26, v26, v18, s[20:21]
	v_cndmask_b32_e64 v26, v26, v20, s[22:23]
	v_cndmask_b32_e64 v26, v26, v22, s[24:25]
	v_cndmask_b32_e64 v26, v26, v24, s[26:27]
	s_waitcnt lgkmcnt(0)
	v_mul_f64 v[26:27], v[26:27], v[28:29]
	s_cbranch_execz .LBB11_206
	s_branch .LBB11_207
.LBB11_205:
                                        ; implicit-def: $vgpr26_vgpr27
.LBB11_206:
	ds_read_b64 v[26:27], v87
.LBB11_207:
	v_cmp_ne_u32_e32 vcc, 5, v0
	s_and_saveexec_b64 s[12:13], vcc
	s_cbranch_execz .LBB11_211
; %bb.208:
	v_mov_b32_e32 v28, 0x68
	v_lshl_add_u32 v31, v0, 3, v28
	s_mov_b64 s[14:15], 0
	v_mov_b64_e32 v[28:29], v[0:1]
.LBB11_209:                             ; =>This Inner Loop Header: Depth=1
	v_lshl_add_u64 v[28:29], v[28:29], 0, 1
	v_cmp_eq_u32_e32 vcc, 1, v28
	v_cmp_eq_u32_e64 s[10:11], 2, v28
	v_cmp_lt_u32_e64 s[8:9], 4, v28
	s_waitcnt vmcnt(3)
	v_cndmask_b32_e32 v34, v3, v5, vcc
	v_cndmask_b32_e64 v34, v34, v7, s[10:11]
	v_cndmask_b32_e32 v35, v2, v4, vcc
	v_cmp_eq_u32_e32 vcc, 3, v28
	s_or_b64 s[14:15], s[8:9], s[14:15]
	v_cndmask_b32_e64 v35, v35, v6, s[10:11]
	v_cndmask_b32_e32 v34, v34, v9, vcc
	v_cmp_eq_u32_e64 s[8:9], 4, v28
	v_cndmask_b32_e32 v35, v35, v8, vcc
	v_cmp_eq_u32_e32 vcc, 5, v28
	v_cndmask_b32_e64 v34, v34, v11, s[8:9]
	v_cndmask_b32_e64 v35, v35, v10, s[8:9]
	v_cndmask_b32_e32 v34, v34, v13, vcc
	v_cmp_eq_u32_e64 s[8:9], 6, v28
	v_cndmask_b32_e32 v35, v35, v12, vcc
	v_cmp_eq_u32_e32 vcc, 7, v28
	v_cndmask_b32_e64 v34, v34, v15, s[8:9]
	v_cndmask_b32_e64 v35, v35, v14, s[8:9]
	v_cndmask_b32_e32 v34, v34, v17, vcc
	v_cmp_eq_u32_e64 s[8:9], 8, v28
	ds_read_b64 v[32:33], v31
	v_cndmask_b32_e32 v35, v35, v16, vcc
	v_cndmask_b32_e64 v34, v34, v19, s[8:9]
	v_cmp_eq_u32_e32 vcc, 9, v28
	v_cndmask_b32_e64 v35, v35, v18, s[8:9]
	v_cmp_eq_u32_e64 s[8:9], 10, v28
	s_waitcnt vmcnt(2)
	v_cndmask_b32_e32 v34, v34, v21, vcc
	v_cndmask_b32_e32 v36, v35, v20, vcc
	s_waitcnt vmcnt(1)
	v_cndmask_b32_e64 v34, v34, v23, s[8:9]
	v_cmp_eq_u32_e32 vcc, 11, v28
	v_add_u32_e32 v31, 8, v31
	s_waitcnt vmcnt(0)
	v_cndmask_b32_e32 v35, v34, v25, vcc
	v_cndmask_b32_e64 v34, v36, v22, s[8:9]
	v_cndmask_b32_e32 v34, v34, v24, vcc
	s_waitcnt lgkmcnt(0)
	v_fmac_f64_e32 v[26:27], v[34:35], v[32:33]
	s_andn2_b64 exec, exec, s[14:15]
	s_cbranch_execnz .LBB11_209
; %bb.210:
	s_or_b64 exec, exec, s[14:15]
.LBB11_211:
	s_or_b64 exec, exec, s[12:13]
	v_mov_b32_e32 v14, 0
	ds_read_b64 v[14:15], v14 offset:48
	s_waitcnt lgkmcnt(0)
	v_mul_f64 v[14:15], v[26:27], v[14:15]
.LBB11_212:
	s_or_b64 exec, exec, s[28:29]
	v_cmp_gt_u32_e64 s[8:9], 7, v0
	s_waitcnt vmcnt(5)
	ds_write_b64 v87, v[16:17]
	s_waitcnt lgkmcnt(0)
	; wave barrier
	s_and_saveexec_b64 s[30:31], s[8:9]
	s_cbranch_execz .LBB11_222
; %bb.213:
	s_and_b64 vcc, exec, s[0:1]
	s_cbranch_vccnz .LBB11_215
; %bb.214:
	v_cmp_eq_u32_e32 vcc, 1, v0
	v_cmp_eq_u32_e64 s[10:11], 2, v0
	v_cmp_eq_u32_e64 s[12:13], 3, v0
	s_waitcnt vmcnt(3)
	v_cndmask_b32_e32 v26, v3, v5, vcc
	v_cndmask_b32_e64 v26, v26, v7, s[10:11]
	v_cndmask_b32_e64 v26, v26, v9, s[12:13]
	v_cmp_eq_u32_e64 s[14:15], 4, v0
	v_cmp_eq_u32_e64 s[16:17], 5, v0
	;; [unrolled: 1-line block ×3, first 2 shown]
	v_cndmask_b32_e64 v26, v26, v11, s[14:15]
	v_cndmask_b32_e64 v26, v26, v13, s[16:17]
	;; [unrolled: 1-line block ×3, first 2 shown]
	v_cmp_eq_u32_e64 s[20:21], 7, v0
	v_cmp_eq_u32_e64 s[22:23], 8, v0
	;; [unrolled: 1-line block ×3, first 2 shown]
	v_cndmask_b32_e64 v26, v26, v17, s[20:21]
	v_cndmask_b32_e64 v26, v26, v19, s[22:23]
	s_waitcnt vmcnt(2)
	v_cndmask_b32_e64 v26, v26, v21, s[24:25]
	v_cmp_eq_u32_e64 s[26:27], 10, v0
	v_cmp_eq_u32_e64 s[28:29], 11, v0
	ds_read_b64 v[28:29], v87
	s_waitcnt vmcnt(1)
	v_cndmask_b32_e64 v26, v26, v23, s[26:27]
	s_waitcnt vmcnt(0)
	v_cndmask_b32_e64 v27, v26, v25, s[28:29]
	v_cndmask_b32_e32 v26, v2, v4, vcc
	v_cndmask_b32_e64 v26, v26, v6, s[10:11]
	v_cndmask_b32_e64 v26, v26, v8, s[12:13]
	;; [unrolled: 1-line block ×10, first 2 shown]
	s_waitcnt lgkmcnt(0)
	v_mul_f64 v[26:27], v[26:27], v[28:29]
	s_cbranch_execz .LBB11_216
	s_branch .LBB11_217
.LBB11_215:
                                        ; implicit-def: $vgpr26_vgpr27
.LBB11_216:
	ds_read_b64 v[26:27], v87
.LBB11_217:
	v_cmp_ne_u32_e32 vcc, 6, v0
	s_and_saveexec_b64 s[14:15], vcc
	s_cbranch_execz .LBB11_221
; %bb.218:
	v_mov_b32_e32 v28, 0x68
	v_lshl_add_u32 v31, v0, 3, v28
	s_mov_b64 s[16:17], 0
	v_mov_b64_e32 v[28:29], v[0:1]
.LBB11_219:                             ; =>This Inner Loop Header: Depth=1
	v_lshl_add_u64 v[28:29], v[28:29], 0, 1
	v_cmp_eq_u32_e32 vcc, 1, v28
	v_cmp_eq_u32_e64 s[12:13], 2, v28
	v_cmp_lt_u32_e64 s[10:11], 5, v28
	s_waitcnt vmcnt(3)
	v_cndmask_b32_e32 v34, v3, v5, vcc
	v_cndmask_b32_e64 v34, v34, v7, s[12:13]
	v_cndmask_b32_e32 v35, v2, v4, vcc
	v_cmp_eq_u32_e32 vcc, 3, v28
	s_or_b64 s[16:17], s[10:11], s[16:17]
	v_cndmask_b32_e64 v35, v35, v6, s[12:13]
	v_cndmask_b32_e32 v34, v34, v9, vcc
	v_cmp_eq_u32_e64 s[10:11], 4, v28
	v_cndmask_b32_e32 v35, v35, v8, vcc
	v_cmp_eq_u32_e32 vcc, 5, v28
	v_cndmask_b32_e64 v34, v34, v11, s[10:11]
	v_cndmask_b32_e64 v35, v35, v10, s[10:11]
	v_cndmask_b32_e32 v34, v34, v13, vcc
	v_cmp_eq_u32_e64 s[10:11], 6, v28
	v_cndmask_b32_e32 v35, v35, v12, vcc
	v_cmp_eq_u32_e32 vcc, 7, v28
	v_cndmask_b32_e64 v34, v34, v15, s[10:11]
	v_cndmask_b32_e64 v35, v35, v14, s[10:11]
	v_cndmask_b32_e32 v34, v34, v17, vcc
	v_cmp_eq_u32_e64 s[10:11], 8, v28
	ds_read_b64 v[32:33], v31
	v_cndmask_b32_e32 v35, v35, v16, vcc
	v_cndmask_b32_e64 v34, v34, v19, s[10:11]
	v_cmp_eq_u32_e32 vcc, 9, v28
	v_cndmask_b32_e64 v35, v35, v18, s[10:11]
	v_cmp_eq_u32_e64 s[10:11], 10, v28
	s_waitcnt vmcnt(2)
	v_cndmask_b32_e32 v34, v34, v21, vcc
	v_cndmask_b32_e32 v36, v35, v20, vcc
	s_waitcnt vmcnt(1)
	v_cndmask_b32_e64 v34, v34, v23, s[10:11]
	v_cmp_eq_u32_e32 vcc, 11, v28
	v_add_u32_e32 v31, 8, v31
	s_waitcnt vmcnt(0)
	v_cndmask_b32_e32 v35, v34, v25, vcc
	v_cndmask_b32_e64 v34, v36, v22, s[10:11]
	v_cndmask_b32_e32 v34, v34, v24, vcc
	s_waitcnt lgkmcnt(0)
	v_fmac_f64_e32 v[26:27], v[34:35], v[32:33]
	s_andn2_b64 exec, exec, s[16:17]
	s_cbranch_execnz .LBB11_219
; %bb.220:
	s_or_b64 exec, exec, s[16:17]
.LBB11_221:
	s_or_b64 exec, exec, s[14:15]
	v_mov_b32_e32 v16, 0
	ds_read_b64 v[16:17], v16 offset:56
	s_waitcnt lgkmcnt(0)
	v_mul_f64 v[16:17], v[26:27], v[16:17]
.LBB11_222:
	s_or_b64 exec, exec, s[30:31]
	v_cmp_gt_u32_e32 vcc, 8, v0
	s_waitcnt vmcnt(4)
	ds_write_b64 v87, v[18:19]
	s_waitcnt lgkmcnt(0)
	; wave barrier
	s_and_saveexec_b64 s[30:31], vcc
	s_cbranch_execz .LBB11_232
; %bb.223:
	s_and_b64 vcc, exec, s[0:1]
	s_cbranch_vccnz .LBB11_225
; %bb.224:
	v_cmp_eq_u32_e32 vcc, 1, v0
	v_cmp_eq_u32_e64 s[10:11], 2, v0
	v_cmp_eq_u32_e64 s[12:13], 3, v0
	s_waitcnt vmcnt(3)
	v_cndmask_b32_e32 v26, v3, v5, vcc
	v_cndmask_b32_e64 v26, v26, v7, s[10:11]
	v_cndmask_b32_e64 v26, v26, v9, s[12:13]
	v_cmp_eq_u32_e64 s[14:15], 4, v0
	v_cmp_eq_u32_e64 s[16:17], 5, v0
	;; [unrolled: 1-line block ×3, first 2 shown]
	v_cndmask_b32_e64 v26, v26, v11, s[14:15]
	v_cndmask_b32_e64 v26, v26, v13, s[16:17]
	;; [unrolled: 1-line block ×3, first 2 shown]
	v_cmp_eq_u32_e64 s[20:21], 7, v0
	v_cmp_eq_u32_e64 s[22:23], 8, v0
	;; [unrolled: 1-line block ×3, first 2 shown]
	v_cndmask_b32_e64 v26, v26, v17, s[20:21]
	v_cndmask_b32_e64 v26, v26, v19, s[22:23]
	s_waitcnt vmcnt(2)
	v_cndmask_b32_e64 v26, v26, v21, s[24:25]
	v_cmp_eq_u32_e64 s[26:27], 10, v0
	v_cmp_eq_u32_e64 s[28:29], 11, v0
	ds_read_b64 v[28:29], v87
	s_waitcnt vmcnt(1)
	v_cndmask_b32_e64 v26, v26, v23, s[26:27]
	s_waitcnt vmcnt(0)
	v_cndmask_b32_e64 v27, v26, v25, s[28:29]
	v_cndmask_b32_e32 v26, v2, v4, vcc
	v_cndmask_b32_e64 v26, v26, v6, s[10:11]
	v_cndmask_b32_e64 v26, v26, v8, s[12:13]
	;; [unrolled: 1-line block ×10, first 2 shown]
	s_waitcnt lgkmcnt(0)
	v_mul_f64 v[26:27], v[26:27], v[28:29]
	s_cbranch_execz .LBB11_226
	s_branch .LBB11_227
.LBB11_225:
                                        ; implicit-def: $vgpr26_vgpr27
.LBB11_226:
	ds_read_b64 v[26:27], v87
.LBB11_227:
	v_cmp_ne_u32_e32 vcc, 7, v0
	s_and_saveexec_b64 s[14:15], vcc
	s_cbranch_execz .LBB11_231
; %bb.228:
	v_mov_b32_e32 v28, 0x68
	v_lshl_add_u32 v31, v0, 3, v28
	s_mov_b64 s[16:17], 0
	v_mov_b64_e32 v[28:29], v[0:1]
.LBB11_229:                             ; =>This Inner Loop Header: Depth=1
	v_lshl_add_u64 v[28:29], v[28:29], 0, 1
	v_cmp_eq_u32_e32 vcc, 1, v28
	v_cmp_eq_u32_e64 s[12:13], 2, v28
	v_cmp_lt_u32_e64 s[10:11], 6, v28
	s_waitcnt vmcnt(3)
	v_cndmask_b32_e32 v34, v3, v5, vcc
	v_cndmask_b32_e64 v34, v34, v7, s[12:13]
	v_cndmask_b32_e32 v35, v2, v4, vcc
	v_cmp_eq_u32_e32 vcc, 3, v28
	s_or_b64 s[16:17], s[10:11], s[16:17]
	v_cndmask_b32_e64 v35, v35, v6, s[12:13]
	v_cndmask_b32_e32 v34, v34, v9, vcc
	v_cmp_eq_u32_e64 s[10:11], 4, v28
	v_cndmask_b32_e32 v35, v35, v8, vcc
	v_cmp_eq_u32_e32 vcc, 5, v28
	v_cndmask_b32_e64 v34, v34, v11, s[10:11]
	v_cndmask_b32_e64 v35, v35, v10, s[10:11]
	v_cndmask_b32_e32 v34, v34, v13, vcc
	v_cmp_eq_u32_e64 s[10:11], 6, v28
	v_cndmask_b32_e32 v35, v35, v12, vcc
	v_cmp_eq_u32_e32 vcc, 7, v28
	v_cndmask_b32_e64 v34, v34, v15, s[10:11]
	v_cndmask_b32_e64 v35, v35, v14, s[10:11]
	v_cndmask_b32_e32 v34, v34, v17, vcc
	v_cmp_eq_u32_e64 s[10:11], 8, v28
	ds_read_b64 v[32:33], v31
	v_cndmask_b32_e32 v35, v35, v16, vcc
	v_cndmask_b32_e64 v34, v34, v19, s[10:11]
	v_cmp_eq_u32_e32 vcc, 9, v28
	v_cndmask_b32_e64 v35, v35, v18, s[10:11]
	v_cmp_eq_u32_e64 s[10:11], 10, v28
	s_waitcnt vmcnt(2)
	v_cndmask_b32_e32 v34, v34, v21, vcc
	v_cndmask_b32_e32 v36, v35, v20, vcc
	s_waitcnt vmcnt(1)
	v_cndmask_b32_e64 v34, v34, v23, s[10:11]
	v_cmp_eq_u32_e32 vcc, 11, v28
	v_add_u32_e32 v31, 8, v31
	s_waitcnt vmcnt(0)
	v_cndmask_b32_e32 v35, v34, v25, vcc
	v_cndmask_b32_e64 v34, v36, v22, s[10:11]
	v_cndmask_b32_e32 v34, v34, v24, vcc
	s_waitcnt lgkmcnt(0)
	v_fmac_f64_e32 v[26:27], v[34:35], v[32:33]
	s_andn2_b64 exec, exec, s[16:17]
	s_cbranch_execnz .LBB11_229
; %bb.230:
	s_or_b64 exec, exec, s[16:17]
.LBB11_231:
	s_or_b64 exec, exec, s[14:15]
	v_mov_b32_e32 v18, 0
	ds_read_b64 v[18:19], v18 offset:64
	s_waitcnt lgkmcnt(0)
	v_mul_f64 v[18:19], v[26:27], v[18:19]
.LBB11_232:
	s_or_b64 exec, exec, s[30:31]
	v_cmp_gt_u32_e32 vcc, 9, v0
	s_waitcnt vmcnt(2)
	ds_write_b64 v87, v[20:21]
	s_waitcnt lgkmcnt(0)
	; wave barrier
	s_and_saveexec_b64 s[30:31], vcc
	s_cbranch_execz .LBB11_254
; %bb.233:
	s_and_b64 vcc, exec, s[0:1]
	s_cbranch_vccnz .LBB11_235
; %bb.234:
	v_cmp_eq_u32_e32 vcc, 1, v0
	v_cmp_eq_u32_e64 s[10:11], 2, v0
	v_cmp_eq_u32_e64 s[12:13], 3, v0
	v_cndmask_b32_e32 v26, v3, v5, vcc
	v_cndmask_b32_e64 v26, v26, v7, s[10:11]
	v_cndmask_b32_e64 v26, v26, v9, s[12:13]
	v_cmp_eq_u32_e64 s[14:15], 4, v0
	v_cmp_eq_u32_e64 s[16:17], 5, v0
	;; [unrolled: 1-line block ×3, first 2 shown]
	v_cndmask_b32_e64 v26, v26, v11, s[14:15]
	v_cndmask_b32_e64 v26, v26, v13, s[16:17]
	;; [unrolled: 1-line block ×3, first 2 shown]
	v_cmp_eq_u32_e64 s[20:21], 7, v0
	v_cmp_eq_u32_e64 s[22:23], 8, v0
	v_cmp_eq_u32_e64 s[24:25], 9, v0
	v_cndmask_b32_e64 v26, v26, v17, s[20:21]
	v_cndmask_b32_e64 v26, v26, v19, s[22:23]
	v_cndmask_b32_e64 v26, v26, v21, s[24:25]
	v_cmp_eq_u32_e64 s[26:27], 10, v0
	v_cmp_eq_u32_e64 s[28:29], 11, v0
	ds_read_b64 v[28:29], v87
	s_waitcnt vmcnt(1)
	v_cndmask_b32_e64 v26, v26, v23, s[26:27]
	s_waitcnt vmcnt(0)
	v_cndmask_b32_e64 v27, v26, v25, s[28:29]
	v_cndmask_b32_e32 v26, v2, v4, vcc
	v_cndmask_b32_e64 v26, v26, v6, s[10:11]
	v_cndmask_b32_e64 v26, v26, v8, s[12:13]
	;; [unrolled: 1-line block ×10, first 2 shown]
	s_waitcnt lgkmcnt(0)
	v_mul_f64 v[26:27], v[26:27], v[28:29]
	s_cbranch_execz .LBB11_236
	s_branch .LBB11_237
.LBB11_235:
                                        ; implicit-def: $vgpr26_vgpr27
.LBB11_236:
	ds_read_b64 v[26:27], v87
.LBB11_237:
	v_cmp_ne_u32_e32 vcc, 8, v0
	s_and_saveexec_b64 s[34:35], vcc
	s_cbranch_execz .LBB11_253
; %bb.238:
	v_cmp_eq_u32_e32 vcc, 1, v30
	v_cmp_eq_u32_e64 s[10:11], 2, v30
	v_cmp_eq_u32_e64 s[12:13], 3, v30
	v_cndmask_b32_e32 v28, v3, v5, vcc
	v_cndmask_b32_e64 v28, v28, v7, s[10:11]
	v_cndmask_b32_e64 v28, v28, v9, s[12:13]
	v_cmp_eq_u32_e64 s[14:15], 4, v30
	v_cmp_eq_u32_e64 s[16:17], 5, v30
	;; [unrolled: 1-line block ×3, first 2 shown]
	v_cndmask_b32_e64 v28, v28, v11, s[14:15]
	v_cndmask_b32_e64 v28, v28, v13, s[16:17]
	;; [unrolled: 1-line block ×3, first 2 shown]
	v_cmp_eq_u32_e64 s[20:21], 7, v30
	v_cmp_eq_u32_e64 s[22:23], 8, v30
	;; [unrolled: 1-line block ×3, first 2 shown]
	v_cndmask_b32_e64 v28, v28, v17, s[20:21]
	v_cndmask_b32_e64 v28, v28, v19, s[22:23]
	;; [unrolled: 1-line block ×3, first 2 shown]
	v_cmp_eq_u32_e64 s[26:27], 10, v30
	v_cmp_eq_u32_e64 s[28:29], 11, v30
	ds_read_b64 v[30:31], v87 offset:8
	s_waitcnt vmcnt(1)
	v_cndmask_b32_e64 v28, v28, v23, s[26:27]
	s_waitcnt vmcnt(0)
	v_cndmask_b32_e64 v29, v28, v25, s[28:29]
	v_cndmask_b32_e32 v28, v2, v4, vcc
	v_cndmask_b32_e64 v28, v28, v6, s[10:11]
	v_cndmask_b32_e64 v28, v28, v8, s[12:13]
	;; [unrolled: 1-line block ×10, first 2 shown]
	s_waitcnt lgkmcnt(0)
	v_fmac_f64_e32 v[26:27], v[28:29], v[30:31]
	s_and_saveexec_b64 s[28:29], s[8:9]
	s_cbranch_execz .LBB11_252
; %bb.239:
	v_add_u32_e32 v28, 2, v0
	v_cmp_eq_u32_e32 vcc, 1, v28
	v_cmp_eq_u32_e64 s[8:9], 2, v28
	v_cmp_eq_u32_e64 s[10:11], 3, v28
	v_cndmask_b32_e32 v29, v3, v5, vcc
	v_cmp_eq_u32_e64 s[12:13], 4, v28
	v_cmp_eq_u32_e64 s[14:15], 5, v28
	;; [unrolled: 1-line block ×8, first 2 shown]
	v_cndmask_b32_e32 v28, v2, v4, vcc
	v_cndmask_b32_e64 v29, v29, v7, s[8:9]
	v_cndmask_b32_e64 v28, v28, v6, s[8:9]
	;; [unrolled: 1-line block ×12, first 2 shown]
	ds_read_b64 v[30:31], v87 offset:16
	v_cndmask_b32_e64 v29, v29, v19, s[20:21]
	v_cndmask_b32_e64 v28, v28, v18, s[20:21]
	;; [unrolled: 1-line block ×8, first 2 shown]
	s_waitcnt lgkmcnt(0)
	v_fmac_f64_e32 v[26:27], v[28:29], v[30:31]
	v_cmp_ne_u32_e32 vcc, 6, v0
	s_and_saveexec_b64 s[36:37], vcc
	s_cbranch_execz .LBB11_251
; %bb.240:
	v_add_u32_e32 v28, 3, v0
	v_cmp_eq_u32_e32 vcc, 1, v28
	v_cmp_eq_u32_e64 s[8:9], 2, v28
	v_cmp_eq_u32_e64 s[10:11], 3, v28
	v_cndmask_b32_e32 v29, v3, v5, vcc
	v_cmp_eq_u32_e64 s[12:13], 4, v28
	v_cmp_eq_u32_e64 s[14:15], 5, v28
	;; [unrolled: 1-line block ×8, first 2 shown]
	v_cndmask_b32_e32 v28, v2, v4, vcc
	v_cndmask_b32_e64 v29, v29, v7, s[8:9]
	v_cndmask_b32_e64 v28, v28, v6, s[8:9]
	;; [unrolled: 1-line block ×12, first 2 shown]
	ds_read_b64 v[30:31], v87 offset:24
	v_cndmask_b32_e64 v29, v29, v19, s[20:21]
	v_cndmask_b32_e64 v28, v28, v18, s[20:21]
	;; [unrolled: 1-line block ×8, first 2 shown]
	s_waitcnt lgkmcnt(0)
	v_fmac_f64_e32 v[26:27], v[28:29], v[30:31]
	s_and_saveexec_b64 s[26:27], s[6:7]
	s_cbranch_execz .LBB11_250
; %bb.241:
	v_add_u32_e32 v28, 4, v0
	v_cmp_eq_u32_e32 vcc, 1, v28
	v_cmp_eq_u32_e64 s[6:7], 2, v28
	v_cmp_eq_u32_e64 s[8:9], 3, v28
	v_cndmask_b32_e32 v29, v3, v5, vcc
	v_cmp_eq_u32_e64 s[10:11], 4, v28
	v_cmp_eq_u32_e64 s[12:13], 5, v28
	;; [unrolled: 1-line block ×8, first 2 shown]
	v_cndmask_b32_e32 v28, v2, v4, vcc
	v_cndmask_b32_e64 v29, v29, v7, s[6:7]
	v_cndmask_b32_e64 v28, v28, v6, s[6:7]
	;; [unrolled: 1-line block ×12, first 2 shown]
	ds_read_b64 v[30:31], v87 offset:32
	v_cndmask_b32_e64 v29, v29, v19, s[18:19]
	v_cndmask_b32_e64 v28, v28, v18, s[18:19]
	;; [unrolled: 1-line block ×8, first 2 shown]
	s_waitcnt lgkmcnt(0)
	v_fmac_f64_e32 v[26:27], v[28:29], v[30:31]
	v_cmp_ne_u32_e32 vcc, 4, v0
	s_and_saveexec_b64 s[38:39], vcc
	s_cbranch_execz .LBB11_249
; %bb.242:
	v_add_u32_e32 v28, 5, v0
	v_cmp_eq_u32_e32 vcc, 1, v28
	v_cmp_eq_u32_e64 s[6:7], 2, v28
	v_cmp_eq_u32_e64 s[8:9], 3, v28
	v_cndmask_b32_e32 v29, v3, v5, vcc
	v_cmp_eq_u32_e64 s[10:11], 4, v28
	v_cmp_eq_u32_e64 s[12:13], 5, v28
	;; [unrolled: 1-line block ×8, first 2 shown]
	v_cndmask_b32_e32 v28, v2, v4, vcc
	v_cndmask_b32_e64 v29, v29, v7, s[6:7]
	v_cndmask_b32_e64 v28, v28, v6, s[6:7]
	;; [unrolled: 1-line block ×12, first 2 shown]
	ds_read_b64 v[30:31], v87 offset:40
	v_cndmask_b32_e64 v29, v29, v19, s[18:19]
	v_cndmask_b32_e64 v28, v28, v18, s[18:19]
	;; [unrolled: 1-line block ×8, first 2 shown]
	s_waitcnt lgkmcnt(0)
	v_fmac_f64_e32 v[26:27], v[28:29], v[30:31]
	s_and_saveexec_b64 s[24:25], s[4:5]
	s_cbranch_execz .LBB11_248
; %bb.243:
	v_add_u32_e32 v28, 6, v0
	v_cmp_eq_u32_e32 vcc, 1, v28
	v_cmp_eq_u32_e64 s[4:5], 2, v28
	v_cmp_eq_u32_e64 s[6:7], 3, v28
	v_cndmask_b32_e32 v29, v3, v5, vcc
	v_cmp_eq_u32_e64 s[8:9], 4, v28
	v_cmp_eq_u32_e64 s[10:11], 5, v28
	;; [unrolled: 1-line block ×8, first 2 shown]
	v_cndmask_b32_e32 v28, v2, v4, vcc
	v_cndmask_b32_e64 v29, v29, v7, s[4:5]
	v_cndmask_b32_e64 v28, v28, v6, s[4:5]
	;; [unrolled: 1-line block ×12, first 2 shown]
	ds_read_b64 v[30:31], v87 offset:48
	v_cndmask_b32_e64 v29, v29, v19, s[16:17]
	v_cndmask_b32_e64 v28, v28, v18, s[16:17]
	;; [unrolled: 1-line block ×8, first 2 shown]
	s_waitcnt lgkmcnt(0)
	v_fmac_f64_e32 v[26:27], v[28:29], v[30:31]
	v_cmp_ne_u32_e32 vcc, 2, v0
	s_and_saveexec_b64 s[40:41], vcc
	s_cbranch_execz .LBB11_247
; %bb.244:
	v_add_u32_e32 v28, 7, v0
	v_cmp_eq_u32_e32 vcc, 1, v28
	v_cmp_eq_u32_e64 s[4:5], 2, v28
	v_cmp_eq_u32_e64 s[6:7], 3, v28
	v_cndmask_b32_e32 v29, v3, v5, vcc
	v_cndmask_b32_e64 v29, v29, v7, s[4:5]
	v_cndmask_b32_e64 v29, v29, v9, s[6:7]
	v_cmp_eq_u32_e64 s[8:9], 4, v28
	v_cmp_eq_u32_e64 s[10:11], 5, v28
	;; [unrolled: 1-line block ×8, first 2 shown]
	v_cndmask_b32_e32 v28, v2, v4, vcc
	v_cndmask_b32_e64 v29, v29, v11, s[8:9]
	v_cndmask_b32_e64 v28, v28, v6, s[4:5]
	;; [unrolled: 1-line block ×12, first 2 shown]
	ds_read_b64 v[28:29], v87 offset:56
	v_cndmask_b32_e64 v30, v30, v18, s[16:17]
	v_cndmask_b32_e64 v20, v30, v20, s[18:19]
	;; [unrolled: 1-line block ×6, first 2 shown]
	s_waitcnt lgkmcnt(0)
	v_fmac_f64_e32 v[26:27], v[20:21], v[28:29]
	s_and_saveexec_b64 s[4:5], s[2:3]
	s_cbranch_execz .LBB11_246
; %bb.245:
	ds_read_b64 v[20:21], v87 offset:64
	s_waitcnt lgkmcnt(0)
	v_fmac_f64_e32 v[26:27], v[18:19], v[20:21]
.LBB11_246:
	s_or_b64 exec, exec, s[4:5]
.LBB11_247:
	s_or_b64 exec, exec, s[40:41]
.LBB11_248:
	s_or_b64 exec, exec, s[24:25]
.LBB11_249:
	s_or_b64 exec, exec, s[38:39]
.LBB11_250:
	s_or_b64 exec, exec, s[26:27]
.LBB11_251:
	s_or_b64 exec, exec, s[36:37]
.LBB11_252:
	s_or_b64 exec, exec, s[28:29]
.LBB11_253:
	s_or_b64 exec, exec, s[34:35]
	v_mov_b32_e32 v20, 0
	ds_read_b64 v[20:21], v20 offset:72
	s_waitcnt lgkmcnt(0)
	v_mul_f64 v[20:21], v[26:27], v[20:21]
.LBB11_254:
	s_or_b64 exec, exec, s[30:31]
	v_cmp_gt_u32_e64 s[2:3], 10, v0
	s_waitcnt vmcnt(1)
	ds_write_b64 v87, v[22:23]
	s_waitcnt lgkmcnt(0)
	; wave barrier
	s_and_saveexec_b64 s[24:25], s[2:3]
	s_cbranch_execz .LBB11_264
; %bb.255:
	s_and_b64 vcc, exec, s[0:1]
	s_cbranch_vccnz .LBB11_257
; %bb.256:
	v_cmp_eq_u32_e32 vcc, 1, v0
	v_cmp_eq_u32_e64 s[4:5], 2, v0
	v_cmp_eq_u32_e64 s[6:7], 3, v0
	v_cndmask_b32_e32 v26, v3, v5, vcc
	v_cndmask_b32_e64 v26, v26, v7, s[4:5]
	v_cndmask_b32_e64 v26, v26, v9, s[6:7]
	v_cmp_eq_u32_e64 s[8:9], 4, v0
	v_cmp_eq_u32_e64 s[10:11], 5, v0
	;; [unrolled: 1-line block ×3, first 2 shown]
	v_cndmask_b32_e64 v26, v26, v11, s[8:9]
	v_cndmask_b32_e64 v26, v26, v13, s[10:11]
	;; [unrolled: 1-line block ×3, first 2 shown]
	v_cmp_eq_u32_e64 s[14:15], 7, v0
	v_cmp_eq_u32_e64 s[16:17], 8, v0
	;; [unrolled: 1-line block ×3, first 2 shown]
	v_cndmask_b32_e64 v26, v26, v17, s[14:15]
	v_cndmask_b32_e64 v26, v26, v19, s[16:17]
	;; [unrolled: 1-line block ×3, first 2 shown]
	v_cmp_eq_u32_e64 s[20:21], 10, v0
	v_cmp_eq_u32_e64 s[22:23], 11, v0
	ds_read_b64 v[28:29], v87
	v_cndmask_b32_e64 v26, v26, v23, s[20:21]
	s_waitcnt vmcnt(0)
	v_cndmask_b32_e64 v27, v26, v25, s[22:23]
	v_cndmask_b32_e32 v26, v2, v4, vcc
	v_cndmask_b32_e64 v26, v26, v6, s[4:5]
	v_cndmask_b32_e64 v26, v26, v8, s[6:7]
	;; [unrolled: 1-line block ×10, first 2 shown]
	s_waitcnt lgkmcnt(0)
	v_mul_f64 v[26:27], v[26:27], v[28:29]
	s_cbranch_execz .LBB11_258
	s_branch .LBB11_259
.LBB11_257:
                                        ; implicit-def: $vgpr26_vgpr27
.LBB11_258:
	ds_read_b64 v[26:27], v87
.LBB11_259:
	v_cmp_ne_u32_e32 vcc, 9, v0
	s_and_saveexec_b64 s[8:9], vcc
	s_cbranch_execz .LBB11_263
; %bb.260:
	v_mov_b32_e32 v28, 0x68
	v_lshl_add_u32 v30, v0, 3, v28
	s_mov_b64 s[10:11], 0
	v_mov_b64_e32 v[28:29], v[0:1]
.LBB11_261:                             ; =>This Inner Loop Header: Depth=1
	v_lshl_add_u64 v[28:29], v[28:29], 0, 1
	v_cmp_eq_u32_e32 vcc, 1, v28
	v_cmp_eq_u32_e64 s[6:7], 2, v28
	v_cmp_lt_u32_e64 s[4:5], 8, v28
	v_cndmask_b32_e32 v31, v3, v5, vcc
	v_cndmask_b32_e64 v31, v31, v7, s[6:7]
	v_cndmask_b32_e32 v34, v2, v4, vcc
	v_cmp_eq_u32_e32 vcc, 3, v28
	s_or_b64 s[10:11], s[4:5], s[10:11]
	v_cndmask_b32_e64 v34, v34, v6, s[6:7]
	v_cndmask_b32_e32 v31, v31, v9, vcc
	v_cmp_eq_u32_e64 s[4:5], 4, v28
	v_cndmask_b32_e32 v34, v34, v8, vcc
	v_cmp_eq_u32_e32 vcc, 5, v28
	v_cndmask_b32_e64 v31, v31, v11, s[4:5]
	v_cndmask_b32_e64 v34, v34, v10, s[4:5]
	v_cndmask_b32_e32 v31, v31, v13, vcc
	v_cmp_eq_u32_e64 s[4:5], 6, v28
	v_cndmask_b32_e32 v34, v34, v12, vcc
	v_cmp_eq_u32_e32 vcc, 7, v28
	v_cndmask_b32_e64 v31, v31, v15, s[4:5]
	v_cndmask_b32_e64 v34, v34, v14, s[4:5]
	v_cndmask_b32_e32 v31, v31, v17, vcc
	v_cmp_eq_u32_e64 s[4:5], 8, v28
	ds_read_b64 v[32:33], v30
	v_cndmask_b32_e32 v34, v34, v16, vcc
	v_cndmask_b32_e64 v31, v31, v19, s[4:5]
	v_cmp_eq_u32_e32 vcc, 9, v28
	v_cndmask_b32_e64 v34, v34, v18, s[4:5]
	v_cmp_eq_u32_e64 s[4:5], 10, v28
	v_cndmask_b32_e32 v31, v31, v21, vcc
	v_cndmask_b32_e32 v34, v34, v20, vcc
	v_cndmask_b32_e64 v31, v31, v23, s[4:5]
	v_cmp_eq_u32_e32 vcc, 11, v28
	v_add_u32_e32 v30, 8, v30
	s_waitcnt vmcnt(0)
	v_cndmask_b32_e32 v35, v31, v25, vcc
	v_cndmask_b32_e64 v31, v34, v22, s[4:5]
	v_cndmask_b32_e32 v34, v31, v24, vcc
	s_waitcnt lgkmcnt(0)
	v_fmac_f64_e32 v[26:27], v[34:35], v[32:33]
	s_andn2_b64 exec, exec, s[10:11]
	s_cbranch_execnz .LBB11_261
; %bb.262:
	s_or_b64 exec, exec, s[10:11]
.LBB11_263:
	s_or_b64 exec, exec, s[8:9]
	v_mov_b32_e32 v22, 0
	ds_read_b64 v[22:23], v22 offset:80
	s_waitcnt lgkmcnt(0)
	v_mul_f64 v[22:23], v[26:27], v[22:23]
.LBB11_264:
	s_or_b64 exec, exec, s[24:25]
	v_cmp_ne_u32_e32 vcc, 11, v0
	s_waitcnt vmcnt(0)
	ds_write_b64 v87, v[24:25]
	s_waitcnt lgkmcnt(0)
	; wave barrier
	s_and_saveexec_b64 s[22:23], vcc
	s_cbranch_execz .LBB11_274
; %bb.265:
	s_and_b64 vcc, exec, s[0:1]
	s_cbranch_vccnz .LBB11_267
; %bb.266:
	v_cmp_eq_u32_e32 vcc, 1, v0
	v_cmp_eq_u32_e64 s[0:1], 2, v0
	v_cmp_eq_u32_e64 s[4:5], 3, v0
	v_cndmask_b32_e32 v26, v3, v5, vcc
	v_cndmask_b32_e64 v26, v26, v7, s[0:1]
	v_cndmask_b32_e64 v26, v26, v9, s[4:5]
	v_cmp_eq_u32_e64 s[6:7], 4, v0
	v_cmp_eq_u32_e64 s[8:9], 5, v0
	;; [unrolled: 1-line block ×3, first 2 shown]
	v_cndmask_b32_e64 v26, v26, v11, s[6:7]
	v_cndmask_b32_e64 v26, v26, v13, s[8:9]
	;; [unrolled: 1-line block ×3, first 2 shown]
	v_cmp_eq_u32_e64 s[12:13], 7, v0
	v_cmp_eq_u32_e64 s[14:15], 8, v0
	;; [unrolled: 1-line block ×3, first 2 shown]
	v_cndmask_b32_e64 v26, v26, v17, s[12:13]
	v_cndmask_b32_e64 v26, v26, v19, s[14:15]
	;; [unrolled: 1-line block ×3, first 2 shown]
	v_cmp_eq_u32_e64 s[18:19], 10, v0
	v_cmp_eq_u32_e64 s[20:21], 11, v0
	ds_read_b64 v[28:29], v87
	v_cndmask_b32_e64 v26, v26, v23, s[18:19]
	v_cndmask_b32_e64 v27, v26, v25, s[20:21]
	v_cndmask_b32_e32 v26, v2, v4, vcc
	v_cndmask_b32_e64 v26, v26, v6, s[0:1]
	v_cndmask_b32_e64 v26, v26, v8, s[4:5]
	;; [unrolled: 1-line block ×10, first 2 shown]
	s_waitcnt lgkmcnt(0)
	v_mul_f64 v[26:27], v[26:27], v[28:29]
	s_cbranch_execz .LBB11_268
	s_branch .LBB11_269
.LBB11_267:
                                        ; implicit-def: $vgpr26_vgpr27
.LBB11_268:
	ds_read_b64 v[26:27], v87
.LBB11_269:
	s_and_saveexec_b64 s[4:5], s[2:3]
	s_cbranch_execz .LBB11_273
; %bb.270:
	v_mov_b32_e32 v28, 0x68
	v_lshl_add_u32 v28, v0, 3, v28
	s_mov_b64 s[6:7], 0
.LBB11_271:                             ; =>This Inner Loop Header: Depth=1
	v_lshl_add_u64 v[0:1], v[0:1], 0, 1
	v_cmp_eq_u32_e32 vcc, 1, v0
	v_cmp_eq_u32_e64 s[2:3], 2, v0
	v_cmp_lt_u32_e64 s[0:1], 9, v0
	v_cndmask_b32_e32 v29, v3, v5, vcc
	v_cndmask_b32_e64 v29, v29, v7, s[2:3]
	v_cndmask_b32_e32 v32, v2, v4, vcc
	v_cmp_eq_u32_e32 vcc, 3, v0
	s_or_b64 s[6:7], s[0:1], s[6:7]
	v_cndmask_b32_e64 v32, v32, v6, s[2:3]
	v_cndmask_b32_e32 v29, v29, v9, vcc
	v_cmp_eq_u32_e64 s[0:1], 4, v0
	v_cndmask_b32_e32 v32, v32, v8, vcc
	v_cmp_eq_u32_e32 vcc, 5, v0
	v_cndmask_b32_e64 v29, v29, v11, s[0:1]
	v_cndmask_b32_e64 v32, v32, v10, s[0:1]
	v_cndmask_b32_e32 v29, v29, v13, vcc
	v_cmp_eq_u32_e64 s[0:1], 6, v0
	v_cndmask_b32_e32 v32, v32, v12, vcc
	v_cmp_eq_u32_e32 vcc, 7, v0
	v_cndmask_b32_e64 v29, v29, v15, s[0:1]
	v_cndmask_b32_e64 v32, v32, v14, s[0:1]
	v_cndmask_b32_e32 v29, v29, v17, vcc
	v_cmp_eq_u32_e64 s[0:1], 8, v0
	ds_read_b64 v[30:31], v28
	v_cndmask_b32_e32 v32, v32, v16, vcc
	v_cndmask_b32_e64 v29, v29, v19, s[0:1]
	v_cmp_eq_u32_e32 vcc, 9, v0
	v_cndmask_b32_e64 v32, v32, v18, s[0:1]
	v_cmp_eq_u32_e64 s[0:1], 10, v0
	v_cndmask_b32_e32 v29, v29, v21, vcc
	v_cndmask_b32_e32 v32, v32, v20, vcc
	v_cndmask_b32_e64 v29, v29, v23, s[0:1]
	v_cmp_eq_u32_e32 vcc, 11, v0
	v_add_u32_e32 v28, 8, v28
	s_nop 0
	v_cndmask_b32_e32 v33, v29, v25, vcc
	v_cndmask_b32_e64 v29, v32, v22, s[0:1]
	v_cndmask_b32_e32 v32, v29, v24, vcc
	s_waitcnt lgkmcnt(0)
	v_fmac_f64_e32 v[26:27], v[32:33], v[30:31]
	s_andn2_b64 exec, exec, s[6:7]
	s_cbranch_execnz .LBB11_271
; %bb.272:
	s_or_b64 exec, exec, s[6:7]
.LBB11_273:
	s_or_b64 exec, exec, s[4:5]
	v_mov_b32_e32 v0, 0
	ds_read_b64 v[0:1], v0 offset:88
	s_waitcnt lgkmcnt(0)
	v_mul_f64 v[24:25], v[26:27], v[0:1]
.LBB11_274:
	s_or_b64 exec, exec, s[22:23]
	v_mov_b64_e32 v[56:57], v[32:33]
	v_mov_b64_e32 v[54:55], v[30:31]
	;; [unrolled: 1-line block ×16, first 2 shown]
.LBB11_275:
	global_store_dwordx2 v[58:59], v[26:27], off
	global_store_dwordx2 v[60:61], v[28:29], off
	;; [unrolled: 1-line block ×12, first 2 shown]
.LBB11_276:
	s_endpgm
	.section	.rodata,"a",@progbits
	.p2align	6, 0x0
	.amdhsa_kernel _ZN9rocsolver6v33100L18trti2_kernel_smallILi12EdPdEEv13rocblas_fill_17rocblas_diagonal_T1_iil
		.amdhsa_group_segment_fixed_size 192
		.amdhsa_private_segment_fixed_size 0
		.amdhsa_kernarg_size 32
		.amdhsa_user_sgpr_count 2
		.amdhsa_user_sgpr_dispatch_ptr 0
		.amdhsa_user_sgpr_queue_ptr 0
		.amdhsa_user_sgpr_kernarg_segment_ptr 1
		.amdhsa_user_sgpr_dispatch_id 0
		.amdhsa_user_sgpr_kernarg_preload_length 0
		.amdhsa_user_sgpr_kernarg_preload_offset 0
		.amdhsa_user_sgpr_private_segment_size 0
		.amdhsa_uses_dynamic_stack 0
		.amdhsa_enable_private_segment 0
		.amdhsa_system_sgpr_workgroup_id_x 1
		.amdhsa_system_sgpr_workgroup_id_y 0
		.amdhsa_system_sgpr_workgroup_id_z 0
		.amdhsa_system_sgpr_workgroup_info 0
		.amdhsa_system_vgpr_workitem_id 0
		.amdhsa_next_free_vgpr 110
		.amdhsa_next_free_sgpr 42
		.amdhsa_accum_offset 112
		.amdhsa_reserve_vcc 1
		.amdhsa_float_round_mode_32 0
		.amdhsa_float_round_mode_16_64 0
		.amdhsa_float_denorm_mode_32 3
		.amdhsa_float_denorm_mode_16_64 3
		.amdhsa_dx10_clamp 1
		.amdhsa_ieee_mode 1
		.amdhsa_fp16_overflow 0
		.amdhsa_tg_split 0
		.amdhsa_exception_fp_ieee_invalid_op 0
		.amdhsa_exception_fp_denorm_src 0
		.amdhsa_exception_fp_ieee_div_zero 0
		.amdhsa_exception_fp_ieee_overflow 0
		.amdhsa_exception_fp_ieee_underflow 0
		.amdhsa_exception_fp_ieee_inexact 0
		.amdhsa_exception_int_div_zero 0
	.end_amdhsa_kernel
	.section	.text._ZN9rocsolver6v33100L18trti2_kernel_smallILi12EdPdEEv13rocblas_fill_17rocblas_diagonal_T1_iil,"axG",@progbits,_ZN9rocsolver6v33100L18trti2_kernel_smallILi12EdPdEEv13rocblas_fill_17rocblas_diagonal_T1_iil,comdat
.Lfunc_end11:
	.size	_ZN9rocsolver6v33100L18trti2_kernel_smallILi12EdPdEEv13rocblas_fill_17rocblas_diagonal_T1_iil, .Lfunc_end11-_ZN9rocsolver6v33100L18trti2_kernel_smallILi12EdPdEEv13rocblas_fill_17rocblas_diagonal_T1_iil
                                        ; -- End function
	.set _ZN9rocsolver6v33100L18trti2_kernel_smallILi12EdPdEEv13rocblas_fill_17rocblas_diagonal_T1_iil.num_vgpr, 110
	.set _ZN9rocsolver6v33100L18trti2_kernel_smallILi12EdPdEEv13rocblas_fill_17rocblas_diagonal_T1_iil.num_agpr, 0
	.set _ZN9rocsolver6v33100L18trti2_kernel_smallILi12EdPdEEv13rocblas_fill_17rocblas_diagonal_T1_iil.numbered_sgpr, 42
	.set _ZN9rocsolver6v33100L18trti2_kernel_smallILi12EdPdEEv13rocblas_fill_17rocblas_diagonal_T1_iil.num_named_barrier, 0
	.set _ZN9rocsolver6v33100L18trti2_kernel_smallILi12EdPdEEv13rocblas_fill_17rocblas_diagonal_T1_iil.private_seg_size, 0
	.set _ZN9rocsolver6v33100L18trti2_kernel_smallILi12EdPdEEv13rocblas_fill_17rocblas_diagonal_T1_iil.uses_vcc, 1
	.set _ZN9rocsolver6v33100L18trti2_kernel_smallILi12EdPdEEv13rocblas_fill_17rocblas_diagonal_T1_iil.uses_flat_scratch, 0
	.set _ZN9rocsolver6v33100L18trti2_kernel_smallILi12EdPdEEv13rocblas_fill_17rocblas_diagonal_T1_iil.has_dyn_sized_stack, 0
	.set _ZN9rocsolver6v33100L18trti2_kernel_smallILi12EdPdEEv13rocblas_fill_17rocblas_diagonal_T1_iil.has_recursion, 0
	.set _ZN9rocsolver6v33100L18trti2_kernel_smallILi12EdPdEEv13rocblas_fill_17rocblas_diagonal_T1_iil.has_indirect_call, 0
	.section	.AMDGPU.csdata,"",@progbits
; Kernel info:
; codeLenInByte = 20376
; TotalNumSgprs: 48
; NumVgprs: 110
; NumAgprs: 0
; TotalNumVgprs: 110
; ScratchSize: 0
; MemoryBound: 0
; FloatMode: 240
; IeeeMode: 1
; LDSByteSize: 192 bytes/workgroup (compile time only)
; SGPRBlocks: 5
; VGPRBlocks: 13
; NumSGPRsForWavesPerEU: 48
; NumVGPRsForWavesPerEU: 110
; AccumOffset: 112
; Occupancy: 4
; WaveLimiterHint : 0
; COMPUTE_PGM_RSRC2:SCRATCH_EN: 0
; COMPUTE_PGM_RSRC2:USER_SGPR: 2
; COMPUTE_PGM_RSRC2:TRAP_HANDLER: 0
; COMPUTE_PGM_RSRC2:TGID_X_EN: 1
; COMPUTE_PGM_RSRC2:TGID_Y_EN: 0
; COMPUTE_PGM_RSRC2:TGID_Z_EN: 0
; COMPUTE_PGM_RSRC2:TIDIG_COMP_CNT: 0
; COMPUTE_PGM_RSRC3_GFX90A:ACCUM_OFFSET: 27
; COMPUTE_PGM_RSRC3_GFX90A:TG_SPLIT: 0
	.section	.text._ZN9rocsolver6v33100L18trti2_kernel_smallILi13EdPdEEv13rocblas_fill_17rocblas_diagonal_T1_iil,"axG",@progbits,_ZN9rocsolver6v33100L18trti2_kernel_smallILi13EdPdEEv13rocblas_fill_17rocblas_diagonal_T1_iil,comdat
	.globl	_ZN9rocsolver6v33100L18trti2_kernel_smallILi13EdPdEEv13rocblas_fill_17rocblas_diagonal_T1_iil ; -- Begin function _ZN9rocsolver6v33100L18trti2_kernel_smallILi13EdPdEEv13rocblas_fill_17rocblas_diagonal_T1_iil
	.p2align	8
	.type	_ZN9rocsolver6v33100L18trti2_kernel_smallILi13EdPdEEv13rocblas_fill_17rocblas_diagonal_T1_iil,@function
_ZN9rocsolver6v33100L18trti2_kernel_smallILi13EdPdEEv13rocblas_fill_17rocblas_diagonal_T1_iil: ; @_ZN9rocsolver6v33100L18trti2_kernel_smallILi13EdPdEEv13rocblas_fill_17rocblas_diagonal_T1_iil
; %bb.0:
	v_cmp_gt_u32_e32 vcc, 13, v0
	s_and_saveexec_b64 s[4:5], vcc
	s_cbranch_execz .LBB12_302
; %bb.1:
	s_load_dwordx8 s[24:31], s[0:1], 0x0
	s_ashr_i32 s3, s2, 31
	v_mov_b32_e32 v1, 0
	v_lshlrev_b32_e32 v34, 3, v0
	v_mov_b32_e32 v35, v1
	s_waitcnt lgkmcnt(0)
	s_mul_hi_u32 s4, s30, s2
	s_mul_i32 s3, s30, s3
	s_add_i32 s3, s4, s3
	s_mul_i32 s4, s31, s2
	s_add_i32 s3, s3, s4
	s_mul_i32 s2, s30, s2
	s_ashr_i32 s1, s28, 31
	s_lshl_b64 s[2:3], s[2:3], 3
	s_mov_b32 s0, s28
	s_add_u32 s2, s26, s2
	s_addc_u32 s3, s27, s3
	s_lshl_b64 s[0:1], s[0:1], 3
	s_add_u32 s0, s2, s0
	s_addc_u32 s1, s3, s1
	v_lshl_add_u64 v[66:67], s[0:1], 0, v[34:35]
	s_ashr_i32 s3, s29, 31
	s_mov_b32 s2, s29
	v_lshl_add_u64 v[68:69], s[2:3], 3, v[66:67]
	s_add_i32 s2, s29, s29
	v_add_u32_e32 v4, s2, v0
	v_ashrrev_i32_e32 v5, 31, v4
	v_lshl_add_u64 v[70:71], v[4:5], 3, s[0:1]
	v_add_u32_e32 v4, s29, v4
	v_add_u32_e32 v12, s29, v4
	v_ashrrev_i32_e32 v13, 31, v12
	v_lshl_add_u64 v[74:75], v[12:13], 3, s[0:1]
	v_add_u32_e32 v12, s29, v12
	v_ashrrev_i32_e32 v13, 31, v12
	v_lshl_add_u64 v[76:77], v[12:13], 3, s[0:1]
	v_add_u32_e32 v12, s29, v12
	v_ashrrev_i32_e32 v13, 31, v12
	v_lshl_add_u64 v[78:79], v[12:13], 3, s[0:1]
	v_add_u32_e32 v12, s29, v12
	v_add_u32_e32 v20, s29, v12
	v_ashrrev_i32_e32 v21, 31, v20
	v_lshl_add_u64 v[82:83], v[20:21], 3, s[0:1]
	v_add_u32_e32 v20, s29, v20
	v_ashrrev_i32_e32 v21, 31, v20
	v_lshl_add_u64 v[84:85], v[20:21], 3, s[0:1]
	;; [unrolled: 3-line block ×4, first 2 shown]
	v_add_u32_e32 v20, s29, v20
	v_ashrrev_i32_e32 v5, 31, v4
	v_ashrrev_i32_e32 v13, 31, v12
	;; [unrolled: 1-line block ×3, first 2 shown]
	global_load_dwordx2 v[2:3], v34, s[0:1]
	v_lshl_add_u64 v[72:73], v[4:5], 3, s[0:1]
	global_load_dwordx2 v[4:5], v[68:69], off
	global_load_dwordx2 v[6:7], v[70:71], off
	global_load_dwordx2 v[8:9], v[72:73], off
	global_load_dwordx2 v[10:11], v[74:75], off
	v_lshl_add_u64 v[80:81], v[12:13], 3, s[0:1]
	global_load_dwordx2 v[12:13], v[76:77], off
	global_load_dwordx2 v[14:15], v[78:79], off
	global_load_dwordx2 v[16:17], v[80:81], off
	global_load_dwordx2 v[18:19], v[82:83], off
	;; [unrolled: 5-line block ×3, first 2 shown]
	s_cmpk_lg_i32 s25, 0x84
	s_cselect_b64 s[26:27], -1, 0
	s_cmpk_eq_i32 s25, 0x84
	v_mov_b64_e32 v[36:37], -1.0
	s_cbranch_scc1 .LBB12_3
; %bb.2:
	v_cmp_eq_u32_e64 s[0:1], 1, v0
	v_cmp_eq_u32_e64 s[2:3], 2, v0
	v_cmp_eq_u32_e64 s[4:5], 3, v0
	s_waitcnt vmcnt(11)
	v_cndmask_b32_e64 v28, v3, v5, s[0:1]
	s_waitcnt vmcnt(10)
	v_cndmask_b32_e64 v28, v28, v7, s[2:3]
	s_waitcnt vmcnt(9)
	v_cndmask_b32_e64 v28, v28, v9, s[4:5]
	v_cmp_eq_u32_e64 s[6:7], 4, v0
	v_cmp_eq_u32_e64 s[8:9], 5, v0
	v_cmp_eq_u32_e64 s[10:11], 6, v0
	s_waitcnt vmcnt(8)
	v_cndmask_b32_e64 v28, v28, v11, s[6:7]
	s_waitcnt vmcnt(7)
	v_cndmask_b32_e64 v28, v28, v13, s[8:9]
	s_waitcnt vmcnt(6)
	v_cndmask_b32_e64 v28, v28, v15, s[10:11]
	;; [unrolled: 9-line block ×4, first 2 shown]
	v_cndmask_b32_e64 v28, v2, v4, s[0:1]
	v_cndmask_b32_e64 v28, v28, v6, s[2:3]
	;; [unrolled: 1-line block ×12, first 2 shown]
	v_div_scale_f64 v[30:31], s[28:29], v[28:29], v[28:29], 1.0
	v_rcp_f64_e32 v[32:33], v[30:31]
	s_nop 0
	v_fma_f64 v[36:37], -v[30:31], v[32:33], 1.0
	v_fmac_f64_e32 v[32:33], v[32:33], v[36:37]
	v_fma_f64 v[36:37], -v[30:31], v[32:33], 1.0
	v_fmac_f64_e32 v[32:33], v[32:33], v[36:37]
	v_div_scale_f64 v[36:37], vcc, 1.0, v[28:29], 1.0
	v_mul_f64 v[38:39], v[36:37], v[32:33]
	v_fma_f64 v[30:31], -v[30:31], v[38:39], v[36:37]
	s_nop 1
	v_div_fmas_f64 v[30:31], v[30:31], v[32:33], v[38:39]
	v_div_fixup_f64 v[36:37], v[30:31], v[28:29], 1.0
	v_cmp_eq_u32_e32 vcc, 0, v0
	v_cndmask_b32_e64 v27, v27, v37, s[22:23]
	v_cndmask_b32_e64 v26, v26, v36, s[22:23]
	;; [unrolled: 1-line block ×24, first 2 shown]
	v_cndmask_b32_e32 v3, v3, v37, vcc
	v_cndmask_b32_e32 v2, v2, v36, vcc
	v_xor_b32_e32 v37, 0x80000000, v37
.LBB12_3:
	s_cmpk_eq_i32 s24, 0x79
	v_add_u32_e32 v97, 0x70, v34
	ds_write_b64 v34, v[36:37]
	s_cbranch_scc1 .LBB12_7
; %bb.4:
	s_waitcnt vmcnt(0)
	v_mov_b64_e32 v[64:65], v[32:33]
	v_cmp_eq_u32_e64 s[0:1], 12, v0
	v_mov_b64_e32 v[62:63], v[30:31]
	v_mov_b64_e32 v[60:61], v[28:29]
	;; [unrolled: 1-line block ×15, first 2 shown]
	ds_write_b64 v97, v[24:25]
	s_waitcnt lgkmcnt(0)
	; wave barrier
	s_and_saveexec_b64 s[24:25], s[0:1]
	s_cbranch_execz .LBB12_11
; %bb.5:
	s_and_b64 vcc, exec, s[26:27]
	s_cbranch_vccz .LBB12_8
; %bb.6:
	v_cmp_eq_u32_e32 vcc, 1, v0
	v_cmp_eq_u32_e64 s[2:3], 2, v0
	v_cmp_eq_u32_e64 s[4:5], 3, v0
	v_cndmask_b32_e32 v34, v3, v5, vcc
	v_cndmask_b32_e64 v34, v34, v7, s[2:3]
	v_cndmask_b32_e64 v34, v34, v9, s[4:5]
	v_cmp_eq_u32_e64 s[6:7], 4, v0
	v_cmp_eq_u32_e64 s[8:9], 5, v0
	v_cmp_eq_u32_e64 s[10:11], 6, v0
	v_cndmask_b32_e64 v34, v34, v11, s[6:7]
	v_cndmask_b32_e64 v34, v34, v13, s[8:9]
	v_cndmask_b32_e64 v34, v34, v15, s[10:11]
	v_cmp_eq_u32_e64 s[12:13], 7, v0
	v_cmp_eq_u32_e64 s[14:15], 8, v0
	v_cmp_eq_u32_e64 s[16:17], 9, v0
	v_cndmask_b32_e64 v34, v34, v17, s[12:13]
	;; [unrolled: 6-line block ×3, first 2 shown]
	v_cndmask_b32_e64 v34, v34, v25, s[20:21]
	v_cndmask_b32_e64 v35, v34, v27, s[22:23]
	v_cndmask_b32_e32 v34, v2, v4, vcc
	v_cndmask_b32_e64 v34, v34, v6, s[2:3]
	v_cndmask_b32_e64 v34, v34, v8, s[4:5]
	;; [unrolled: 1-line block ×7, first 2 shown]
	ds_read_b64 v[36:37], v97
	v_cndmask_b32_e64 v34, v34, v20, s[16:17]
	v_cndmask_b32_e64 v34, v34, v22, s[18:19]
	;; [unrolled: 1-line block ×4, first 2 shown]
	s_waitcnt lgkmcnt(0)
	v_mul_f64 v[38:39], v[34:35], v[36:37]
	s_cbranch_execz .LBB12_9
	s_branch .LBB12_10
.LBB12_7:
                                        ; implicit-def: $vgpr34_vgpr35_vgpr36_vgpr37_vgpr38_vgpr39_vgpr40_vgpr41_vgpr42_vgpr43_vgpr44_vgpr45_vgpr46_vgpr47_vgpr48_vgpr49_vgpr50_vgpr51_vgpr52_vgpr53_vgpr54_vgpr55_vgpr56_vgpr57_vgpr58_vgpr59_vgpr60_vgpr61_vgpr62_vgpr63_vgpr64_vgpr65
	s_cbranch_execnz .LBB12_178
	s_branch .LBB12_301
.LBB12_8:
                                        ; implicit-def: $vgpr38_vgpr39
.LBB12_9:
	ds_read_b64 v[38:39], v97
.LBB12_10:
	v_mov_b32_e32 v34, 0
	ds_read_b64 v[40:41], v34 offset:88
	v_mov_b32_e32 v34, v2
	v_mov_b32_e32 v35, v3
	;; [unrolled: 1-line block ×4, first 2 shown]
	s_waitcnt lgkmcnt(0)
	v_mul_f64 v[56:57], v[38:39], v[40:41]
	v_mov_b32_e32 v38, v6
	v_mov_b32_e32 v39, v7
	;; [unrolled: 1-line block ×20, first 2 shown]
.LBB12_11:
	s_or_b64 exec, exec, s[24:25]
	v_cmp_lt_u32_e64 s[2:3], 10, v0
	ds_write_b64 v97, v[54:55]
	s_waitcnt lgkmcnt(0)
	; wave barrier
	s_and_saveexec_b64 s[28:29], s[2:3]
	s_cbranch_execz .LBB12_17
; %bb.12:
	s_andn2_b64 vcc, exec, s[26:27]
	s_cbranch_vccnz .LBB12_14
; %bb.13:
	v_cmp_eq_u32_e32 vcc, 1, v0
	v_cmp_eq_u32_e64 s[4:5], 2, v0
	v_cmp_eq_u32_e64 s[6:7], 3, v0
	v_cndmask_b32_e32 v60, v35, v37, vcc
	v_cndmask_b32_e64 v60, v60, v39, s[4:5]
	v_cndmask_b32_e64 v60, v60, v41, s[6:7]
	v_cmp_eq_u32_e64 s[8:9], 4, v0
	v_cmp_eq_u32_e64 s[10:11], 5, v0
	v_cmp_eq_u32_e64 s[12:13], 6, v0
	v_cndmask_b32_e64 v60, v60, v43, s[8:9]
	v_cndmask_b32_e64 v60, v60, v45, s[10:11]
	v_cndmask_b32_e64 v60, v60, v47, s[12:13]
	v_cmp_eq_u32_e64 s[14:15], 7, v0
	v_cmp_eq_u32_e64 s[16:17], 8, v0
	v_cmp_eq_u32_e64 s[18:19], 9, v0
	v_cndmask_b32_e64 v60, v60, v49, s[14:15]
	;; [unrolled: 6-line block ×3, first 2 shown]
	v_cndmask_b32_e32 v60, v34, v36, vcc
	v_cndmask_b32_e64 v60, v60, v38, s[4:5]
	v_cndmask_b32_e64 v60, v60, v40, s[6:7]
	;; [unrolled: 1-line block ×7, first 2 shown]
	ds_read_b64 v[60:61], v97
	v_cndmask_b32_e64 v62, v62, v52, s[18:19]
	v_cndmask_b32_e64 v54, v62, v54, s[20:21]
	;; [unrolled: 1-line block ×6, first 2 shown]
	s_waitcnt lgkmcnt(0)
	v_mul_f64 v[54:55], v[54:55], v[60:61]
	s_cbranch_execz .LBB12_15
	s_branch .LBB12_16
.LBB12_14:
                                        ; implicit-def: $vgpr54_vgpr55
.LBB12_15:
	ds_read_b64 v[54:55], v97
.LBB12_16:
	v_mov_b32_e32 v60, 0
	ds_read2_b64 v[60:63], v60 offset0:10 offset1:25
	s_waitcnt lgkmcnt(0)
	v_fma_f64 v[62:63], v[56:57], v[62:63], v[54:55]
	v_cndmask_b32_e64 v55, v55, v63, s[0:1]
	v_cndmask_b32_e64 v54, v54, v62, s[0:1]
	v_mul_f64 v[54:55], v[54:55], v[60:61]
.LBB12_17:
	s_or_b64 exec, exec, s[28:29]
	v_cmp_lt_u32_e64 s[0:1], 9, v0
	ds_write_b64 v97, v[52:53]
	s_waitcnt lgkmcnt(0)
	; wave barrier
	s_and_saveexec_b64 s[28:29], s[0:1]
	s_cbranch_execz .LBB12_33
; %bb.18:
	s_andn2_b64 vcc, exec, s[26:27]
	s_cbranch_vccnz .LBB12_20
; %bb.19:
	v_cmp_eq_u32_e32 vcc, 1, v0
	v_cmp_eq_u32_e64 s[4:5], 2, v0
	v_cmp_eq_u32_e64 s[6:7], 3, v0
	v_cndmask_b32_e32 v92, v35, v37, vcc
	v_cndmask_b32_e64 v92, v92, v39, s[4:5]
	v_cndmask_b32_e64 v92, v92, v41, s[6:7]
	v_cmp_eq_u32_e64 s[8:9], 4, v0
	v_cmp_eq_u32_e64 s[10:11], 5, v0
	v_cmp_eq_u32_e64 s[12:13], 6, v0
	v_cndmask_b32_e64 v92, v92, v43, s[8:9]
	v_cndmask_b32_e64 v92, v92, v45, s[10:11]
	v_cndmask_b32_e64 v92, v92, v47, s[12:13]
	v_cmp_eq_u32_e64 s[14:15], 7, v0
	v_cmp_eq_u32_e64 s[16:17], 8, v0
	v_cmp_eq_u32_e64 s[18:19], 9, v0
	v_cndmask_b32_e64 v92, v92, v49, s[14:15]
	;; [unrolled: 6-line block ×3, first 2 shown]
	v_cndmask_b32_e64 v92, v92, v57, s[22:23]
	v_cndmask_b32_e64 v93, v92, v59, s[24:25]
	v_cndmask_b32_e32 v92, v34, v36, vcc
	v_cndmask_b32_e64 v92, v92, v38, s[4:5]
	v_cndmask_b32_e64 v92, v92, v40, s[6:7]
	;; [unrolled: 1-line block ×7, first 2 shown]
	ds_read_b64 v[94:95], v97
	v_cndmask_b32_e64 v92, v92, v52, s[18:19]
	v_cndmask_b32_e64 v92, v92, v54, s[20:21]
	;; [unrolled: 1-line block ×4, first 2 shown]
	s_waitcnt lgkmcnt(0)
	v_mul_f64 v[92:93], v[92:93], v[94:95]
	s_cbranch_execz .LBB12_21
	s_branch .LBB12_22
.LBB12_20:
                                        ; implicit-def: $vgpr92_vgpr93
.LBB12_21:
	ds_read_b64 v[92:93], v97
.LBB12_22:
	s_and_saveexec_b64 s[6:7], s[2:3]
	s_cbranch_execz .LBB12_32
; %bb.23:
	v_add_u32_e32 v94, -11, v0
	v_add_u32_e32 v95, -10, v0
	v_cmp_lt_u32_e32 vcc, 6, v94
	v_mov_b32_e32 v94, 10
	s_and_saveexec_b64 s[2:3], vcc
	s_cbranch_execz .LBB12_27
; %bb.24:
	v_and_b32_e32 v94, -8, v95
	v_sub_u32_e32 v96, 0, v94
	s_mov_b64 s[4:5], 17
	s_movk_i32 s10, 0xc0
	s_mov_b64 s[8:9], 0
.LBB12_25:                              ; =>This Inner Loop Header: Depth=1
	s_lshl_b32 s11, s4, 1
	s_add_i32 s12, s11, -13
	s_add_i32 s13, s11, -14
	s_set_gpr_idx_on s12, gpr_idx(SRC0)
	v_mov_b32_e32 v115, v34
	s_set_gpr_idx_off
	v_mov_b32_e32 v94, s10
	s_add_i32 s14, s11, -11
	s_set_gpr_idx_on s13, gpr_idx(SRC0)
	v_mov_b32_e32 v114, v34
	s_set_gpr_idx_off
	s_add_i32 s15, s11, -12
	ds_read_b128 v[98:101], v94
	ds_read_b128 v[102:105], v94 offset:16
	ds_read_b128 v[106:109], v94 offset:32
	;; [unrolled: 1-line block ×3, first 2 shown]
	s_set_gpr_idx_on s14, gpr_idx(SRC0)
	v_mov_b32_e32 v117, v34
	s_set_gpr_idx_off
	s_add_i32 s16, s11, -9
	s_set_gpr_idx_on s15, gpr_idx(SRC0)
	v_mov_b32_e32 v116, v34
	s_set_gpr_idx_off
	s_add_i32 s17, s11, -10
	;; [unrolled: 4-line block ×4, first 2 shown]
	s_waitcnt lgkmcnt(3)
	v_fmac_f64_e32 v[92:93], v[114:115], v[98:99]
	s_set_gpr_idx_on s18, gpr_idx(SRC0)
	v_mov_b32_e32 v99, v34
	s_set_gpr_idx_off
	s_add_i32 s20, s11, -5
	v_fmac_f64_e32 v[92:93], v[116:117], v[100:101]
	s_set_gpr_idx_on s19, gpr_idx(SRC0)
	v_mov_b32_e32 v98, v34
	s_set_gpr_idx_off
	s_add_i32 s21, s11, -6
	s_waitcnt lgkmcnt(2)
	v_fmac_f64_e32 v[92:93], v[118:119], v[102:103]
	s_set_gpr_idx_on s20, gpr_idx(SRC0)
	v_mov_b32_e32 v101, v34
	s_set_gpr_idx_off
	s_add_i32 s22, s11, -3
	v_fmac_f64_e32 v[92:93], v[98:99], v[104:105]
	s_set_gpr_idx_on s21, gpr_idx(SRC0)
	v_mov_b32_e32 v100, v34
	s_set_gpr_idx_off
	s_add_i32 s23, s11, -4
	s_waitcnt lgkmcnt(1)
	v_fmac_f64_e32 v[92:93], v[100:101], v[106:107]
	s_set_gpr_idx_on s22, gpr_idx(SRC0)
	v_mov_b32_e32 v99, v34
	s_set_gpr_idx_off
	s_add_i32 s24, s11, -1
	s_set_gpr_idx_on s23, gpr_idx(SRC0)
	v_mov_b32_e32 v98, v34
	s_set_gpr_idx_off
	s_add_i32 s25, s11, -2
	v_fmac_f64_e32 v[92:93], v[98:99], v[108:109]
	s_set_gpr_idx_on s24, gpr_idx(SRC0)
	v_mov_b32_e32 v99, v34
	s_set_gpr_idx_off
	s_add_u32 s4, s4, 8
	s_set_gpr_idx_on s25, gpr_idx(SRC0)
	v_mov_b32_e32 v98, v34
	s_set_gpr_idx_off
	v_add_u32_e32 v94, s4, v96
	s_waitcnt lgkmcnt(0)
	v_fmac_f64_e32 v[92:93], v[98:99], v[110:111]
	s_set_gpr_idx_on s11, gpr_idx(SRC0)
	v_mov_b32_e32 v99, v35
	s_set_gpr_idx_off
	s_addc_u32 s5, s5, 0
	s_add_i32 s10, s10, 64
	s_add_i32 s12, s4, -7
	v_cmp_eq_u32_e32 vcc, 17, v94
	s_set_gpr_idx_on s11, gpr_idx(SRC0)
	v_mov_b32_e32 v98, v34
	s_set_gpr_idx_off
	v_mov_b32_e32 v94, s12
	s_or_b64 s[8:9], vcc, s[8:9]
	v_fmac_f64_e32 v[92:93], v[98:99], v[112:113]
	s_andn2_b64 exec, exec, s[8:9]
	s_cbranch_execnz .LBB12_25
; %bb.26:
	s_or_b64 exec, exec, s[8:9]
.LBB12_27:
	s_or_b64 exec, exec, s[2:3]
	v_and_b32_e32 v60, 7, v95
	v_cmp_ne_u32_e32 vcc, 0, v60
	s_and_saveexec_b64 s[8:9], vcc
	s_cbranch_execz .LBB12_31
; %bb.28:
	v_mov_b32_e32 v61, 0x70
	v_lshl_add_u32 v61, v94, 3, v61
	v_mov_b32_e32 v95, 0
	s_mov_b64 s[10:11], 0
.LBB12_29:                              ; =>This Inner Loop Header: Depth=1
	v_cmp_eq_u32_e32 vcc, 1, v94
	v_add_u32_e32 v60, -1, v60
	v_cmp_eq_u32_e64 s[2:3], 2, v94
	v_cndmask_b32_e32 v64, v35, v37, vcc
	v_cndmask_b32_e32 v65, v34, v36, vcc
	v_cndmask_b32_e64 v64, v64, v39, s[2:3]
	v_cmp_eq_u32_e32 vcc, 0, v60
	v_cmp_eq_u32_e64 s[4:5], 3, v94
	v_cndmask_b32_e64 v65, v65, v38, s[2:3]
	s_or_b64 s[10:11], vcc, s[10:11]
	v_cndmask_b32_e64 v64, v64, v41, s[4:5]
	v_cmp_eq_u32_e32 vcc, 4, v94
	v_cndmask_b32_e64 v65, v65, v40, s[4:5]
	v_cmp_eq_u32_e64 s[2:3], 5, v94
	v_cndmask_b32_e32 v64, v64, v43, vcc
	v_cndmask_b32_e32 v65, v65, v42, vcc
	v_cndmask_b32_e64 v64, v64, v45, s[2:3]
	v_cmp_eq_u32_e32 vcc, 6, v94
	v_cndmask_b32_e64 v65, v65, v44, s[2:3]
	v_cmp_eq_u32_e64 s[2:3], 7, v94
	v_cndmask_b32_e32 v64, v64, v47, vcc
	v_cndmask_b32_e32 v65, v65, v46, vcc
	v_cndmask_b32_e64 v64, v64, v49, s[2:3]
	v_cmp_eq_u32_e32 vcc, 8, v94
	v_cndmask_b32_e64 v65, v65, v48, s[2:3]
	v_cmp_eq_u32_e64 s[2:3], 9, v94
	v_cndmask_b32_e32 v64, v64, v51, vcc
	ds_read_b64 v[62:63], v61
	v_cndmask_b32_e64 v64, v64, v53, s[2:3]
	v_cndmask_b32_e32 v65, v65, v50, vcc
	v_cmp_eq_u32_e32 vcc, 10, v94
	v_cndmask_b32_e64 v65, v65, v52, s[2:3]
	v_cmp_eq_u32_e64 s[2:3], 11, v94
	v_cndmask_b32_e32 v64, v64, v55, vcc
	v_cmp_eq_u32_e64 s[4:5], 12, v94
	v_cndmask_b32_e64 v64, v64, v57, s[2:3]
	v_cndmask_b32_e32 v96, v65, v54, vcc
	v_cndmask_b32_e64 v65, v64, v59, s[4:5]
	v_cndmask_b32_e64 v64, v96, v56, s[2:3]
	v_cndmask_b32_e64 v64, v64, v58, s[4:5]
	v_add_u32_e32 v61, 8, v61
	v_lshl_add_u64 v[94:95], v[94:95], 0, 1
	s_waitcnt lgkmcnt(0)
	v_fmac_f64_e32 v[92:93], v[64:65], v[62:63]
	s_andn2_b64 exec, exec, s[10:11]
	s_cbranch_execnz .LBB12_29
; %bb.30:
	s_or_b64 exec, exec, s[10:11]
.LBB12_31:
	s_or_b64 exec, exec, s[8:9]
.LBB12_32:
	s_or_b64 exec, exec, s[6:7]
	v_mov_b32_e32 v52, 0
	ds_read_b64 v[52:53], v52 offset:72
	s_waitcnt lgkmcnt(0)
	v_mul_f64 v[52:53], v[92:93], v[52:53]
.LBB12_33:
	s_or_b64 exec, exec, s[28:29]
	v_cmp_lt_u32_e64 s[2:3], 8, v0
	ds_write_b64 v97, v[50:51]
	s_waitcnt lgkmcnt(0)
	; wave barrier
	s_and_saveexec_b64 s[28:29], s[2:3]
	s_cbranch_execz .LBB12_49
; %bb.34:
	s_andn2_b64 vcc, exec, s[26:27]
	s_cbranch_vccnz .LBB12_36
; %bb.35:
	v_cmp_eq_u32_e32 vcc, 1, v0
	v_cmp_eq_u32_e64 s[4:5], 2, v0
	v_cmp_eq_u32_e64 s[6:7], 3, v0
	v_cndmask_b32_e32 v92, v35, v37, vcc
	v_cndmask_b32_e64 v92, v92, v39, s[4:5]
	v_cndmask_b32_e64 v92, v92, v41, s[6:7]
	v_cmp_eq_u32_e64 s[8:9], 4, v0
	v_cmp_eq_u32_e64 s[10:11], 5, v0
	v_cmp_eq_u32_e64 s[12:13], 6, v0
	v_cndmask_b32_e64 v92, v92, v43, s[8:9]
	v_cndmask_b32_e64 v92, v92, v45, s[10:11]
	v_cndmask_b32_e64 v92, v92, v47, s[12:13]
	v_cmp_eq_u32_e64 s[14:15], 7, v0
	v_cmp_eq_u32_e64 s[16:17], 8, v0
	v_cmp_eq_u32_e64 s[18:19], 9, v0
	v_cndmask_b32_e64 v92, v92, v49, s[14:15]
	;; [unrolled: 6-line block ×3, first 2 shown]
	v_cndmask_b32_e64 v92, v92, v57, s[22:23]
	v_cndmask_b32_e64 v93, v92, v59, s[24:25]
	v_cndmask_b32_e32 v92, v34, v36, vcc
	v_cndmask_b32_e64 v92, v92, v38, s[4:5]
	v_cndmask_b32_e64 v92, v92, v40, s[6:7]
	;; [unrolled: 1-line block ×7, first 2 shown]
	ds_read_b64 v[94:95], v97
	v_cndmask_b32_e64 v92, v92, v52, s[18:19]
	v_cndmask_b32_e64 v92, v92, v54, s[20:21]
	;; [unrolled: 1-line block ×4, first 2 shown]
	s_waitcnt lgkmcnt(0)
	v_mul_f64 v[92:93], v[92:93], v[94:95]
	s_cbranch_execz .LBB12_37
	s_branch .LBB12_38
.LBB12_36:
                                        ; implicit-def: $vgpr92_vgpr93
.LBB12_37:
	ds_read_b64 v[92:93], v97
.LBB12_38:
	s_and_saveexec_b64 s[6:7], s[0:1]
	s_cbranch_execz .LBB12_48
; %bb.39:
	v_add_u32_e32 v94, -10, v0
	v_add_u32_e32 v95, -9, v0
	v_cmp_lt_u32_e32 vcc, 6, v94
	v_mov_b32_e32 v94, 9
	s_and_saveexec_b64 s[0:1], vcc
	s_cbranch_execz .LBB12_43
; %bb.40:
	v_and_b32_e32 v94, -8, v95
	v_sub_u32_e32 v96, 0, v94
	s_mov_b64 s[4:5], 16
	s_movk_i32 s10, 0xb8
	s_mov_b64 s[8:9], 0
.LBB12_41:                              ; =>This Inner Loop Header: Depth=1
	s_lshl_b32 s11, s4, 1
	s_add_i32 s12, s11, -13
	v_mov_b32_e32 v112, s10
	s_add_i32 s13, s11, -14
	s_set_gpr_idx_on s12, gpr_idx(SRC0)
	v_mov_b32_e32 v107, v34
	s_set_gpr_idx_off
	s_add_i32 s14, s11, -11
	s_set_gpr_idx_on s13, gpr_idx(SRC0)
	v_mov_b32_e32 v106, v34
	s_set_gpr_idx_off
	ds_read2_b64 v[98:101], v112 offset1:1
	s_add_i32 s15, s11, -12
	s_set_gpr_idx_on s14, gpr_idx(SRC0)
	v_mov_b32_e32 v109, v34
	s_set_gpr_idx_off
	s_add_i32 s16, s11, -9
	s_set_gpr_idx_on s15, gpr_idx(SRC0)
	v_mov_b32_e32 v108, v34
	s_set_gpr_idx_off
	;; [unrolled: 4-line block ×4, first 2 shown]
	ds_read2_b64 v[102:105], v112 offset0:2 offset1:3
	s_add_i32 s19, s11, -8
	s_waitcnt lgkmcnt(1)
	v_fmac_f64_e32 v[92:93], v[106:107], v[98:99]
	s_set_gpr_idx_on s18, gpr_idx(SRC0)
	v_mov_b32_e32 v107, v34
	s_set_gpr_idx_off
	s_add_i32 s20, s11, -5
	v_fmac_f64_e32 v[92:93], v[108:109], v[100:101]
	s_set_gpr_idx_on s19, gpr_idx(SRC0)
	v_mov_b32_e32 v106, v34
	s_set_gpr_idx_off
	s_add_i32 s21, s11, -6
	s_set_gpr_idx_on s20, gpr_idx(SRC0)
	v_mov_b32_e32 v109, v34
	s_set_gpr_idx_off
	s_add_i32 s22, s11, -3
	;; [unrolled: 4-line block ×3, first 2 shown]
	ds_read2_b64 v[98:101], v112 offset0:4 offset1:5
	s_waitcnt lgkmcnt(1)
	v_fmac_f64_e32 v[92:93], v[110:111], v[102:103]
	s_set_gpr_idx_on s22, gpr_idx(SRC0)
	v_mov_b32_e32 v111, v34
	s_set_gpr_idx_off
	s_add_i32 s24, s11, -1
	v_fmac_f64_e32 v[92:93], v[106:107], v[104:105]
	s_set_gpr_idx_on s23, gpr_idx(SRC0)
	v_mov_b32_e32 v110, v34
	s_set_gpr_idx_off
	s_add_i32 s25, s11, -2
	s_set_gpr_idx_on s24, gpr_idx(SRC0)
	v_mov_b32_e32 v107, v34
	s_set_gpr_idx_off
	s_set_gpr_idx_on s25, gpr_idx(SRC0)
	v_mov_b32_e32 v106, v34
	s_set_gpr_idx_off
	ds_read2_b64 v[102:105], v112 offset0:6 offset1:7
	s_add_u32 s4, s4, 8
	s_waitcnt lgkmcnt(1)
	v_fmac_f64_e32 v[92:93], v[108:109], v[98:99]
	s_set_gpr_idx_on s11, gpr_idx(SRC0)
	v_mov_b32_e32 v99, v35
	s_set_gpr_idx_off
	v_add_u32_e32 v94, s4, v96
	v_fmac_f64_e32 v[92:93], v[110:111], v[100:101]
	s_set_gpr_idx_on s11, gpr_idx(SRC0)
	v_mov_b32_e32 v98, v34
	s_set_gpr_idx_off
	s_addc_u32 s5, s5, 0
	s_add_i32 s10, s10, 64
	s_add_i32 s12, s4, -7
	v_cmp_eq_u32_e32 vcc, 16, v94
	s_waitcnt lgkmcnt(0)
	v_fmac_f64_e32 v[92:93], v[106:107], v[102:103]
	v_mov_b32_e32 v94, s12
	s_or_b64 s[8:9], vcc, s[8:9]
	v_fmac_f64_e32 v[92:93], v[98:99], v[104:105]
	s_andn2_b64 exec, exec, s[8:9]
	s_cbranch_execnz .LBB12_41
; %bb.42:
	s_or_b64 exec, exec, s[8:9]
.LBB12_43:
	s_or_b64 exec, exec, s[0:1]
	v_and_b32_e32 v60, 7, v95
	v_cmp_ne_u32_e32 vcc, 0, v60
	s_and_saveexec_b64 s[8:9], vcc
	s_cbranch_execz .LBB12_47
; %bb.44:
	v_mov_b32_e32 v61, 0x70
	v_lshl_add_u32 v61, v94, 3, v61
	v_mov_b32_e32 v95, 0
	s_mov_b64 s[10:11], 0
.LBB12_45:                              ; =>This Inner Loop Header: Depth=1
	v_cmp_eq_u32_e32 vcc, 1, v94
	v_add_u32_e32 v60, -1, v60
	v_cmp_eq_u32_e64 s[0:1], 2, v94
	v_cndmask_b32_e32 v64, v35, v37, vcc
	v_cndmask_b32_e32 v65, v34, v36, vcc
	v_cndmask_b32_e64 v64, v64, v39, s[0:1]
	v_cmp_eq_u32_e32 vcc, 0, v60
	v_cmp_eq_u32_e64 s[4:5], 3, v94
	v_cndmask_b32_e64 v65, v65, v38, s[0:1]
	s_or_b64 s[10:11], vcc, s[10:11]
	v_cndmask_b32_e64 v64, v64, v41, s[4:5]
	v_cmp_eq_u32_e32 vcc, 4, v94
	v_cndmask_b32_e64 v65, v65, v40, s[4:5]
	v_cmp_eq_u32_e64 s[0:1], 5, v94
	v_cndmask_b32_e32 v64, v64, v43, vcc
	v_cndmask_b32_e32 v65, v65, v42, vcc
	v_cndmask_b32_e64 v64, v64, v45, s[0:1]
	v_cmp_eq_u32_e32 vcc, 6, v94
	v_cndmask_b32_e64 v65, v65, v44, s[0:1]
	v_cmp_eq_u32_e64 s[0:1], 7, v94
	v_cndmask_b32_e32 v64, v64, v47, vcc
	v_cndmask_b32_e32 v65, v65, v46, vcc
	v_cndmask_b32_e64 v64, v64, v49, s[0:1]
	v_cmp_eq_u32_e32 vcc, 8, v94
	v_cndmask_b32_e64 v65, v65, v48, s[0:1]
	v_cmp_eq_u32_e64 s[0:1], 9, v94
	v_cndmask_b32_e32 v64, v64, v51, vcc
	ds_read_b64 v[62:63], v61
	v_cndmask_b32_e64 v64, v64, v53, s[0:1]
	v_cndmask_b32_e32 v65, v65, v50, vcc
	v_cmp_eq_u32_e32 vcc, 10, v94
	v_cndmask_b32_e64 v65, v65, v52, s[0:1]
	v_cmp_eq_u32_e64 s[0:1], 11, v94
	v_cndmask_b32_e32 v64, v64, v55, vcc
	v_cmp_eq_u32_e64 s[4:5], 12, v94
	v_cndmask_b32_e64 v64, v64, v57, s[0:1]
	v_cndmask_b32_e32 v96, v65, v54, vcc
	v_cndmask_b32_e64 v65, v64, v59, s[4:5]
	v_cndmask_b32_e64 v64, v96, v56, s[0:1]
	;; [unrolled: 1-line block ×3, first 2 shown]
	v_add_u32_e32 v61, 8, v61
	v_lshl_add_u64 v[94:95], v[94:95], 0, 1
	s_waitcnt lgkmcnt(0)
	v_fmac_f64_e32 v[92:93], v[64:65], v[62:63]
	s_andn2_b64 exec, exec, s[10:11]
	s_cbranch_execnz .LBB12_45
; %bb.46:
	s_or_b64 exec, exec, s[10:11]
.LBB12_47:
	s_or_b64 exec, exec, s[8:9]
.LBB12_48:
	s_or_b64 exec, exec, s[6:7]
	v_mov_b32_e32 v50, 0
	ds_read_b64 v[50:51], v50 offset:64
	s_waitcnt lgkmcnt(0)
	v_mul_f64 v[50:51], v[92:93], v[50:51]
.LBB12_49:
	s_or_b64 exec, exec, s[28:29]
	v_cmp_lt_u32_e64 s[4:5], 7, v0
	ds_write_b64 v97, v[48:49]
	s_waitcnt lgkmcnt(0)
	; wave barrier
	s_and_saveexec_b64 s[28:29], s[4:5]
	s_cbranch_execz .LBB12_65
; %bb.50:
	s_andn2_b64 vcc, exec, s[26:27]
	s_cbranch_vccnz .LBB12_52
; %bb.51:
	v_cmp_eq_u32_e32 vcc, 1, v0
	v_cmp_eq_u32_e64 s[0:1], 2, v0
	v_cmp_eq_u32_e64 s[6:7], 3, v0
	v_cndmask_b32_e32 v92, v35, v37, vcc
	v_cndmask_b32_e64 v92, v92, v39, s[0:1]
	v_cndmask_b32_e64 v92, v92, v41, s[6:7]
	v_cmp_eq_u32_e64 s[8:9], 4, v0
	v_cmp_eq_u32_e64 s[10:11], 5, v0
	v_cmp_eq_u32_e64 s[12:13], 6, v0
	v_cndmask_b32_e64 v92, v92, v43, s[8:9]
	v_cndmask_b32_e64 v92, v92, v45, s[10:11]
	v_cndmask_b32_e64 v92, v92, v47, s[12:13]
	v_cmp_eq_u32_e64 s[14:15], 7, v0
	v_cmp_eq_u32_e64 s[16:17], 8, v0
	v_cmp_eq_u32_e64 s[18:19], 9, v0
	v_cndmask_b32_e64 v92, v92, v49, s[14:15]
	;; [unrolled: 6-line block ×3, first 2 shown]
	v_cndmask_b32_e64 v92, v92, v57, s[22:23]
	v_cndmask_b32_e64 v93, v92, v59, s[24:25]
	v_cndmask_b32_e32 v92, v34, v36, vcc
	v_cndmask_b32_e64 v92, v92, v38, s[0:1]
	v_cndmask_b32_e64 v92, v92, v40, s[6:7]
	;; [unrolled: 1-line block ×7, first 2 shown]
	ds_read_b64 v[94:95], v97
	v_cndmask_b32_e64 v92, v92, v52, s[18:19]
	v_cndmask_b32_e64 v92, v92, v54, s[20:21]
	;; [unrolled: 1-line block ×4, first 2 shown]
	s_waitcnt lgkmcnt(0)
	v_mul_f64 v[92:93], v[92:93], v[94:95]
	s_cbranch_execz .LBB12_53
	s_branch .LBB12_54
.LBB12_52:
                                        ; implicit-def: $vgpr92_vgpr93
.LBB12_53:
	ds_read_b64 v[92:93], v97
.LBB12_54:
	s_and_saveexec_b64 s[6:7], s[2:3]
	s_cbranch_execz .LBB12_64
; %bb.55:
	v_add_u32_e32 v94, -9, v0
	v_cmp_lt_u32_e32 vcc, 6, v94
	v_mov_b32_e32 v94, 8
	s_and_saveexec_b64 s[0:1], vcc
	s_cbranch_execz .LBB12_59
; %bb.56:
	v_and_b32_e32 v94, 8, v0
	v_sub_u32_e32 v96, 0, v94
	s_mov_b64 s[2:3], 15
	s_movk_i32 s10, 0xb0
	s_mov_b64 s[8:9], 0
.LBB12_57:                              ; =>This Inner Loop Header: Depth=1
	s_lshl_b32 s11, s2, 1
	s_add_i32 s12, s11, -13
	s_add_i32 s13, s11, -14
	s_set_gpr_idx_on s12, gpr_idx(SRC0)
	v_mov_b32_e32 v115, v34
	s_set_gpr_idx_off
	v_mov_b32_e32 v94, s10
	s_add_i32 s14, s11, -11
	s_set_gpr_idx_on s13, gpr_idx(SRC0)
	v_mov_b32_e32 v114, v34
	s_set_gpr_idx_off
	s_add_i32 s15, s11, -12
	ds_read_b128 v[98:101], v94
	ds_read_b128 v[102:105], v94 offset:16
	ds_read_b128 v[106:109], v94 offset:32
	;; [unrolled: 1-line block ×3, first 2 shown]
	s_set_gpr_idx_on s14, gpr_idx(SRC0)
	v_mov_b32_e32 v117, v34
	s_set_gpr_idx_off
	s_add_i32 s16, s11, -9
	s_set_gpr_idx_on s15, gpr_idx(SRC0)
	v_mov_b32_e32 v116, v34
	s_set_gpr_idx_off
	s_add_i32 s17, s11, -10
	s_set_gpr_idx_on s16, gpr_idx(SRC0)
	v_mov_b32_e32 v119, v34
	s_set_gpr_idx_off
	s_add_i32 s18, s11, -7
	s_set_gpr_idx_on s17, gpr_idx(SRC0)
	v_mov_b32_e32 v118, v34
	s_set_gpr_idx_off
	s_add_i32 s19, s11, -8
	s_waitcnt lgkmcnt(3)
	v_fmac_f64_e32 v[92:93], v[114:115], v[98:99]
	s_set_gpr_idx_on s18, gpr_idx(SRC0)
	v_mov_b32_e32 v99, v34
	s_set_gpr_idx_off
	s_add_i32 s20, s11, -5
	v_fmac_f64_e32 v[92:93], v[116:117], v[100:101]
	s_set_gpr_idx_on s19, gpr_idx(SRC0)
	v_mov_b32_e32 v98, v34
	s_set_gpr_idx_off
	s_add_i32 s21, s11, -6
	s_waitcnt lgkmcnt(2)
	v_fmac_f64_e32 v[92:93], v[118:119], v[102:103]
	s_set_gpr_idx_on s20, gpr_idx(SRC0)
	v_mov_b32_e32 v101, v34
	s_set_gpr_idx_off
	s_add_i32 s22, s11, -3
	v_fmac_f64_e32 v[92:93], v[98:99], v[104:105]
	s_set_gpr_idx_on s21, gpr_idx(SRC0)
	v_mov_b32_e32 v100, v34
	s_set_gpr_idx_off
	s_add_i32 s23, s11, -4
	s_waitcnt lgkmcnt(1)
	v_fmac_f64_e32 v[92:93], v[100:101], v[106:107]
	s_set_gpr_idx_on s22, gpr_idx(SRC0)
	v_mov_b32_e32 v99, v34
	s_set_gpr_idx_off
	s_add_i32 s24, s11, -1
	s_set_gpr_idx_on s23, gpr_idx(SRC0)
	v_mov_b32_e32 v98, v34
	s_set_gpr_idx_off
	s_add_i32 s25, s11, -2
	v_fmac_f64_e32 v[92:93], v[98:99], v[108:109]
	s_set_gpr_idx_on s24, gpr_idx(SRC0)
	v_mov_b32_e32 v99, v34
	s_set_gpr_idx_off
	s_add_u32 s2, s2, 8
	s_set_gpr_idx_on s25, gpr_idx(SRC0)
	v_mov_b32_e32 v98, v34
	s_set_gpr_idx_off
	v_add_u32_e32 v94, s2, v96
	s_waitcnt lgkmcnt(0)
	v_fmac_f64_e32 v[92:93], v[98:99], v[110:111]
	s_set_gpr_idx_on s11, gpr_idx(SRC0)
	v_mov_b32_e32 v99, v35
	s_set_gpr_idx_off
	s_addc_u32 s3, s3, 0
	s_add_i32 s10, s10, 64
	s_add_i32 s12, s2, -7
	v_cmp_eq_u32_e32 vcc, 7, v94
	s_set_gpr_idx_on s11, gpr_idx(SRC0)
	v_mov_b32_e32 v98, v34
	s_set_gpr_idx_off
	v_mov_b32_e32 v94, s12
	s_or_b64 s[8:9], vcc, s[8:9]
	v_fmac_f64_e32 v[92:93], v[98:99], v[112:113]
	s_andn2_b64 exec, exec, s[8:9]
	s_cbranch_execnz .LBB12_57
; %bb.58:
	s_or_b64 exec, exec, s[8:9]
.LBB12_59:
	s_or_b64 exec, exec, s[0:1]
	v_and_b32_e32 v60, 7, v0
	v_cmp_ne_u32_e32 vcc, 0, v60
	s_and_saveexec_b64 s[8:9], vcc
	s_cbranch_execz .LBB12_63
; %bb.60:
	v_mov_b32_e32 v61, 0x70
	v_lshl_add_u32 v61, v94, 3, v61
	v_mov_b32_e32 v95, 0
	s_mov_b64 s[10:11], 0
.LBB12_61:                              ; =>This Inner Loop Header: Depth=1
	v_cmp_eq_u32_e32 vcc, 1, v94
	v_add_u32_e32 v60, -1, v60
	v_cmp_eq_u32_e64 s[0:1], 2, v94
	v_cndmask_b32_e32 v64, v35, v37, vcc
	v_cndmask_b32_e32 v65, v34, v36, vcc
	v_cndmask_b32_e64 v64, v64, v39, s[0:1]
	v_cmp_eq_u32_e32 vcc, 0, v60
	v_cmp_eq_u32_e64 s[2:3], 3, v94
	v_cndmask_b32_e64 v65, v65, v38, s[0:1]
	s_or_b64 s[10:11], vcc, s[10:11]
	v_cndmask_b32_e64 v64, v64, v41, s[2:3]
	v_cmp_eq_u32_e32 vcc, 4, v94
	v_cndmask_b32_e64 v65, v65, v40, s[2:3]
	v_cmp_eq_u32_e64 s[0:1], 5, v94
	v_cndmask_b32_e32 v64, v64, v43, vcc
	v_cndmask_b32_e32 v65, v65, v42, vcc
	v_cndmask_b32_e64 v64, v64, v45, s[0:1]
	v_cmp_eq_u32_e32 vcc, 6, v94
	v_cndmask_b32_e64 v65, v65, v44, s[0:1]
	v_cmp_eq_u32_e64 s[0:1], 7, v94
	v_cndmask_b32_e32 v64, v64, v47, vcc
	v_cndmask_b32_e32 v65, v65, v46, vcc
	v_cndmask_b32_e64 v64, v64, v49, s[0:1]
	v_cmp_eq_u32_e32 vcc, 8, v94
	v_cndmask_b32_e64 v65, v65, v48, s[0:1]
	v_cmp_eq_u32_e64 s[0:1], 9, v94
	v_cndmask_b32_e32 v64, v64, v51, vcc
	ds_read_b64 v[62:63], v61
	v_cndmask_b32_e64 v64, v64, v53, s[0:1]
	v_cndmask_b32_e32 v65, v65, v50, vcc
	v_cmp_eq_u32_e32 vcc, 10, v94
	v_cndmask_b32_e64 v65, v65, v52, s[0:1]
	v_cmp_eq_u32_e64 s[0:1], 11, v94
	v_cndmask_b32_e32 v64, v64, v55, vcc
	v_cmp_eq_u32_e64 s[2:3], 12, v94
	v_cndmask_b32_e64 v64, v64, v57, s[0:1]
	v_cndmask_b32_e32 v96, v65, v54, vcc
	v_cndmask_b32_e64 v65, v64, v59, s[2:3]
	v_cndmask_b32_e64 v64, v96, v56, s[0:1]
	;; [unrolled: 1-line block ×3, first 2 shown]
	v_add_u32_e32 v61, 8, v61
	v_lshl_add_u64 v[94:95], v[94:95], 0, 1
	s_waitcnt lgkmcnt(0)
	v_fmac_f64_e32 v[92:93], v[64:65], v[62:63]
	s_andn2_b64 exec, exec, s[10:11]
	s_cbranch_execnz .LBB12_61
; %bb.62:
	s_or_b64 exec, exec, s[10:11]
.LBB12_63:
	s_or_b64 exec, exec, s[8:9]
.LBB12_64:
	s_or_b64 exec, exec, s[6:7]
	v_mov_b32_e32 v48, 0
	ds_read_b64 v[48:49], v48 offset:56
	s_waitcnt lgkmcnt(0)
	v_mul_f64 v[48:49], v[92:93], v[48:49]
.LBB12_65:
	s_or_b64 exec, exec, s[28:29]
	v_cmp_lt_u32_e64 s[0:1], 6, v0
	ds_write_b64 v97, v[46:47]
	s_waitcnt lgkmcnt(0)
	; wave barrier
	s_and_saveexec_b64 s[28:29], s[0:1]
	s_cbranch_execz .LBB12_81
; %bb.66:
	s_andn2_b64 vcc, exec, s[26:27]
	s_cbranch_vccnz .LBB12_68
; %bb.67:
	v_cmp_eq_u32_e32 vcc, 1, v0
	v_cmp_eq_u32_e64 s[2:3], 2, v0
	v_cmp_eq_u32_e64 s[6:7], 3, v0
	v_cndmask_b32_e32 v92, v35, v37, vcc
	v_cndmask_b32_e64 v92, v92, v39, s[2:3]
	v_cndmask_b32_e64 v92, v92, v41, s[6:7]
	v_cmp_eq_u32_e64 s[8:9], 4, v0
	v_cmp_eq_u32_e64 s[10:11], 5, v0
	v_cmp_eq_u32_e64 s[12:13], 6, v0
	v_cndmask_b32_e64 v92, v92, v43, s[8:9]
	v_cndmask_b32_e64 v92, v92, v45, s[10:11]
	v_cndmask_b32_e64 v92, v92, v47, s[12:13]
	v_cmp_eq_u32_e64 s[14:15], 7, v0
	v_cmp_eq_u32_e64 s[16:17], 8, v0
	v_cmp_eq_u32_e64 s[18:19], 9, v0
	v_cndmask_b32_e64 v92, v92, v49, s[14:15]
	;; [unrolled: 6-line block ×3, first 2 shown]
	v_cndmask_b32_e64 v92, v92, v57, s[22:23]
	v_cndmask_b32_e64 v93, v92, v59, s[24:25]
	v_cndmask_b32_e32 v92, v34, v36, vcc
	v_cndmask_b32_e64 v92, v92, v38, s[2:3]
	v_cndmask_b32_e64 v92, v92, v40, s[6:7]
	;; [unrolled: 1-line block ×7, first 2 shown]
	ds_read_b64 v[94:95], v97
	v_cndmask_b32_e64 v92, v92, v52, s[18:19]
	v_cndmask_b32_e64 v92, v92, v54, s[20:21]
	;; [unrolled: 1-line block ×4, first 2 shown]
	s_waitcnt lgkmcnt(0)
	v_mul_f64 v[92:93], v[92:93], v[94:95]
	s_cbranch_execz .LBB12_69
	s_branch .LBB12_70
.LBB12_68:
                                        ; implicit-def: $vgpr92_vgpr93
.LBB12_69:
	ds_read_b64 v[92:93], v97
.LBB12_70:
	s_and_saveexec_b64 s[6:7], s[4:5]
	s_cbranch_execz .LBB12_80
; %bb.71:
	v_add_u32_e32 v94, -8, v0
	v_add_u32_e32 v95, -7, v0
	v_cmp_lt_u32_e32 vcc, 6, v94
	v_mov_b32_e32 v94, 7
	s_and_saveexec_b64 s[2:3], vcc
	s_cbranch_execz .LBB12_75
; %bb.72:
	v_and_b32_e32 v94, -8, v95
	v_sub_u32_e32 v96, 0, v94
	s_mov_b64 s[4:5], 14
	s_movk_i32 s10, 0xa8
	s_mov_b64 s[8:9], 0
.LBB12_73:                              ; =>This Inner Loop Header: Depth=1
	s_lshl_b32 s11, s4, 1
	s_add_i32 s12, s11, -13
	v_mov_b32_e32 v112, s10
	s_add_i32 s13, s11, -14
	s_set_gpr_idx_on s12, gpr_idx(SRC0)
	v_mov_b32_e32 v107, v34
	s_set_gpr_idx_off
	s_add_i32 s14, s11, -11
	s_set_gpr_idx_on s13, gpr_idx(SRC0)
	v_mov_b32_e32 v106, v34
	s_set_gpr_idx_off
	ds_read2_b64 v[98:101], v112 offset1:1
	s_add_i32 s15, s11, -12
	s_set_gpr_idx_on s14, gpr_idx(SRC0)
	v_mov_b32_e32 v109, v34
	s_set_gpr_idx_off
	s_add_i32 s16, s11, -9
	s_set_gpr_idx_on s15, gpr_idx(SRC0)
	v_mov_b32_e32 v108, v34
	s_set_gpr_idx_off
	;; [unrolled: 4-line block ×4, first 2 shown]
	ds_read2_b64 v[102:105], v112 offset0:2 offset1:3
	s_add_i32 s19, s11, -8
	s_waitcnt lgkmcnt(1)
	v_fmac_f64_e32 v[92:93], v[106:107], v[98:99]
	s_set_gpr_idx_on s18, gpr_idx(SRC0)
	v_mov_b32_e32 v107, v34
	s_set_gpr_idx_off
	s_add_i32 s20, s11, -5
	v_fmac_f64_e32 v[92:93], v[108:109], v[100:101]
	s_set_gpr_idx_on s19, gpr_idx(SRC0)
	v_mov_b32_e32 v106, v34
	s_set_gpr_idx_off
	s_add_i32 s21, s11, -6
	s_set_gpr_idx_on s20, gpr_idx(SRC0)
	v_mov_b32_e32 v109, v34
	s_set_gpr_idx_off
	s_add_i32 s22, s11, -3
	;; [unrolled: 4-line block ×3, first 2 shown]
	ds_read2_b64 v[98:101], v112 offset0:4 offset1:5
	s_waitcnt lgkmcnt(1)
	v_fmac_f64_e32 v[92:93], v[110:111], v[102:103]
	s_set_gpr_idx_on s22, gpr_idx(SRC0)
	v_mov_b32_e32 v111, v34
	s_set_gpr_idx_off
	s_add_i32 s24, s11, -1
	v_fmac_f64_e32 v[92:93], v[106:107], v[104:105]
	s_set_gpr_idx_on s23, gpr_idx(SRC0)
	v_mov_b32_e32 v110, v34
	s_set_gpr_idx_off
	s_add_i32 s25, s11, -2
	s_set_gpr_idx_on s24, gpr_idx(SRC0)
	v_mov_b32_e32 v107, v34
	s_set_gpr_idx_off
	s_set_gpr_idx_on s25, gpr_idx(SRC0)
	v_mov_b32_e32 v106, v34
	s_set_gpr_idx_off
	ds_read2_b64 v[102:105], v112 offset0:6 offset1:7
	s_add_u32 s4, s4, 8
	s_waitcnt lgkmcnt(1)
	v_fmac_f64_e32 v[92:93], v[108:109], v[98:99]
	s_set_gpr_idx_on s11, gpr_idx(SRC0)
	v_mov_b32_e32 v99, v35
	s_set_gpr_idx_off
	v_add_u32_e32 v94, s4, v96
	v_fmac_f64_e32 v[92:93], v[110:111], v[100:101]
	s_set_gpr_idx_on s11, gpr_idx(SRC0)
	v_mov_b32_e32 v98, v34
	s_set_gpr_idx_off
	s_addc_u32 s5, s5, 0
	s_add_i32 s10, s10, 64
	s_add_i32 s12, s4, -7
	v_cmp_eq_u32_e32 vcc, 14, v94
	s_waitcnt lgkmcnt(0)
	v_fmac_f64_e32 v[92:93], v[106:107], v[102:103]
	v_mov_b32_e32 v94, s12
	s_or_b64 s[8:9], vcc, s[8:9]
	v_fmac_f64_e32 v[92:93], v[98:99], v[104:105]
	s_andn2_b64 exec, exec, s[8:9]
	s_cbranch_execnz .LBB12_73
; %bb.74:
	s_or_b64 exec, exec, s[8:9]
.LBB12_75:
	s_or_b64 exec, exec, s[2:3]
	v_and_b32_e32 v60, 7, v95
	v_cmp_ne_u32_e32 vcc, 0, v60
	s_and_saveexec_b64 s[8:9], vcc
	s_cbranch_execz .LBB12_79
; %bb.76:
	v_mov_b32_e32 v61, 0x70
	v_lshl_add_u32 v61, v94, 3, v61
	v_mov_b32_e32 v95, 0
	s_mov_b64 s[10:11], 0
.LBB12_77:                              ; =>This Inner Loop Header: Depth=1
	v_cmp_eq_u32_e32 vcc, 1, v94
	v_add_u32_e32 v60, -1, v60
	v_cmp_eq_u32_e64 s[2:3], 2, v94
	v_cndmask_b32_e32 v64, v35, v37, vcc
	v_cndmask_b32_e32 v65, v34, v36, vcc
	v_cndmask_b32_e64 v64, v64, v39, s[2:3]
	v_cmp_eq_u32_e32 vcc, 0, v60
	v_cmp_eq_u32_e64 s[4:5], 3, v94
	v_cndmask_b32_e64 v65, v65, v38, s[2:3]
	s_or_b64 s[10:11], vcc, s[10:11]
	v_cndmask_b32_e64 v64, v64, v41, s[4:5]
	v_cmp_eq_u32_e32 vcc, 4, v94
	v_cndmask_b32_e64 v65, v65, v40, s[4:5]
	v_cmp_eq_u32_e64 s[2:3], 5, v94
	v_cndmask_b32_e32 v64, v64, v43, vcc
	v_cndmask_b32_e32 v65, v65, v42, vcc
	v_cndmask_b32_e64 v64, v64, v45, s[2:3]
	v_cmp_eq_u32_e32 vcc, 6, v94
	v_cndmask_b32_e64 v65, v65, v44, s[2:3]
	v_cmp_eq_u32_e64 s[2:3], 7, v94
	v_cndmask_b32_e32 v64, v64, v47, vcc
	v_cndmask_b32_e32 v65, v65, v46, vcc
	v_cndmask_b32_e64 v64, v64, v49, s[2:3]
	v_cmp_eq_u32_e32 vcc, 8, v94
	v_cndmask_b32_e64 v65, v65, v48, s[2:3]
	v_cmp_eq_u32_e64 s[2:3], 9, v94
	v_cndmask_b32_e32 v64, v64, v51, vcc
	ds_read_b64 v[62:63], v61
	v_cndmask_b32_e64 v64, v64, v53, s[2:3]
	v_cndmask_b32_e32 v65, v65, v50, vcc
	v_cmp_eq_u32_e32 vcc, 10, v94
	v_cndmask_b32_e64 v65, v65, v52, s[2:3]
	v_cmp_eq_u32_e64 s[2:3], 11, v94
	v_cndmask_b32_e32 v64, v64, v55, vcc
	v_cmp_eq_u32_e64 s[4:5], 12, v94
	v_cndmask_b32_e64 v64, v64, v57, s[2:3]
	v_cndmask_b32_e32 v96, v65, v54, vcc
	v_cndmask_b32_e64 v65, v64, v59, s[4:5]
	v_cndmask_b32_e64 v64, v96, v56, s[2:3]
	;; [unrolled: 1-line block ×3, first 2 shown]
	v_add_u32_e32 v61, 8, v61
	v_lshl_add_u64 v[94:95], v[94:95], 0, 1
	s_waitcnt lgkmcnt(0)
	v_fmac_f64_e32 v[92:93], v[64:65], v[62:63]
	s_andn2_b64 exec, exec, s[10:11]
	s_cbranch_execnz .LBB12_77
; %bb.78:
	s_or_b64 exec, exec, s[10:11]
.LBB12_79:
	s_or_b64 exec, exec, s[8:9]
.LBB12_80:
	s_or_b64 exec, exec, s[6:7]
	v_mov_b32_e32 v46, 0
	ds_read_b64 v[46:47], v46 offset:48
	s_waitcnt lgkmcnt(0)
	v_mul_f64 v[46:47], v[92:93], v[46:47]
.LBB12_81:
	s_or_b64 exec, exec, s[28:29]
	v_cmp_lt_u32_e64 s[2:3], 5, v0
	ds_write_b64 v97, v[44:45]
	s_waitcnt lgkmcnt(0)
	; wave barrier
	s_and_saveexec_b64 s[28:29], s[2:3]
	s_cbranch_execz .LBB12_97
; %bb.82:
	s_andn2_b64 vcc, exec, s[26:27]
	s_cbranch_vccnz .LBB12_84
; %bb.83:
	v_cmp_eq_u32_e32 vcc, 1, v0
	v_cmp_eq_u32_e64 s[4:5], 2, v0
	v_cmp_eq_u32_e64 s[6:7], 3, v0
	v_cndmask_b32_e32 v92, v35, v37, vcc
	v_cndmask_b32_e64 v92, v92, v39, s[4:5]
	v_cndmask_b32_e64 v92, v92, v41, s[6:7]
	v_cmp_eq_u32_e64 s[8:9], 4, v0
	v_cmp_eq_u32_e64 s[10:11], 5, v0
	v_cmp_eq_u32_e64 s[12:13], 6, v0
	v_cndmask_b32_e64 v92, v92, v43, s[8:9]
	v_cndmask_b32_e64 v92, v92, v45, s[10:11]
	v_cndmask_b32_e64 v92, v92, v47, s[12:13]
	v_cmp_eq_u32_e64 s[14:15], 7, v0
	v_cmp_eq_u32_e64 s[16:17], 8, v0
	v_cmp_eq_u32_e64 s[18:19], 9, v0
	v_cndmask_b32_e64 v92, v92, v49, s[14:15]
	;; [unrolled: 6-line block ×3, first 2 shown]
	v_cndmask_b32_e64 v92, v92, v57, s[22:23]
	v_cndmask_b32_e64 v93, v92, v59, s[24:25]
	v_cndmask_b32_e32 v92, v34, v36, vcc
	v_cndmask_b32_e64 v92, v92, v38, s[4:5]
	v_cndmask_b32_e64 v92, v92, v40, s[6:7]
	;; [unrolled: 1-line block ×7, first 2 shown]
	ds_read_b64 v[94:95], v97
	v_cndmask_b32_e64 v92, v92, v52, s[18:19]
	v_cndmask_b32_e64 v92, v92, v54, s[20:21]
	;; [unrolled: 1-line block ×4, first 2 shown]
	s_waitcnt lgkmcnt(0)
	v_mul_f64 v[92:93], v[92:93], v[94:95]
	s_cbranch_execz .LBB12_85
	s_branch .LBB12_86
.LBB12_84:
                                        ; implicit-def: $vgpr92_vgpr93
.LBB12_85:
	ds_read_b64 v[92:93], v97
.LBB12_86:
	s_and_saveexec_b64 s[6:7], s[0:1]
	s_cbranch_execz .LBB12_96
; %bb.87:
	v_add_u32_e32 v96, -7, v0
	v_add_u32_e32 v95, -6, v0
	v_mov_b32_e32 v94, 6
	v_cmp_lt_u32_e32 vcc, 6, v96
	s_and_saveexec_b64 s[0:1], vcc
	s_cbranch_execz .LBB12_91
; %bb.88:
	v_and_b32_e32 v94, -8, v95
	v_sub_u32_e32 v96, 0, v94
	s_mov_b64 s[4:5], 13
	s_movk_i32 s10, 0xa0
	s_mov_b64 s[8:9], 0
.LBB12_89:                              ; =>This Inner Loop Header: Depth=1
	s_lshl_b32 s11, s4, 1
	s_add_i32 s12, s11, -13
	s_add_i32 s13, s11, -14
	s_set_gpr_idx_on s12, gpr_idx(SRC0)
	v_mov_b32_e32 v115, v34
	s_set_gpr_idx_off
	v_mov_b32_e32 v94, s10
	s_add_i32 s14, s11, -11
	s_set_gpr_idx_on s13, gpr_idx(SRC0)
	v_mov_b32_e32 v114, v34
	s_set_gpr_idx_off
	s_add_i32 s15, s11, -12
	ds_read_b128 v[98:101], v94
	ds_read_b128 v[102:105], v94 offset:16
	ds_read_b128 v[106:109], v94 offset:32
	;; [unrolled: 1-line block ×3, first 2 shown]
	s_set_gpr_idx_on s14, gpr_idx(SRC0)
	v_mov_b32_e32 v117, v34
	s_set_gpr_idx_off
	s_add_i32 s16, s11, -9
	s_set_gpr_idx_on s15, gpr_idx(SRC0)
	v_mov_b32_e32 v116, v34
	s_set_gpr_idx_off
	s_add_i32 s17, s11, -10
	;; [unrolled: 4-line block ×4, first 2 shown]
	s_waitcnt lgkmcnt(3)
	v_fmac_f64_e32 v[92:93], v[114:115], v[98:99]
	s_set_gpr_idx_on s18, gpr_idx(SRC0)
	v_mov_b32_e32 v99, v34
	s_set_gpr_idx_off
	s_add_i32 s20, s11, -5
	v_fmac_f64_e32 v[92:93], v[116:117], v[100:101]
	s_set_gpr_idx_on s19, gpr_idx(SRC0)
	v_mov_b32_e32 v98, v34
	s_set_gpr_idx_off
	s_add_i32 s21, s11, -6
	s_waitcnt lgkmcnt(2)
	v_fmac_f64_e32 v[92:93], v[118:119], v[102:103]
	s_set_gpr_idx_on s20, gpr_idx(SRC0)
	v_mov_b32_e32 v101, v34
	s_set_gpr_idx_off
	s_add_i32 s22, s11, -3
	v_fmac_f64_e32 v[92:93], v[98:99], v[104:105]
	s_set_gpr_idx_on s21, gpr_idx(SRC0)
	v_mov_b32_e32 v100, v34
	s_set_gpr_idx_off
	s_add_i32 s23, s11, -4
	s_waitcnt lgkmcnt(1)
	v_fmac_f64_e32 v[92:93], v[100:101], v[106:107]
	s_set_gpr_idx_on s22, gpr_idx(SRC0)
	v_mov_b32_e32 v99, v34
	s_set_gpr_idx_off
	s_add_i32 s24, s11, -1
	s_set_gpr_idx_on s23, gpr_idx(SRC0)
	v_mov_b32_e32 v98, v34
	s_set_gpr_idx_off
	s_add_i32 s25, s11, -2
	v_fmac_f64_e32 v[92:93], v[98:99], v[108:109]
	s_set_gpr_idx_on s24, gpr_idx(SRC0)
	v_mov_b32_e32 v99, v34
	s_set_gpr_idx_off
	s_add_u32 s4, s4, 8
	s_set_gpr_idx_on s25, gpr_idx(SRC0)
	v_mov_b32_e32 v98, v34
	s_set_gpr_idx_off
	v_add_u32_e32 v94, s4, v96
	s_waitcnt lgkmcnt(0)
	v_fmac_f64_e32 v[92:93], v[98:99], v[110:111]
	s_set_gpr_idx_on s11, gpr_idx(SRC0)
	v_mov_b32_e32 v99, v35
	s_set_gpr_idx_off
	s_addc_u32 s5, s5, 0
	s_add_i32 s10, s10, 64
	s_add_i32 s12, s4, -7
	v_cmp_eq_u32_e32 vcc, 13, v94
	s_set_gpr_idx_on s11, gpr_idx(SRC0)
	v_mov_b32_e32 v98, v34
	s_set_gpr_idx_off
	v_mov_b32_e32 v94, s12
	s_or_b64 s[8:9], vcc, s[8:9]
	v_fmac_f64_e32 v[92:93], v[98:99], v[112:113]
	s_andn2_b64 exec, exec, s[8:9]
	s_cbranch_execnz .LBB12_89
; %bb.90:
	s_or_b64 exec, exec, s[8:9]
.LBB12_91:
	s_or_b64 exec, exec, s[0:1]
	v_and_b32_e32 v60, 7, v95
	v_cmp_ne_u32_e32 vcc, 0, v60
	s_and_saveexec_b64 s[8:9], vcc
	s_cbranch_execz .LBB12_95
; %bb.92:
	v_mov_b32_e32 v61, 0x70
	v_lshl_add_u32 v61, v94, 3, v61
	v_mov_b32_e32 v95, 0
	s_mov_b64 s[10:11], 0
.LBB12_93:                              ; =>This Inner Loop Header: Depth=1
	v_cmp_eq_u32_e32 vcc, 1, v94
	v_add_u32_e32 v60, -1, v60
	v_cmp_eq_u32_e64 s[0:1], 2, v94
	v_cndmask_b32_e32 v64, v35, v37, vcc
	v_cndmask_b32_e32 v65, v34, v36, vcc
	v_cndmask_b32_e64 v64, v64, v39, s[0:1]
	v_cmp_eq_u32_e32 vcc, 0, v60
	v_cmp_eq_u32_e64 s[4:5], 3, v94
	v_cndmask_b32_e64 v65, v65, v38, s[0:1]
	s_or_b64 s[10:11], vcc, s[10:11]
	v_cndmask_b32_e64 v64, v64, v41, s[4:5]
	v_cmp_eq_u32_e32 vcc, 4, v94
	v_cndmask_b32_e64 v65, v65, v40, s[4:5]
	v_cmp_eq_u32_e64 s[0:1], 5, v94
	v_cndmask_b32_e32 v64, v64, v43, vcc
	v_cndmask_b32_e32 v65, v65, v42, vcc
	v_cndmask_b32_e64 v64, v64, v45, s[0:1]
	v_cmp_eq_u32_e32 vcc, 6, v94
	v_cndmask_b32_e64 v65, v65, v44, s[0:1]
	v_cmp_eq_u32_e64 s[0:1], 7, v94
	v_cndmask_b32_e32 v64, v64, v47, vcc
	v_cndmask_b32_e32 v65, v65, v46, vcc
	v_cndmask_b32_e64 v64, v64, v49, s[0:1]
	v_cmp_eq_u32_e32 vcc, 8, v94
	v_cndmask_b32_e64 v65, v65, v48, s[0:1]
	v_cmp_eq_u32_e64 s[0:1], 9, v94
	v_cndmask_b32_e32 v64, v64, v51, vcc
	ds_read_b64 v[62:63], v61
	v_cndmask_b32_e64 v64, v64, v53, s[0:1]
	v_cndmask_b32_e32 v65, v65, v50, vcc
	v_cmp_eq_u32_e32 vcc, 10, v94
	v_cndmask_b32_e64 v65, v65, v52, s[0:1]
	v_cmp_eq_u32_e64 s[0:1], 11, v94
	v_cndmask_b32_e32 v64, v64, v55, vcc
	v_cmp_eq_u32_e64 s[4:5], 12, v94
	v_cndmask_b32_e64 v64, v64, v57, s[0:1]
	v_cndmask_b32_e32 v96, v65, v54, vcc
	v_cndmask_b32_e64 v65, v64, v59, s[4:5]
	v_cndmask_b32_e64 v64, v96, v56, s[0:1]
	;; [unrolled: 1-line block ×3, first 2 shown]
	v_add_u32_e32 v61, 8, v61
	v_lshl_add_u64 v[94:95], v[94:95], 0, 1
	s_waitcnt lgkmcnt(0)
	v_fmac_f64_e32 v[92:93], v[64:65], v[62:63]
	s_andn2_b64 exec, exec, s[10:11]
	s_cbranch_execnz .LBB12_93
; %bb.94:
	s_or_b64 exec, exec, s[10:11]
.LBB12_95:
	s_or_b64 exec, exec, s[8:9]
.LBB12_96:
	s_or_b64 exec, exec, s[6:7]
	v_mov_b32_e32 v44, 0
	ds_read_b64 v[44:45], v44 offset:40
	s_waitcnt lgkmcnt(0)
	v_mul_f64 v[44:45], v[92:93], v[44:45]
.LBB12_97:
	s_or_b64 exec, exec, s[28:29]
	v_cmp_lt_u32_e64 s[0:1], 4, v0
	ds_write_b64 v97, v[42:43]
	s_waitcnt lgkmcnt(0)
	; wave barrier
	s_and_saveexec_b64 s[28:29], s[0:1]
	s_cbranch_execz .LBB12_113
; %bb.98:
	s_andn2_b64 vcc, exec, s[26:27]
	s_cbranch_vccnz .LBB12_100
; %bb.99:
	v_cmp_eq_u32_e32 vcc, 1, v0
	v_cmp_eq_u32_e64 s[4:5], 2, v0
	v_cmp_eq_u32_e64 s[6:7], 3, v0
	v_cndmask_b32_e32 v92, v35, v37, vcc
	v_cndmask_b32_e64 v92, v92, v39, s[4:5]
	v_cndmask_b32_e64 v92, v92, v41, s[6:7]
	v_cmp_eq_u32_e64 s[8:9], 4, v0
	v_cmp_eq_u32_e64 s[10:11], 5, v0
	v_cmp_eq_u32_e64 s[12:13], 6, v0
	v_cndmask_b32_e64 v92, v92, v43, s[8:9]
	v_cndmask_b32_e64 v92, v92, v45, s[10:11]
	v_cndmask_b32_e64 v92, v92, v47, s[12:13]
	v_cmp_eq_u32_e64 s[14:15], 7, v0
	v_cmp_eq_u32_e64 s[16:17], 8, v0
	v_cmp_eq_u32_e64 s[18:19], 9, v0
	v_cndmask_b32_e64 v92, v92, v49, s[14:15]
	;; [unrolled: 6-line block ×3, first 2 shown]
	v_cndmask_b32_e64 v92, v92, v57, s[22:23]
	v_cndmask_b32_e64 v93, v92, v59, s[24:25]
	v_cndmask_b32_e32 v92, v34, v36, vcc
	v_cndmask_b32_e64 v92, v92, v38, s[4:5]
	v_cndmask_b32_e64 v92, v92, v40, s[6:7]
	;; [unrolled: 1-line block ×7, first 2 shown]
	ds_read_b64 v[94:95], v97
	v_cndmask_b32_e64 v92, v92, v52, s[18:19]
	v_cndmask_b32_e64 v92, v92, v54, s[20:21]
	;; [unrolled: 1-line block ×4, first 2 shown]
	s_waitcnt lgkmcnt(0)
	v_mul_f64 v[92:93], v[92:93], v[94:95]
	s_cbranch_execz .LBB12_101
	s_branch .LBB12_102
.LBB12_100:
                                        ; implicit-def: $vgpr92_vgpr93
.LBB12_101:
	ds_read_b64 v[92:93], v97
.LBB12_102:
	s_and_saveexec_b64 s[6:7], s[2:3]
	s_cbranch_execz .LBB12_112
; %bb.103:
	v_add_u32_e32 v94, -6, v0
	v_add_u32_e32 v95, -5, v0
	v_cmp_lt_u32_e32 vcc, 6, v94
	v_mov_b32_e32 v94, 5
	s_and_saveexec_b64 s[2:3], vcc
	s_cbranch_execz .LBB12_107
; %bb.104:
	v_and_b32_e32 v94, -8, v95
	v_sub_u32_e32 v96, 0, v94
	s_mov_b64 s[4:5], 12
	s_movk_i32 s10, 0x98
	s_mov_b64 s[8:9], 0
.LBB12_105:                             ; =>This Inner Loop Header: Depth=1
	s_lshl_b32 s11, s4, 1
	s_add_i32 s12, s11, -13
	v_mov_b32_e32 v112, s10
	s_add_i32 s13, s11, -14
	s_set_gpr_idx_on s12, gpr_idx(SRC0)
	v_mov_b32_e32 v107, v34
	s_set_gpr_idx_off
	s_add_i32 s14, s11, -11
	s_set_gpr_idx_on s13, gpr_idx(SRC0)
	v_mov_b32_e32 v106, v34
	s_set_gpr_idx_off
	ds_read2_b64 v[98:101], v112 offset1:1
	s_add_i32 s15, s11, -12
	s_set_gpr_idx_on s14, gpr_idx(SRC0)
	v_mov_b32_e32 v109, v34
	s_set_gpr_idx_off
	s_add_i32 s16, s11, -9
	s_set_gpr_idx_on s15, gpr_idx(SRC0)
	v_mov_b32_e32 v108, v34
	s_set_gpr_idx_off
	;; [unrolled: 4-line block ×4, first 2 shown]
	ds_read2_b64 v[102:105], v112 offset0:2 offset1:3
	s_add_i32 s19, s11, -8
	s_waitcnt lgkmcnt(1)
	v_fmac_f64_e32 v[92:93], v[106:107], v[98:99]
	s_set_gpr_idx_on s18, gpr_idx(SRC0)
	v_mov_b32_e32 v107, v34
	s_set_gpr_idx_off
	s_add_i32 s20, s11, -5
	v_fmac_f64_e32 v[92:93], v[108:109], v[100:101]
	s_set_gpr_idx_on s19, gpr_idx(SRC0)
	v_mov_b32_e32 v106, v34
	s_set_gpr_idx_off
	s_add_i32 s21, s11, -6
	s_set_gpr_idx_on s20, gpr_idx(SRC0)
	v_mov_b32_e32 v109, v34
	s_set_gpr_idx_off
	s_add_i32 s22, s11, -3
	;; [unrolled: 4-line block ×3, first 2 shown]
	ds_read2_b64 v[98:101], v112 offset0:4 offset1:5
	s_waitcnt lgkmcnt(1)
	v_fmac_f64_e32 v[92:93], v[110:111], v[102:103]
	s_set_gpr_idx_on s22, gpr_idx(SRC0)
	v_mov_b32_e32 v111, v34
	s_set_gpr_idx_off
	s_add_i32 s24, s11, -1
	v_fmac_f64_e32 v[92:93], v[106:107], v[104:105]
	s_set_gpr_idx_on s23, gpr_idx(SRC0)
	v_mov_b32_e32 v110, v34
	s_set_gpr_idx_off
	s_add_i32 s25, s11, -2
	s_set_gpr_idx_on s24, gpr_idx(SRC0)
	v_mov_b32_e32 v107, v34
	s_set_gpr_idx_off
	s_set_gpr_idx_on s25, gpr_idx(SRC0)
	v_mov_b32_e32 v106, v34
	s_set_gpr_idx_off
	ds_read2_b64 v[102:105], v112 offset0:6 offset1:7
	s_add_u32 s4, s4, 8
	s_waitcnt lgkmcnt(1)
	v_fmac_f64_e32 v[92:93], v[108:109], v[98:99]
	s_set_gpr_idx_on s11, gpr_idx(SRC0)
	v_mov_b32_e32 v99, v35
	s_set_gpr_idx_off
	v_add_u32_e32 v94, s4, v96
	v_fmac_f64_e32 v[92:93], v[110:111], v[100:101]
	s_set_gpr_idx_on s11, gpr_idx(SRC0)
	v_mov_b32_e32 v98, v34
	s_set_gpr_idx_off
	s_addc_u32 s5, s5, 0
	s_add_i32 s10, s10, 64
	s_add_i32 s12, s4, -7
	v_cmp_eq_u32_e32 vcc, 12, v94
	s_waitcnt lgkmcnt(0)
	v_fmac_f64_e32 v[92:93], v[106:107], v[102:103]
	v_mov_b32_e32 v94, s12
	s_or_b64 s[8:9], vcc, s[8:9]
	v_fmac_f64_e32 v[92:93], v[98:99], v[104:105]
	s_andn2_b64 exec, exec, s[8:9]
	s_cbranch_execnz .LBB12_105
; %bb.106:
	s_or_b64 exec, exec, s[8:9]
.LBB12_107:
	s_or_b64 exec, exec, s[2:3]
	v_and_b32_e32 v60, 7, v95
	v_cmp_ne_u32_e32 vcc, 0, v60
	s_and_saveexec_b64 s[8:9], vcc
	s_cbranch_execz .LBB12_111
; %bb.108:
	v_mov_b32_e32 v61, 0x70
	v_lshl_add_u32 v61, v94, 3, v61
	v_mov_b32_e32 v95, 0
	s_mov_b64 s[10:11], 0
.LBB12_109:                             ; =>This Inner Loop Header: Depth=1
	v_cmp_eq_u32_e32 vcc, 1, v94
	v_add_u32_e32 v60, -1, v60
	v_cmp_eq_u32_e64 s[2:3], 2, v94
	v_cndmask_b32_e32 v64, v35, v37, vcc
	v_cndmask_b32_e32 v65, v34, v36, vcc
	v_cndmask_b32_e64 v64, v64, v39, s[2:3]
	v_cmp_eq_u32_e32 vcc, 0, v60
	v_cmp_eq_u32_e64 s[4:5], 3, v94
	v_cndmask_b32_e64 v65, v65, v38, s[2:3]
	s_or_b64 s[10:11], vcc, s[10:11]
	v_cndmask_b32_e64 v64, v64, v41, s[4:5]
	v_cmp_eq_u32_e32 vcc, 4, v94
	v_cndmask_b32_e64 v65, v65, v40, s[4:5]
	v_cmp_eq_u32_e64 s[2:3], 5, v94
	v_cndmask_b32_e32 v64, v64, v43, vcc
	v_cndmask_b32_e32 v65, v65, v42, vcc
	v_cndmask_b32_e64 v64, v64, v45, s[2:3]
	v_cmp_eq_u32_e32 vcc, 6, v94
	v_cndmask_b32_e64 v65, v65, v44, s[2:3]
	v_cmp_eq_u32_e64 s[2:3], 7, v94
	v_cndmask_b32_e32 v64, v64, v47, vcc
	v_cndmask_b32_e32 v65, v65, v46, vcc
	v_cndmask_b32_e64 v64, v64, v49, s[2:3]
	v_cmp_eq_u32_e32 vcc, 8, v94
	v_cndmask_b32_e64 v65, v65, v48, s[2:3]
	v_cmp_eq_u32_e64 s[2:3], 9, v94
	v_cndmask_b32_e32 v64, v64, v51, vcc
	ds_read_b64 v[62:63], v61
	v_cndmask_b32_e64 v64, v64, v53, s[2:3]
	v_cndmask_b32_e32 v65, v65, v50, vcc
	v_cmp_eq_u32_e32 vcc, 10, v94
	v_cndmask_b32_e64 v65, v65, v52, s[2:3]
	v_cmp_eq_u32_e64 s[2:3], 11, v94
	v_cndmask_b32_e32 v64, v64, v55, vcc
	v_cmp_eq_u32_e64 s[4:5], 12, v94
	v_cndmask_b32_e64 v64, v64, v57, s[2:3]
	v_cndmask_b32_e32 v96, v65, v54, vcc
	v_cndmask_b32_e64 v65, v64, v59, s[4:5]
	v_cndmask_b32_e64 v64, v96, v56, s[2:3]
	v_cndmask_b32_e64 v64, v64, v58, s[4:5]
	v_add_u32_e32 v61, 8, v61
	v_lshl_add_u64 v[94:95], v[94:95], 0, 1
	s_waitcnt lgkmcnt(0)
	v_fmac_f64_e32 v[92:93], v[64:65], v[62:63]
	s_andn2_b64 exec, exec, s[10:11]
	s_cbranch_execnz .LBB12_109
; %bb.110:
	s_or_b64 exec, exec, s[10:11]
.LBB12_111:
	s_or_b64 exec, exec, s[8:9]
.LBB12_112:
	s_or_b64 exec, exec, s[6:7]
	v_mov_b32_e32 v42, 0
	ds_read_b64 v[42:43], v42 offset:32
	s_waitcnt lgkmcnt(0)
	v_mul_f64 v[42:43], v[92:93], v[42:43]
.LBB12_113:
	s_or_b64 exec, exec, s[28:29]
	v_cmp_lt_u32_e64 s[2:3], 3, v0
	ds_write_b64 v97, v[40:41]
	s_waitcnt lgkmcnt(0)
	; wave barrier
	s_and_saveexec_b64 s[28:29], s[2:3]
	s_cbranch_execz .LBB12_129
; %bb.114:
	s_andn2_b64 vcc, exec, s[26:27]
	s_cbranch_vccnz .LBB12_116
; %bb.115:
	v_cmp_eq_u32_e32 vcc, 1, v0
	v_cmp_eq_u32_e64 s[4:5], 2, v0
	v_cmp_eq_u32_e64 s[6:7], 3, v0
	v_cndmask_b32_e32 v92, v35, v37, vcc
	v_cndmask_b32_e64 v92, v92, v39, s[4:5]
	v_cndmask_b32_e64 v92, v92, v41, s[6:7]
	v_cmp_eq_u32_e64 s[8:9], 4, v0
	v_cmp_eq_u32_e64 s[10:11], 5, v0
	v_cmp_eq_u32_e64 s[12:13], 6, v0
	v_cndmask_b32_e64 v92, v92, v43, s[8:9]
	v_cndmask_b32_e64 v92, v92, v45, s[10:11]
	v_cndmask_b32_e64 v92, v92, v47, s[12:13]
	v_cmp_eq_u32_e64 s[14:15], 7, v0
	v_cmp_eq_u32_e64 s[16:17], 8, v0
	v_cmp_eq_u32_e64 s[18:19], 9, v0
	v_cndmask_b32_e64 v92, v92, v49, s[14:15]
	;; [unrolled: 6-line block ×3, first 2 shown]
	v_cndmask_b32_e64 v92, v92, v57, s[22:23]
	v_cndmask_b32_e64 v93, v92, v59, s[24:25]
	v_cndmask_b32_e32 v92, v34, v36, vcc
	v_cndmask_b32_e64 v92, v92, v38, s[4:5]
	v_cndmask_b32_e64 v92, v92, v40, s[6:7]
	;; [unrolled: 1-line block ×7, first 2 shown]
	ds_read_b64 v[94:95], v97
	v_cndmask_b32_e64 v92, v92, v52, s[18:19]
	v_cndmask_b32_e64 v92, v92, v54, s[20:21]
	;; [unrolled: 1-line block ×4, first 2 shown]
	s_waitcnt lgkmcnt(0)
	v_mul_f64 v[92:93], v[92:93], v[94:95]
	s_cbranch_execz .LBB12_117
	s_branch .LBB12_118
.LBB12_116:
                                        ; implicit-def: $vgpr92_vgpr93
.LBB12_117:
	ds_read_b64 v[92:93], v97
.LBB12_118:
	s_and_saveexec_b64 s[6:7], s[0:1]
	s_cbranch_execz .LBB12_128
; %bb.119:
	v_add_u32_e32 v94, -5, v0
	v_add_u32_e32 v95, -4, v0
	v_cmp_lt_u32_e32 vcc, 6, v94
	v_mov_b32_e32 v94, 4
	s_and_saveexec_b64 s[0:1], vcc
	s_cbranch_execz .LBB12_123
; %bb.120:
	v_and_b32_e32 v94, -8, v95
	v_sub_u32_e32 v96, 0, v94
	s_mov_b64 s[4:5], 5
	s_movk_i32 s10, 0x90
	s_mov_b64 s[8:9], 0
.LBB12_121:                             ; =>This Inner Loop Header: Depth=1
	s_lshl_b32 s11, s4, 1
	s_add_i32 s12, s11, -1
	s_add_i32 s13, s11, -2
	s_set_gpr_idx_on s12, gpr_idx(SRC0)
	v_mov_b32_e32 v115, v34
	s_set_gpr_idx_off
	v_mov_b32_e32 v94, s10
	s_set_gpr_idx_on s13, gpr_idx(SRC0)
	v_mov_b32_e32 v114, v34
	s_set_gpr_idx_off
	ds_read_b128 v[98:101], v94
	ds_read_b128 v[102:105], v94 offset:16
	ds_read_b128 v[106:109], v94 offset:32
	;; [unrolled: 1-line block ×3, first 2 shown]
	s_set_gpr_idx_on s11, gpr_idx(SRC0)
	v_mov_b32_e32 v117, v35
	s_add_i32 s14, s11, 3
	v_mov_b32_e32 v116, v34
	s_set_gpr_idx_off
	s_add_i32 s15, s11, 2
	s_set_gpr_idx_on s14, gpr_idx(SRC0)
	v_mov_b32_e32 v119, v34
	s_set_gpr_idx_off
	s_add_i32 s16, s11, 5
	s_set_gpr_idx_on s15, gpr_idx(SRC0)
	v_mov_b32_e32 v118, v34
	s_set_gpr_idx_off
	s_add_i32 s17, s11, 4
	s_waitcnt lgkmcnt(3)
	v_fmac_f64_e32 v[92:93], v[114:115], v[98:99]
	s_set_gpr_idx_on s16, gpr_idx(SRC0)
	v_mov_b32_e32 v99, v34
	s_set_gpr_idx_off
	s_add_i32 s18, s11, 7
	v_fmac_f64_e32 v[92:93], v[116:117], v[100:101]
	s_set_gpr_idx_on s17, gpr_idx(SRC0)
	v_mov_b32_e32 v98, v34
	s_set_gpr_idx_off
	s_add_i32 s19, s11, 6
	s_waitcnt lgkmcnt(2)
	v_fmac_f64_e32 v[92:93], v[118:119], v[102:103]
	s_set_gpr_idx_on s18, gpr_idx(SRC0)
	v_mov_b32_e32 v101, v34
	s_set_gpr_idx_off
	s_add_i32 s20, s11, 9
	v_fmac_f64_e32 v[92:93], v[98:99], v[104:105]
	s_set_gpr_idx_on s19, gpr_idx(SRC0)
	v_mov_b32_e32 v100, v34
	s_set_gpr_idx_off
	s_add_i32 s21, s11, 8
	s_waitcnt lgkmcnt(1)
	v_fmac_f64_e32 v[92:93], v[100:101], v[106:107]
	s_set_gpr_idx_on s20, gpr_idx(SRC0)
	v_mov_b32_e32 v99, v34
	s_set_gpr_idx_off
	s_add_i32 s22, s11, 11
	s_set_gpr_idx_on s21, gpr_idx(SRC0)
	v_mov_b32_e32 v98, v34
	s_set_gpr_idx_off
	s_add_i32 s23, s11, 10
	s_add_i32 s24, s11, 13
	;; [unrolled: 1-line block ×3, first 2 shown]
	v_fmac_f64_e32 v[92:93], v[98:99], v[108:109]
	s_set_gpr_idx_on s22, gpr_idx(SRC0)
	v_mov_b32_e32 v99, v34
	s_set_gpr_idx_off
	s_add_u32 s4, s4, 8
	s_set_gpr_idx_on s23, gpr_idx(SRC0)
	v_mov_b32_e32 v98, v34
	s_set_gpr_idx_off
	v_add_u32_e32 v94, s4, v96
	s_waitcnt lgkmcnt(0)
	v_fmac_f64_e32 v[92:93], v[98:99], v[110:111]
	s_set_gpr_idx_on s24, gpr_idx(SRC0)
	v_mov_b32_e32 v99, v34
	s_set_gpr_idx_off
	s_addc_u32 s5, s5, 0
	s_add_i32 s10, s10, 64
	s_add_i32 s12, s4, -1
	v_cmp_eq_u32_e32 vcc, 5, v94
	s_set_gpr_idx_on s25, gpr_idx(SRC0)
	v_mov_b32_e32 v98, v34
	s_set_gpr_idx_off
	v_mov_b32_e32 v94, s12
	s_or_b64 s[8:9], vcc, s[8:9]
	v_fmac_f64_e32 v[92:93], v[98:99], v[112:113]
	s_andn2_b64 exec, exec, s[8:9]
	s_cbranch_execnz .LBB12_121
; %bb.122:
	s_or_b64 exec, exec, s[8:9]
.LBB12_123:
	s_or_b64 exec, exec, s[0:1]
	v_and_b32_e32 v60, 7, v95
	v_cmp_ne_u32_e32 vcc, 0, v60
	s_and_saveexec_b64 s[8:9], vcc
	s_cbranch_execz .LBB12_127
; %bb.124:
	v_mov_b32_e32 v61, 0x70
	v_lshl_add_u32 v61, v94, 3, v61
	v_mov_b32_e32 v95, 0
	s_mov_b64 s[10:11], 0
.LBB12_125:                             ; =>This Inner Loop Header: Depth=1
	v_cmp_eq_u32_e32 vcc, 1, v94
	v_add_u32_e32 v60, -1, v60
	v_cmp_eq_u32_e64 s[0:1], 2, v94
	v_cndmask_b32_e32 v64, v35, v37, vcc
	v_cndmask_b32_e32 v65, v34, v36, vcc
	v_cndmask_b32_e64 v64, v64, v39, s[0:1]
	v_cmp_eq_u32_e32 vcc, 0, v60
	v_cmp_eq_u32_e64 s[4:5], 3, v94
	v_cndmask_b32_e64 v65, v65, v38, s[0:1]
	s_or_b64 s[10:11], vcc, s[10:11]
	v_cndmask_b32_e64 v64, v64, v41, s[4:5]
	v_cmp_eq_u32_e32 vcc, 4, v94
	v_cndmask_b32_e64 v65, v65, v40, s[4:5]
	v_cmp_eq_u32_e64 s[0:1], 5, v94
	v_cndmask_b32_e32 v64, v64, v43, vcc
	v_cndmask_b32_e32 v65, v65, v42, vcc
	v_cndmask_b32_e64 v64, v64, v45, s[0:1]
	v_cmp_eq_u32_e32 vcc, 6, v94
	v_cndmask_b32_e64 v65, v65, v44, s[0:1]
	v_cmp_eq_u32_e64 s[0:1], 7, v94
	v_cndmask_b32_e32 v64, v64, v47, vcc
	v_cndmask_b32_e32 v65, v65, v46, vcc
	v_cndmask_b32_e64 v64, v64, v49, s[0:1]
	v_cmp_eq_u32_e32 vcc, 8, v94
	v_cndmask_b32_e64 v65, v65, v48, s[0:1]
	v_cmp_eq_u32_e64 s[0:1], 9, v94
	v_cndmask_b32_e32 v64, v64, v51, vcc
	ds_read_b64 v[62:63], v61
	v_cndmask_b32_e64 v64, v64, v53, s[0:1]
	v_cndmask_b32_e32 v65, v65, v50, vcc
	v_cmp_eq_u32_e32 vcc, 10, v94
	v_cndmask_b32_e64 v65, v65, v52, s[0:1]
	v_cmp_eq_u32_e64 s[0:1], 11, v94
	v_cndmask_b32_e32 v64, v64, v55, vcc
	v_cmp_eq_u32_e64 s[4:5], 12, v94
	v_cndmask_b32_e64 v64, v64, v57, s[0:1]
	v_cndmask_b32_e32 v96, v65, v54, vcc
	v_cndmask_b32_e64 v65, v64, v59, s[4:5]
	v_cndmask_b32_e64 v64, v96, v56, s[0:1]
	;; [unrolled: 1-line block ×3, first 2 shown]
	v_add_u32_e32 v61, 8, v61
	v_lshl_add_u64 v[94:95], v[94:95], 0, 1
	s_waitcnt lgkmcnt(0)
	v_fmac_f64_e32 v[92:93], v[64:65], v[62:63]
	s_andn2_b64 exec, exec, s[10:11]
	s_cbranch_execnz .LBB12_125
; %bb.126:
	s_or_b64 exec, exec, s[10:11]
.LBB12_127:
	s_or_b64 exec, exec, s[8:9]
.LBB12_128:
	s_or_b64 exec, exec, s[6:7]
	v_mov_b32_e32 v40, 0
	ds_read_b64 v[40:41], v40 offset:24
	s_waitcnt lgkmcnt(0)
	v_mul_f64 v[40:41], v[92:93], v[40:41]
.LBB12_129:
	s_or_b64 exec, exec, s[28:29]
	v_cmp_lt_u32_e64 s[0:1], 2, v0
	ds_write_b64 v97, v[38:39]
	s_waitcnt lgkmcnt(0)
	; wave barrier
	s_and_saveexec_b64 s[28:29], s[0:1]
	s_cbranch_execz .LBB12_145
; %bb.130:
	s_andn2_b64 vcc, exec, s[26:27]
	s_cbranch_vccnz .LBB12_132
; %bb.131:
	v_cmp_eq_u32_e32 vcc, 1, v0
	v_cmp_eq_u32_e64 s[4:5], 2, v0
	v_cmp_eq_u32_e64 s[6:7], 3, v0
	v_cndmask_b32_e32 v92, v35, v37, vcc
	v_cndmask_b32_e64 v92, v92, v39, s[4:5]
	v_cndmask_b32_e64 v92, v92, v41, s[6:7]
	v_cmp_eq_u32_e64 s[8:9], 4, v0
	v_cmp_eq_u32_e64 s[10:11], 5, v0
	v_cmp_eq_u32_e64 s[12:13], 6, v0
	v_cndmask_b32_e64 v92, v92, v43, s[8:9]
	v_cndmask_b32_e64 v92, v92, v45, s[10:11]
	v_cndmask_b32_e64 v92, v92, v47, s[12:13]
	v_cmp_eq_u32_e64 s[14:15], 7, v0
	v_cmp_eq_u32_e64 s[16:17], 8, v0
	v_cmp_eq_u32_e64 s[18:19], 9, v0
	v_cndmask_b32_e64 v92, v92, v49, s[14:15]
	;; [unrolled: 6-line block ×3, first 2 shown]
	v_cndmask_b32_e64 v92, v92, v57, s[22:23]
	v_cndmask_b32_e64 v93, v92, v59, s[24:25]
	v_cndmask_b32_e32 v92, v34, v36, vcc
	v_cndmask_b32_e64 v92, v92, v38, s[4:5]
	v_cndmask_b32_e64 v92, v92, v40, s[6:7]
	;; [unrolled: 1-line block ×7, first 2 shown]
	ds_read_b64 v[94:95], v97
	v_cndmask_b32_e64 v92, v92, v52, s[18:19]
	v_cndmask_b32_e64 v92, v92, v54, s[20:21]
	v_cndmask_b32_e64 v92, v92, v56, s[22:23]
	v_cndmask_b32_e64 v92, v92, v58, s[24:25]
	s_waitcnt lgkmcnt(0)
	v_mul_f64 v[92:93], v[92:93], v[94:95]
	s_cbranch_execz .LBB12_133
	s_branch .LBB12_134
.LBB12_132:
                                        ; implicit-def: $vgpr92_vgpr93
.LBB12_133:
	ds_read_b64 v[92:93], v97
.LBB12_134:
	s_and_saveexec_b64 s[6:7], s[2:3]
	s_cbranch_execz .LBB12_144
; %bb.135:
	v_add_u32_e32 v94, -4, v0
	v_add_u32_e32 v95, -3, v0
	v_cmp_lt_u32_e32 vcc, 6, v94
	v_mov_b32_e32 v94, 3
	s_and_saveexec_b64 s[2:3], vcc
	s_cbranch_execz .LBB12_139
; %bb.136:
	v_and_b32_e32 v94, -8, v95
	v_sub_u32_e32 v96, 0, v94
	s_mov_b64 s[4:5], 10
	s_movk_i32 s10, 0x88
	s_mov_b64 s[8:9], 0
.LBB12_137:                             ; =>This Inner Loop Header: Depth=1
	s_lshl_b32 s11, s4, 1
	s_add_i32 s12, s11, -13
	v_mov_b32_e32 v112, s10
	s_add_i32 s13, s11, -14
	s_set_gpr_idx_on s12, gpr_idx(SRC0)
	v_mov_b32_e32 v107, v34
	s_set_gpr_idx_off
	s_add_i32 s14, s11, -11
	s_set_gpr_idx_on s13, gpr_idx(SRC0)
	v_mov_b32_e32 v106, v34
	s_set_gpr_idx_off
	ds_read2_b64 v[98:101], v112 offset1:1
	s_add_i32 s15, s11, -12
	s_set_gpr_idx_on s14, gpr_idx(SRC0)
	v_mov_b32_e32 v109, v34
	s_set_gpr_idx_off
	s_add_i32 s16, s11, -9
	s_set_gpr_idx_on s15, gpr_idx(SRC0)
	v_mov_b32_e32 v108, v34
	s_set_gpr_idx_off
	;; [unrolled: 4-line block ×4, first 2 shown]
	ds_read2_b64 v[102:105], v112 offset0:2 offset1:3
	s_add_i32 s19, s11, -8
	s_waitcnt lgkmcnt(1)
	v_fmac_f64_e32 v[92:93], v[106:107], v[98:99]
	s_set_gpr_idx_on s18, gpr_idx(SRC0)
	v_mov_b32_e32 v107, v34
	s_set_gpr_idx_off
	s_add_i32 s20, s11, -5
	v_fmac_f64_e32 v[92:93], v[108:109], v[100:101]
	s_set_gpr_idx_on s19, gpr_idx(SRC0)
	v_mov_b32_e32 v106, v34
	s_set_gpr_idx_off
	s_add_i32 s21, s11, -6
	s_set_gpr_idx_on s20, gpr_idx(SRC0)
	v_mov_b32_e32 v109, v34
	s_set_gpr_idx_off
	s_add_i32 s22, s11, -3
	;; [unrolled: 4-line block ×3, first 2 shown]
	ds_read2_b64 v[98:101], v112 offset0:4 offset1:5
	s_waitcnt lgkmcnt(1)
	v_fmac_f64_e32 v[92:93], v[110:111], v[102:103]
	s_set_gpr_idx_on s22, gpr_idx(SRC0)
	v_mov_b32_e32 v111, v34
	s_set_gpr_idx_off
	s_add_i32 s24, s11, -1
	v_fmac_f64_e32 v[92:93], v[106:107], v[104:105]
	s_set_gpr_idx_on s23, gpr_idx(SRC0)
	v_mov_b32_e32 v110, v34
	s_set_gpr_idx_off
	s_add_i32 s25, s11, -2
	s_set_gpr_idx_on s24, gpr_idx(SRC0)
	v_mov_b32_e32 v107, v34
	s_set_gpr_idx_off
	s_set_gpr_idx_on s25, gpr_idx(SRC0)
	v_mov_b32_e32 v106, v34
	s_set_gpr_idx_off
	ds_read2_b64 v[102:105], v112 offset0:6 offset1:7
	s_add_u32 s4, s4, 8
	s_waitcnt lgkmcnt(1)
	v_fmac_f64_e32 v[92:93], v[108:109], v[98:99]
	s_set_gpr_idx_on s11, gpr_idx(SRC0)
	v_mov_b32_e32 v99, v35
	s_set_gpr_idx_off
	v_add_u32_e32 v94, s4, v96
	v_fmac_f64_e32 v[92:93], v[110:111], v[100:101]
	s_set_gpr_idx_on s11, gpr_idx(SRC0)
	v_mov_b32_e32 v98, v34
	s_set_gpr_idx_off
	s_addc_u32 s5, s5, 0
	s_add_i32 s10, s10, 64
	s_add_i32 s12, s4, -7
	v_cmp_eq_u32_e32 vcc, 10, v94
	s_waitcnt lgkmcnt(0)
	v_fmac_f64_e32 v[92:93], v[106:107], v[102:103]
	v_mov_b32_e32 v94, s12
	s_or_b64 s[8:9], vcc, s[8:9]
	v_fmac_f64_e32 v[92:93], v[98:99], v[104:105]
	s_andn2_b64 exec, exec, s[8:9]
	s_cbranch_execnz .LBB12_137
; %bb.138:
	s_or_b64 exec, exec, s[8:9]
.LBB12_139:
	s_or_b64 exec, exec, s[2:3]
	v_and_b32_e32 v60, 7, v95
	v_cmp_ne_u32_e32 vcc, 0, v60
	s_and_saveexec_b64 s[8:9], vcc
	s_cbranch_execz .LBB12_143
; %bb.140:
	v_mov_b32_e32 v61, 0x70
	v_lshl_add_u32 v61, v94, 3, v61
	v_mov_b32_e32 v95, 0
	s_mov_b64 s[10:11], 0
.LBB12_141:                             ; =>This Inner Loop Header: Depth=1
	v_cmp_eq_u32_e32 vcc, 1, v94
	v_add_u32_e32 v60, -1, v60
	v_cmp_eq_u32_e64 s[2:3], 2, v94
	v_cndmask_b32_e32 v64, v35, v37, vcc
	v_cndmask_b32_e32 v65, v34, v36, vcc
	v_cndmask_b32_e64 v64, v64, v39, s[2:3]
	v_cmp_eq_u32_e32 vcc, 0, v60
	v_cmp_eq_u32_e64 s[4:5], 3, v94
	v_cndmask_b32_e64 v65, v65, v38, s[2:3]
	s_or_b64 s[10:11], vcc, s[10:11]
	v_cndmask_b32_e64 v64, v64, v41, s[4:5]
	v_cmp_eq_u32_e32 vcc, 4, v94
	v_cndmask_b32_e64 v65, v65, v40, s[4:5]
	v_cmp_eq_u32_e64 s[2:3], 5, v94
	v_cndmask_b32_e32 v64, v64, v43, vcc
	v_cndmask_b32_e32 v65, v65, v42, vcc
	v_cndmask_b32_e64 v64, v64, v45, s[2:3]
	v_cmp_eq_u32_e32 vcc, 6, v94
	v_cndmask_b32_e64 v65, v65, v44, s[2:3]
	v_cmp_eq_u32_e64 s[2:3], 7, v94
	v_cndmask_b32_e32 v64, v64, v47, vcc
	v_cndmask_b32_e32 v65, v65, v46, vcc
	v_cndmask_b32_e64 v64, v64, v49, s[2:3]
	v_cmp_eq_u32_e32 vcc, 8, v94
	v_cndmask_b32_e64 v65, v65, v48, s[2:3]
	v_cmp_eq_u32_e64 s[2:3], 9, v94
	v_cndmask_b32_e32 v64, v64, v51, vcc
	ds_read_b64 v[62:63], v61
	v_cndmask_b32_e64 v64, v64, v53, s[2:3]
	v_cndmask_b32_e32 v65, v65, v50, vcc
	v_cmp_eq_u32_e32 vcc, 10, v94
	v_cndmask_b32_e64 v65, v65, v52, s[2:3]
	v_cmp_eq_u32_e64 s[2:3], 11, v94
	v_cndmask_b32_e32 v64, v64, v55, vcc
	v_cmp_eq_u32_e64 s[4:5], 12, v94
	v_cndmask_b32_e64 v64, v64, v57, s[2:3]
	v_cndmask_b32_e32 v96, v65, v54, vcc
	v_cndmask_b32_e64 v65, v64, v59, s[4:5]
	v_cndmask_b32_e64 v64, v96, v56, s[2:3]
	;; [unrolled: 1-line block ×3, first 2 shown]
	v_add_u32_e32 v61, 8, v61
	v_lshl_add_u64 v[94:95], v[94:95], 0, 1
	s_waitcnt lgkmcnt(0)
	v_fmac_f64_e32 v[92:93], v[64:65], v[62:63]
	s_andn2_b64 exec, exec, s[10:11]
	s_cbranch_execnz .LBB12_141
; %bb.142:
	s_or_b64 exec, exec, s[10:11]
.LBB12_143:
	s_or_b64 exec, exec, s[8:9]
.LBB12_144:
	s_or_b64 exec, exec, s[6:7]
	v_mov_b32_e32 v38, 0
	ds_read_b64 v[38:39], v38 offset:16
	s_waitcnt lgkmcnt(0)
	v_mul_f64 v[38:39], v[92:93], v[38:39]
.LBB12_145:
	s_or_b64 exec, exec, s[28:29]
	v_cmp_lt_u32_e64 s[2:3], 1, v0
	ds_write_b64 v97, v[36:37]
	s_waitcnt lgkmcnt(0)
	; wave barrier
	s_and_saveexec_b64 s[28:29], s[2:3]
	s_cbranch_execz .LBB12_161
; %bb.146:
	s_andn2_b64 vcc, exec, s[26:27]
	s_cbranch_vccnz .LBB12_148
; %bb.147:
	v_cmp_eq_u32_e32 vcc, 1, v0
	v_cmp_eq_u32_e64 s[4:5], 2, v0
	v_cmp_eq_u32_e64 s[6:7], 3, v0
	v_cndmask_b32_e32 v92, v35, v37, vcc
	v_cndmask_b32_e64 v92, v92, v39, s[4:5]
	v_cndmask_b32_e64 v92, v92, v41, s[6:7]
	v_cmp_eq_u32_e64 s[8:9], 4, v0
	v_cmp_eq_u32_e64 s[10:11], 5, v0
	v_cmp_eq_u32_e64 s[12:13], 6, v0
	v_cndmask_b32_e64 v92, v92, v43, s[8:9]
	v_cndmask_b32_e64 v92, v92, v45, s[10:11]
	v_cndmask_b32_e64 v92, v92, v47, s[12:13]
	v_cmp_eq_u32_e64 s[14:15], 7, v0
	v_cmp_eq_u32_e64 s[16:17], 8, v0
	v_cmp_eq_u32_e64 s[18:19], 9, v0
	v_cndmask_b32_e64 v92, v92, v49, s[14:15]
	;; [unrolled: 6-line block ×3, first 2 shown]
	v_cndmask_b32_e64 v92, v92, v57, s[22:23]
	v_cndmask_b32_e64 v93, v92, v59, s[24:25]
	v_cndmask_b32_e32 v92, v34, v36, vcc
	v_cndmask_b32_e64 v92, v92, v38, s[4:5]
	v_cndmask_b32_e64 v92, v92, v40, s[6:7]
	;; [unrolled: 1-line block ×7, first 2 shown]
	ds_read_b64 v[94:95], v97
	v_cndmask_b32_e64 v92, v92, v52, s[18:19]
	v_cndmask_b32_e64 v92, v92, v54, s[20:21]
	v_cndmask_b32_e64 v92, v92, v56, s[22:23]
	v_cndmask_b32_e64 v92, v92, v58, s[24:25]
	s_waitcnt lgkmcnt(0)
	v_mul_f64 v[92:93], v[92:93], v[94:95]
	s_cbranch_execz .LBB12_149
	s_branch .LBB12_150
.LBB12_148:
                                        ; implicit-def: $vgpr92_vgpr93
.LBB12_149:
	ds_read_b64 v[92:93], v97
.LBB12_150:
	s_and_saveexec_b64 s[6:7], s[0:1]
	s_cbranch_execz .LBB12_160
; %bb.151:
	v_add_u32_e32 v94, -3, v0
	v_add_u32_e32 v95, -2, v0
	v_cmp_lt_u32_e32 vcc, 6, v94
	v_mov_b32_e32 v94, 2
	s_and_saveexec_b64 s[0:1], vcc
	s_cbranch_execz .LBB12_155
; %bb.152:
	v_and_b32_e32 v94, -8, v95
	v_sub_u32_e32 v96, 0, v94
	s_mov_b64 s[4:5], 9
	s_movk_i32 s10, 0x80
	s_mov_b64 s[8:9], 0
.LBB12_153:                             ; =>This Inner Loop Header: Depth=1
	s_lshl_b32 s11, s4, 1
	s_add_i32 s12, s11, -13
	s_add_i32 s13, s11, -14
	s_set_gpr_idx_on s12, gpr_idx(SRC0)
	v_mov_b32_e32 v115, v34
	s_set_gpr_idx_off
	v_mov_b32_e32 v94, s10
	s_add_i32 s14, s11, -11
	s_set_gpr_idx_on s13, gpr_idx(SRC0)
	v_mov_b32_e32 v114, v34
	s_set_gpr_idx_off
	s_add_i32 s15, s11, -12
	ds_read_b128 v[98:101], v94
	ds_read_b128 v[102:105], v94 offset:16
	ds_read_b128 v[106:109], v94 offset:32
	ds_read_b128 v[110:113], v94 offset:48
	s_set_gpr_idx_on s14, gpr_idx(SRC0)
	v_mov_b32_e32 v117, v34
	s_set_gpr_idx_off
	s_add_i32 s16, s11, -9
	s_set_gpr_idx_on s15, gpr_idx(SRC0)
	v_mov_b32_e32 v116, v34
	s_set_gpr_idx_off
	s_add_i32 s17, s11, -10
	;; [unrolled: 4-line block ×4, first 2 shown]
	s_waitcnt lgkmcnt(3)
	v_fmac_f64_e32 v[92:93], v[114:115], v[98:99]
	s_set_gpr_idx_on s18, gpr_idx(SRC0)
	v_mov_b32_e32 v99, v34
	s_set_gpr_idx_off
	s_add_i32 s20, s11, -5
	v_fmac_f64_e32 v[92:93], v[116:117], v[100:101]
	s_set_gpr_idx_on s19, gpr_idx(SRC0)
	v_mov_b32_e32 v98, v34
	s_set_gpr_idx_off
	s_add_i32 s21, s11, -6
	s_waitcnt lgkmcnt(2)
	v_fmac_f64_e32 v[92:93], v[118:119], v[102:103]
	s_set_gpr_idx_on s20, gpr_idx(SRC0)
	v_mov_b32_e32 v101, v34
	s_set_gpr_idx_off
	s_add_i32 s22, s11, -3
	v_fmac_f64_e32 v[92:93], v[98:99], v[104:105]
	s_set_gpr_idx_on s21, gpr_idx(SRC0)
	v_mov_b32_e32 v100, v34
	s_set_gpr_idx_off
	s_add_i32 s23, s11, -4
	s_waitcnt lgkmcnt(1)
	v_fmac_f64_e32 v[92:93], v[100:101], v[106:107]
	s_set_gpr_idx_on s22, gpr_idx(SRC0)
	v_mov_b32_e32 v99, v34
	s_set_gpr_idx_off
	s_add_i32 s24, s11, -1
	s_set_gpr_idx_on s23, gpr_idx(SRC0)
	v_mov_b32_e32 v98, v34
	s_set_gpr_idx_off
	s_add_i32 s25, s11, -2
	v_fmac_f64_e32 v[92:93], v[98:99], v[108:109]
	s_set_gpr_idx_on s24, gpr_idx(SRC0)
	v_mov_b32_e32 v99, v34
	s_set_gpr_idx_off
	s_add_u32 s4, s4, 8
	s_set_gpr_idx_on s25, gpr_idx(SRC0)
	v_mov_b32_e32 v98, v34
	s_set_gpr_idx_off
	v_add_u32_e32 v94, s4, v96
	s_waitcnt lgkmcnt(0)
	v_fmac_f64_e32 v[92:93], v[98:99], v[110:111]
	s_set_gpr_idx_on s11, gpr_idx(SRC0)
	v_mov_b32_e32 v99, v35
	s_set_gpr_idx_off
	s_addc_u32 s5, s5, 0
	s_add_i32 s10, s10, 64
	s_add_i32 s12, s4, -7
	v_cmp_eq_u32_e32 vcc, 9, v94
	s_set_gpr_idx_on s11, gpr_idx(SRC0)
	v_mov_b32_e32 v98, v34
	s_set_gpr_idx_off
	v_mov_b32_e32 v94, s12
	s_or_b64 s[8:9], vcc, s[8:9]
	v_fmac_f64_e32 v[92:93], v[98:99], v[112:113]
	s_andn2_b64 exec, exec, s[8:9]
	s_cbranch_execnz .LBB12_153
; %bb.154:
	s_or_b64 exec, exec, s[8:9]
.LBB12_155:
	s_or_b64 exec, exec, s[0:1]
	v_and_b32_e32 v60, 7, v95
	v_cmp_ne_u32_e32 vcc, 0, v60
	s_and_saveexec_b64 s[8:9], vcc
	s_cbranch_execz .LBB12_159
; %bb.156:
	v_mov_b32_e32 v61, 0x70
	v_lshl_add_u32 v61, v94, 3, v61
	v_mov_b32_e32 v95, 0
	s_mov_b64 s[10:11], 0
.LBB12_157:                             ; =>This Inner Loop Header: Depth=1
	v_cmp_eq_u32_e32 vcc, 1, v94
	v_add_u32_e32 v60, -1, v60
	v_cmp_eq_u32_e64 s[0:1], 2, v94
	v_cndmask_b32_e32 v64, v35, v37, vcc
	v_cndmask_b32_e32 v65, v34, v36, vcc
	v_cndmask_b32_e64 v64, v64, v39, s[0:1]
	v_cmp_eq_u32_e32 vcc, 0, v60
	v_cmp_eq_u32_e64 s[4:5], 3, v94
	v_cndmask_b32_e64 v65, v65, v38, s[0:1]
	s_or_b64 s[10:11], vcc, s[10:11]
	v_cndmask_b32_e64 v64, v64, v41, s[4:5]
	v_cmp_eq_u32_e32 vcc, 4, v94
	v_cndmask_b32_e64 v65, v65, v40, s[4:5]
	v_cmp_eq_u32_e64 s[0:1], 5, v94
	v_cndmask_b32_e32 v64, v64, v43, vcc
	v_cndmask_b32_e32 v65, v65, v42, vcc
	v_cndmask_b32_e64 v64, v64, v45, s[0:1]
	v_cmp_eq_u32_e32 vcc, 6, v94
	v_cndmask_b32_e64 v65, v65, v44, s[0:1]
	v_cmp_eq_u32_e64 s[0:1], 7, v94
	v_cndmask_b32_e32 v64, v64, v47, vcc
	v_cndmask_b32_e32 v65, v65, v46, vcc
	v_cndmask_b32_e64 v64, v64, v49, s[0:1]
	v_cmp_eq_u32_e32 vcc, 8, v94
	v_cndmask_b32_e64 v65, v65, v48, s[0:1]
	v_cmp_eq_u32_e64 s[0:1], 9, v94
	v_cndmask_b32_e32 v64, v64, v51, vcc
	ds_read_b64 v[62:63], v61
	v_cndmask_b32_e64 v64, v64, v53, s[0:1]
	v_cndmask_b32_e32 v65, v65, v50, vcc
	v_cmp_eq_u32_e32 vcc, 10, v94
	v_cndmask_b32_e64 v65, v65, v52, s[0:1]
	v_cmp_eq_u32_e64 s[0:1], 11, v94
	v_cndmask_b32_e32 v64, v64, v55, vcc
	v_cmp_eq_u32_e64 s[4:5], 12, v94
	v_cndmask_b32_e64 v64, v64, v57, s[0:1]
	v_cndmask_b32_e32 v96, v65, v54, vcc
	v_cndmask_b32_e64 v65, v64, v59, s[4:5]
	v_cndmask_b32_e64 v64, v96, v56, s[0:1]
	;; [unrolled: 1-line block ×3, first 2 shown]
	v_add_u32_e32 v61, 8, v61
	v_lshl_add_u64 v[94:95], v[94:95], 0, 1
	s_waitcnt lgkmcnt(0)
	v_fmac_f64_e32 v[92:93], v[64:65], v[62:63]
	s_andn2_b64 exec, exec, s[10:11]
	s_cbranch_execnz .LBB12_157
; %bb.158:
	s_or_b64 exec, exec, s[10:11]
.LBB12_159:
	s_or_b64 exec, exec, s[8:9]
.LBB12_160:
	s_or_b64 exec, exec, s[6:7]
	v_mov_b32_e32 v36, 0
	ds_read_b64 v[36:37], v36 offset:8
	s_waitcnt lgkmcnt(0)
	v_mul_f64 v[36:37], v[92:93], v[36:37]
.LBB12_161:
	s_or_b64 exec, exec, s[28:29]
	v_cmp_ne_u32_e32 vcc, 0, v0
	ds_write_b64 v97, v[34:35]
	s_waitcnt lgkmcnt(0)
	; wave barrier
	s_and_saveexec_b64 s[24:25], vcc
	s_cbranch_execz .LBB12_177
; %bb.162:
	s_andn2_b64 vcc, exec, s[26:27]
	s_cbranch_vccnz .LBB12_164
; %bb.163:
	v_cmp_eq_u32_e32 vcc, 1, v0
	v_cmp_eq_u32_e64 s[0:1], 2, v0
	v_cmp_eq_u32_e64 s[4:5], 3, v0
	v_cndmask_b32_e32 v92, v35, v37, vcc
	v_cndmask_b32_e64 v92, v92, v39, s[0:1]
	v_cndmask_b32_e64 v92, v92, v41, s[4:5]
	v_cmp_eq_u32_e64 s[6:7], 4, v0
	v_cmp_eq_u32_e64 s[8:9], 5, v0
	v_cmp_eq_u32_e64 s[10:11], 6, v0
	v_cndmask_b32_e64 v92, v92, v43, s[6:7]
	v_cndmask_b32_e64 v92, v92, v45, s[8:9]
	v_cndmask_b32_e64 v92, v92, v47, s[10:11]
	v_cmp_eq_u32_e64 s[12:13], 7, v0
	v_cmp_eq_u32_e64 s[14:15], 8, v0
	v_cmp_eq_u32_e64 s[16:17], 9, v0
	v_cndmask_b32_e64 v92, v92, v49, s[12:13]
	;; [unrolled: 6-line block ×3, first 2 shown]
	v_cndmask_b32_e64 v92, v92, v57, s[20:21]
	v_cndmask_b32_e64 v93, v92, v59, s[22:23]
	v_cndmask_b32_e32 v92, v34, v36, vcc
	v_cndmask_b32_e64 v92, v92, v38, s[0:1]
	v_cndmask_b32_e64 v92, v92, v40, s[4:5]
	;; [unrolled: 1-line block ×7, first 2 shown]
	ds_read_b64 v[94:95], v97
	v_cndmask_b32_e64 v92, v92, v52, s[16:17]
	v_cndmask_b32_e64 v92, v92, v54, s[18:19]
	;; [unrolled: 1-line block ×4, first 2 shown]
	s_waitcnt lgkmcnt(0)
	v_mul_f64 v[92:93], v[92:93], v[94:95]
	s_cbranch_execz .LBB12_165
	s_branch .LBB12_166
.LBB12_164:
                                        ; implicit-def: $vgpr92_vgpr93
.LBB12_165:
	ds_read_b64 v[92:93], v97
.LBB12_166:
	s_and_saveexec_b64 s[4:5], s[2:3]
	s_cbranch_execz .LBB12_176
; %bb.167:
	v_add_u32_e32 v94, -2, v0
	v_add_u32_e32 v95, -1, v0
	v_cmp_lt_u32_e32 vcc, 6, v94
	v_mov_b32_e32 v94, 1
	s_and_saveexec_b64 s[0:1], vcc
	s_cbranch_execz .LBB12_171
; %bb.168:
	v_and_b32_e32 v94, -8, v95
	v_sub_u32_e32 v96, 0, v94
	s_mov_b64 s[2:3], 8
	s_movk_i32 s8, 0x78
	s_mov_b64 s[6:7], 0
.LBB12_169:                             ; =>This Inner Loop Header: Depth=1
	s_lshl_b32 s9, s2, 1
	s_add_i32 s10, s9, -13
	v_mov_b32_e32 v112, s8
	s_add_i32 s11, s9, -14
	s_set_gpr_idx_on s10, gpr_idx(SRC0)
	v_mov_b32_e32 v107, v34
	s_set_gpr_idx_off
	s_add_i32 s12, s9, -11
	s_set_gpr_idx_on s11, gpr_idx(SRC0)
	v_mov_b32_e32 v106, v34
	s_set_gpr_idx_off
	ds_read2_b64 v[98:101], v112 offset1:1
	s_add_i32 s13, s9, -12
	s_set_gpr_idx_on s12, gpr_idx(SRC0)
	v_mov_b32_e32 v109, v34
	s_set_gpr_idx_off
	s_add_i32 s14, s9, -9
	s_set_gpr_idx_on s13, gpr_idx(SRC0)
	v_mov_b32_e32 v108, v34
	s_set_gpr_idx_off
	;; [unrolled: 4-line block ×4, first 2 shown]
	ds_read2_b64 v[102:105], v112 offset0:2 offset1:3
	s_add_i32 s17, s9, -8
	s_waitcnt lgkmcnt(1)
	v_fmac_f64_e32 v[92:93], v[106:107], v[98:99]
	s_set_gpr_idx_on s16, gpr_idx(SRC0)
	v_mov_b32_e32 v107, v34
	s_set_gpr_idx_off
	s_add_i32 s18, s9, -5
	v_fmac_f64_e32 v[92:93], v[108:109], v[100:101]
	s_set_gpr_idx_on s17, gpr_idx(SRC0)
	v_mov_b32_e32 v106, v34
	s_set_gpr_idx_off
	s_add_i32 s19, s9, -6
	s_set_gpr_idx_on s18, gpr_idx(SRC0)
	v_mov_b32_e32 v109, v34
	s_set_gpr_idx_off
	s_add_i32 s20, s9, -3
	s_set_gpr_idx_on s19, gpr_idx(SRC0)
	v_mov_b32_e32 v108, v34
	s_set_gpr_idx_off
	s_add_i32 s21, s9, -4
	ds_read2_b64 v[98:101], v112 offset0:4 offset1:5
	s_waitcnt lgkmcnt(1)
	v_fmac_f64_e32 v[92:93], v[110:111], v[102:103]
	s_set_gpr_idx_on s20, gpr_idx(SRC0)
	v_mov_b32_e32 v111, v34
	s_set_gpr_idx_off
	s_add_i32 s22, s9, -1
	v_fmac_f64_e32 v[92:93], v[106:107], v[104:105]
	s_set_gpr_idx_on s21, gpr_idx(SRC0)
	v_mov_b32_e32 v110, v34
	s_set_gpr_idx_off
	s_add_i32 s23, s9, -2
	s_set_gpr_idx_on s22, gpr_idx(SRC0)
	v_mov_b32_e32 v107, v34
	s_set_gpr_idx_off
	s_set_gpr_idx_on s23, gpr_idx(SRC0)
	v_mov_b32_e32 v106, v34
	s_set_gpr_idx_off
	ds_read2_b64 v[102:105], v112 offset0:6 offset1:7
	s_add_u32 s2, s2, 8
	s_waitcnt lgkmcnt(1)
	v_fmac_f64_e32 v[92:93], v[108:109], v[98:99]
	s_set_gpr_idx_on s9, gpr_idx(SRC0)
	v_mov_b32_e32 v99, v35
	s_set_gpr_idx_off
	v_add_u32_e32 v94, s2, v96
	v_fmac_f64_e32 v[92:93], v[110:111], v[100:101]
	s_set_gpr_idx_on s9, gpr_idx(SRC0)
	v_mov_b32_e32 v98, v34
	s_set_gpr_idx_off
	s_addc_u32 s3, s3, 0
	s_add_i32 s8, s8, 64
	s_add_i32 s10, s2, -7
	v_cmp_eq_u32_e32 vcc, 8, v94
	s_waitcnt lgkmcnt(0)
	v_fmac_f64_e32 v[92:93], v[106:107], v[102:103]
	v_mov_b32_e32 v94, s10
	s_or_b64 s[6:7], vcc, s[6:7]
	v_fmac_f64_e32 v[92:93], v[98:99], v[104:105]
	s_andn2_b64 exec, exec, s[6:7]
	s_cbranch_execnz .LBB12_169
; %bb.170:
	s_or_b64 exec, exec, s[6:7]
.LBB12_171:
	s_or_b64 exec, exec, s[0:1]
	v_and_b32_e32 v60, 7, v95
	v_cmp_ne_u32_e32 vcc, 0, v60
	s_and_saveexec_b64 s[6:7], vcc
	s_cbranch_execz .LBB12_175
; %bb.172:
	v_mov_b32_e32 v61, 0x70
	v_lshl_add_u32 v61, v94, 3, v61
	v_mov_b32_e32 v95, 0
	s_mov_b64 s[8:9], 0
.LBB12_173:                             ; =>This Inner Loop Header: Depth=1
	v_cmp_eq_u32_e32 vcc, 1, v94
	v_add_u32_e32 v60, -1, v60
	v_cmp_eq_u32_e64 s[0:1], 2, v94
	v_cndmask_b32_e32 v64, v35, v37, vcc
	v_cndmask_b32_e32 v65, v34, v36, vcc
	v_cndmask_b32_e64 v64, v64, v39, s[0:1]
	v_cmp_eq_u32_e32 vcc, 0, v60
	v_cmp_eq_u32_e64 s[2:3], 3, v94
	v_cndmask_b32_e64 v65, v65, v38, s[0:1]
	s_or_b64 s[8:9], vcc, s[8:9]
	v_cndmask_b32_e64 v64, v64, v41, s[2:3]
	v_cmp_eq_u32_e32 vcc, 4, v94
	v_cndmask_b32_e64 v65, v65, v40, s[2:3]
	v_cmp_eq_u32_e64 s[0:1], 5, v94
	v_cndmask_b32_e32 v64, v64, v43, vcc
	v_cndmask_b32_e32 v65, v65, v42, vcc
	v_cndmask_b32_e64 v64, v64, v45, s[0:1]
	v_cmp_eq_u32_e32 vcc, 6, v94
	v_cndmask_b32_e64 v65, v65, v44, s[0:1]
	v_cmp_eq_u32_e64 s[0:1], 7, v94
	v_cndmask_b32_e32 v64, v64, v47, vcc
	v_cndmask_b32_e32 v65, v65, v46, vcc
	v_cndmask_b32_e64 v64, v64, v49, s[0:1]
	v_cmp_eq_u32_e32 vcc, 8, v94
	v_cndmask_b32_e64 v65, v65, v48, s[0:1]
	v_cmp_eq_u32_e64 s[0:1], 9, v94
	v_cndmask_b32_e32 v64, v64, v51, vcc
	ds_read_b64 v[62:63], v61
	v_cndmask_b32_e64 v64, v64, v53, s[0:1]
	v_cndmask_b32_e32 v65, v65, v50, vcc
	v_cmp_eq_u32_e32 vcc, 10, v94
	v_cndmask_b32_e64 v65, v65, v52, s[0:1]
	v_cmp_eq_u32_e64 s[0:1], 11, v94
	v_cndmask_b32_e32 v64, v64, v55, vcc
	v_cmp_eq_u32_e64 s[2:3], 12, v94
	v_cndmask_b32_e64 v64, v64, v57, s[0:1]
	v_cndmask_b32_e32 v96, v65, v54, vcc
	v_cndmask_b32_e64 v65, v64, v59, s[2:3]
	v_cndmask_b32_e64 v64, v96, v56, s[0:1]
	;; [unrolled: 1-line block ×3, first 2 shown]
	v_add_u32_e32 v61, 8, v61
	v_lshl_add_u64 v[94:95], v[94:95], 0, 1
	s_waitcnt lgkmcnt(0)
	v_fmac_f64_e32 v[92:93], v[64:65], v[62:63]
	s_andn2_b64 exec, exec, s[8:9]
	s_cbranch_execnz .LBB12_173
; %bb.174:
	s_or_b64 exec, exec, s[8:9]
.LBB12_175:
	s_or_b64 exec, exec, s[6:7]
.LBB12_176:
	s_or_b64 exec, exec, s[4:5]
	v_mov_b32_e32 v34, 0
	ds_read_b64 v[34:35], v34
	s_waitcnt lgkmcnt(0)
	v_mul_f64 v[34:35], v[92:93], v[34:35]
.LBB12_177:
	s_or_b64 exec, exec, s[24:25]
	s_branch .LBB12_301
.LBB12_178:
	v_cmp_eq_u32_e64 s[2:3], 0, v0
	s_waitcnt vmcnt(11)
	ds_write_b64 v97, v[4:5]
	s_waitcnt lgkmcnt(0)
	; wave barrier
	s_and_saveexec_b64 s[24:25], s[2:3]
	s_cbranch_execz .LBB12_184
; %bb.179:
	s_and_b64 vcc, exec, s[26:27]
	s_cbranch_vccz .LBB12_181
; %bb.180:
	v_cmp_eq_u32_e32 vcc, 1, v0
	v_cmp_eq_u32_e64 s[0:1], 2, v0
	v_cmp_eq_u32_e64 s[4:5], 3, v0
	v_cndmask_b32_e32 v5, v3, v5, vcc
	v_cndmask_b32_e32 v4, v2, v4, vcc
	s_waitcnt vmcnt(10)
	v_cndmask_b32_e64 v5, v5, v7, s[0:1]
	v_cndmask_b32_e64 v4, v4, v6, s[0:1]
	s_waitcnt vmcnt(9)
	v_cndmask_b32_e64 v5, v5, v9, s[4:5]
	v_cmp_eq_u32_e64 s[6:7], 4, v0
	v_cndmask_b32_e64 v4, v4, v8, s[4:5]
	v_cmp_eq_u32_e64 s[8:9], 5, v0
	s_waitcnt vmcnt(8)
	v_cndmask_b32_e64 v5, v5, v11, s[6:7]
	v_cndmask_b32_e64 v4, v4, v10, s[6:7]
	s_waitcnt vmcnt(7)
	v_cndmask_b32_e64 v5, v5, v13, s[8:9]
	v_cmp_eq_u32_e64 s[10:11], 6, v0
	v_cndmask_b32_e64 v4, v4, v12, s[8:9]
	v_cmp_eq_u32_e64 s[12:13], 7, v0
	;; [unrolled: 8-line block ×3, first 2 shown]
	s_waitcnt vmcnt(4)
	v_cndmask_b32_e64 v5, v5, v19, s[14:15]
	v_cndmask_b32_e64 v4, v4, v18, s[14:15]
	ds_read_b64 v[28:29], v97
	s_waitcnt vmcnt(3)
	v_cndmask_b32_e64 v5, v5, v21, s[16:17]
	v_cmp_eq_u32_e64 s[18:19], 10, v0
	v_cndmask_b32_e64 v4, v4, v20, s[16:17]
	v_cmp_eq_u32_e64 s[20:21], 11, v0
	s_waitcnt vmcnt(2)
	v_cndmask_b32_e64 v5, v5, v23, s[18:19]
	v_cndmask_b32_e64 v4, v4, v22, s[18:19]
	s_waitcnt vmcnt(1)
	v_cndmask_b32_e64 v5, v5, v25, s[20:21]
	v_cmp_eq_u32_e64 s[22:23], 12, v0
	v_cndmask_b32_e64 v4, v4, v24, s[20:21]
	s_waitcnt vmcnt(0)
	v_cndmask_b32_e64 v5, v5, v27, s[22:23]
	v_cndmask_b32_e64 v4, v4, v26, s[22:23]
	s_waitcnt lgkmcnt(0)
	v_mul_f64 v[4:5], v[4:5], v[28:29]
	s_cbranch_execz .LBB12_182
	s_branch .LBB12_183
.LBB12_181:
                                        ; implicit-def: $vgpr4_vgpr5
.LBB12_182:
	ds_read_b64 v[4:5], v97
.LBB12_183:
	v_mov_b32_e32 v28, 0
	ds_read_b64 v[28:29], v28 offset:8
	s_waitcnt lgkmcnt(0)
	v_mul_f64 v[4:5], v[4:5], v[28:29]
.LBB12_184:
	s_or_b64 exec, exec, s[24:25]
	v_cndmask_b32_e64 v34, 0, 1, s[26:27]
	v_cmp_gt_u32_e32 vcc, 2, v0
	v_cmp_ne_u32_e64 s[0:1], 1, v34
	s_waitcnt vmcnt(10)
	ds_write_b64 v97, v[6:7]
	s_waitcnt lgkmcnt(0)
	; wave barrier
	s_and_saveexec_b64 s[26:27], vcc
	s_cbranch_execz .LBB12_190
; %bb.185:
	s_and_b64 vcc, exec, s[0:1]
	s_cbranch_vccnz .LBB12_187
; %bb.186:
	v_cmp_eq_u32_e32 vcc, 1, v0
	v_cmp_eq_u32_e64 s[4:5], 2, v0
	v_cmp_eq_u32_e64 s[6:7], 3, v0
	v_cndmask_b32_e32 v28, v3, v5, vcc
	v_cndmask_b32_e64 v7, v28, v7, s[4:5]
	v_cndmask_b32_e32 v28, v2, v4, vcc
	v_cndmask_b32_e64 v6, v28, v6, s[4:5]
	s_waitcnt vmcnt(9)
	v_cndmask_b32_e64 v7, v7, v9, s[6:7]
	v_cmp_eq_u32_e64 s[8:9], 4, v0
	v_cndmask_b32_e64 v6, v6, v8, s[6:7]
	v_cmp_eq_u32_e64 s[10:11], 5, v0
	s_waitcnt vmcnt(8)
	v_cndmask_b32_e64 v7, v7, v11, s[8:9]
	v_cndmask_b32_e64 v6, v6, v10, s[8:9]
	s_waitcnt vmcnt(7)
	v_cndmask_b32_e64 v7, v7, v13, s[10:11]
	v_cmp_eq_u32_e64 s[12:13], 6, v0
	v_cndmask_b32_e64 v6, v6, v12, s[10:11]
	v_cmp_eq_u32_e64 s[14:15], 7, v0
	s_waitcnt vmcnt(6)
	v_cndmask_b32_e64 v7, v7, v15, s[12:13]
	;; [unrolled: 8-line block ×3, first 2 shown]
	v_cndmask_b32_e64 v6, v6, v18, s[16:17]
	ds_read_b64 v[28:29], v97
	s_waitcnt vmcnt(3)
	v_cndmask_b32_e64 v7, v7, v21, s[18:19]
	v_cmp_eq_u32_e64 s[20:21], 10, v0
	v_cndmask_b32_e64 v6, v6, v20, s[18:19]
	v_cmp_eq_u32_e64 s[22:23], 11, v0
	s_waitcnt vmcnt(2)
	v_cndmask_b32_e64 v7, v7, v23, s[20:21]
	v_cndmask_b32_e64 v6, v6, v22, s[20:21]
	s_waitcnt vmcnt(1)
	v_cndmask_b32_e64 v7, v7, v25, s[22:23]
	v_cmp_eq_u32_e64 s[24:25], 12, v0
	v_cndmask_b32_e64 v6, v6, v24, s[22:23]
	s_waitcnt vmcnt(0)
	v_cndmask_b32_e64 v7, v7, v27, s[24:25]
	v_cndmask_b32_e64 v6, v6, v26, s[24:25]
	s_waitcnt lgkmcnt(0)
	v_mul_f64 v[6:7], v[6:7], v[28:29]
	s_cbranch_execz .LBB12_188
	s_branch .LBB12_189
.LBB12_187:
                                        ; implicit-def: $vgpr6_vgpr7
.LBB12_188:
	ds_read_b64 v[6:7], v97
.LBB12_189:
	v_mov_b32_e32 v28, 0
	ds_read2_b64 v[28:31], v28 offset0:2 offset1:15
	s_waitcnt lgkmcnt(0)
	v_fma_f64 v[30:31], v[4:5], v[30:31], v[6:7]
	v_cndmask_b32_e64 v7, v7, v31, s[2:3]
	v_cndmask_b32_e64 v6, v6, v30, s[2:3]
	v_mul_f64 v[6:7], v[6:7], v[28:29]
.LBB12_190:
	s_or_b64 exec, exec, s[26:27]
	v_add_u32_e32 v34, 1, v0
	v_cmp_gt_u32_e64 s[4:5], 3, v0
	s_waitcnt vmcnt(9)
	ds_write_b64 v97, v[8:9]
	s_waitcnt lgkmcnt(0)
	; wave barrier
	s_and_saveexec_b64 s[28:29], s[4:5]
	s_cbranch_execz .LBB12_198
; %bb.191:
	s_and_b64 vcc, exec, s[0:1]
	s_cbranch_vccnz .LBB12_193
; %bb.192:
	v_cmp_eq_u32_e32 vcc, 1, v0
	v_cmp_eq_u32_e64 s[6:7], 2, v0
	v_cmp_eq_u32_e64 s[8:9], 3, v0
	v_cndmask_b32_e32 v28, v3, v5, vcc
	v_cndmask_b32_e64 v28, v28, v7, s[6:7]
	v_cndmask_b32_e64 v28, v28, v9, s[8:9]
	v_cmp_eq_u32_e64 s[10:11], 4, v0
	v_cmp_eq_u32_e64 s[12:13], 5, v0
	v_cmp_eq_u32_e64 s[14:15], 6, v0
	s_waitcnt vmcnt(8)
	v_cndmask_b32_e64 v28, v28, v11, s[10:11]
	s_waitcnt vmcnt(7)
	v_cndmask_b32_e64 v28, v28, v13, s[12:13]
	s_waitcnt vmcnt(6)
	v_cndmask_b32_e64 v28, v28, v15, s[14:15]
	v_cmp_eq_u32_e64 s[16:17], 7, v0
	v_cmp_eq_u32_e64 s[18:19], 8, v0
	v_cmp_eq_u32_e64 s[20:21], 9, v0
	s_waitcnt vmcnt(5)
	v_cndmask_b32_e64 v28, v28, v17, s[16:17]
	s_waitcnt vmcnt(4)
	v_cndmask_b32_e64 v28, v28, v19, s[18:19]
	s_waitcnt vmcnt(3)
	;; [unrolled: 9-line block ×3, first 2 shown]
	v_cndmask_b32_e64 v29, v28, v27, s[26:27]
	v_cndmask_b32_e32 v28, v2, v4, vcc
	v_cndmask_b32_e64 v28, v28, v6, s[6:7]
	v_cndmask_b32_e64 v28, v28, v8, s[8:9]
	;; [unrolled: 1-line block ×7, first 2 shown]
	ds_read_b64 v[30:31], v97
	v_cndmask_b32_e64 v28, v28, v20, s[20:21]
	v_cndmask_b32_e64 v28, v28, v22, s[22:23]
	;; [unrolled: 1-line block ×4, first 2 shown]
	s_waitcnt lgkmcnt(0)
	v_mul_f64 v[28:29], v[28:29], v[30:31]
	s_cbranch_execz .LBB12_194
	s_branch .LBB12_195
.LBB12_193:
                                        ; implicit-def: $vgpr28_vgpr29
.LBB12_194:
	ds_read_b64 v[28:29], v97
.LBB12_195:
	v_cmp_ne_u32_e32 vcc, 2, v0
	s_and_saveexec_b64 s[30:31], vcc
	s_cbranch_execz .LBB12_197
; %bb.196:
	v_cmp_eq_u32_e32 vcc, 1, v34
	v_cmp_eq_u32_e64 s[6:7], 2, v34
	v_cmp_eq_u32_e64 s[8:9], 3, v34
	v_cndmask_b32_e32 v30, v3, v5, vcc
	v_cndmask_b32_e64 v30, v30, v7, s[6:7]
	v_cndmask_b32_e64 v9, v30, v9, s[8:9]
	v_cndmask_b32_e32 v30, v2, v4, vcc
	v_cndmask_b32_e64 v30, v30, v6, s[6:7]
	v_cmp_eq_u32_e64 s[10:11], 4, v34
	v_cndmask_b32_e64 v8, v30, v8, s[8:9]
	v_cmp_eq_u32_e64 s[12:13], 5, v34
	s_waitcnt vmcnt(8)
	v_cndmask_b32_e64 v9, v9, v11, s[10:11]
	v_cndmask_b32_e64 v8, v8, v10, s[10:11]
	s_waitcnt vmcnt(7)
	v_cndmask_b32_e64 v9, v9, v13, s[12:13]
	v_cmp_eq_u32_e64 s[14:15], 6, v34
	v_cndmask_b32_e64 v8, v8, v12, s[12:13]
	v_cmp_eq_u32_e64 s[16:17], 7, v34
	s_waitcnt vmcnt(6)
	v_cndmask_b32_e64 v9, v9, v15, s[14:15]
	v_cndmask_b32_e64 v8, v8, v14, s[14:15]
	s_waitcnt vmcnt(5)
	v_cndmask_b32_e64 v9, v9, v17, s[16:17]
	v_cmp_eq_u32_e64 s[18:19], 8, v34
	v_cndmask_b32_e64 v8, v8, v16, s[16:17]
	v_cmp_eq_u32_e64 s[20:21], 9, v34
	s_waitcnt vmcnt(4)
	v_cndmask_b32_e64 v9, v9, v19, s[18:19]
	v_cndmask_b32_e64 v8, v8, v18, s[18:19]
	v_mov_b32_e32 v32, 0
	s_waitcnt vmcnt(3)
	v_cndmask_b32_e64 v9, v9, v21, s[20:21]
	v_cmp_eq_u32_e64 s[22:23], 10, v34
	v_cndmask_b32_e64 v8, v8, v20, s[20:21]
	ds_read_b64 v[30:31], v97 offset:8
	ds_read_b64 v[32:33], v32 offset:128
	s_waitcnt vmcnt(2)
	v_cndmask_b32_e64 v9, v9, v23, s[22:23]
	v_cmp_eq_u32_e64 s[24:25], 11, v34
	v_cndmask_b32_e64 v8, v8, v22, s[22:23]
	v_cmp_eq_u32_e64 s[26:27], 12, v34
	s_waitcnt vmcnt(1)
	v_cndmask_b32_e64 v9, v9, v25, s[24:25]
	v_cndmask_b32_e64 v8, v8, v24, s[24:25]
	s_waitcnt vmcnt(0)
	v_cndmask_b32_e64 v9, v9, v27, s[26:27]
	v_cndmask_b32_e64 v8, v8, v26, s[26:27]
	s_waitcnt lgkmcnt(1)
	v_fmac_f64_e32 v[28:29], v[8:9], v[30:31]
	s_waitcnt lgkmcnt(0)
	v_fma_f64 v[8:9], v[6:7], v[32:33], v[28:29]
	v_cndmask_b32_e64 v29, v29, v9, s[2:3]
	v_cndmask_b32_e64 v28, v28, v8, s[2:3]
.LBB12_197:
	s_or_b64 exec, exec, s[30:31]
	v_mov_b32_e32 v8, 0
	ds_read_b64 v[8:9], v8 offset:24
	s_waitcnt lgkmcnt(0)
	v_mul_f64 v[8:9], v[28:29], v[8:9]
.LBB12_198:
	s_or_b64 exec, exec, s[28:29]
	v_cmp_gt_u32_e32 vcc, 4, v0
	s_waitcnt vmcnt(8)
	ds_write_b64 v97, v[10:11]
	s_waitcnt lgkmcnt(0)
	; wave barrier
	s_and_saveexec_b64 s[28:29], vcc
	s_cbranch_execz .LBB12_208
; %bb.199:
	s_and_b64 vcc, exec, s[0:1]
	s_cbranch_vccnz .LBB12_201
; %bb.200:
	v_cmp_eq_u32_e32 vcc, 1, v0
	v_cmp_eq_u32_e64 s[6:7], 2, v0
	v_cmp_eq_u32_e64 s[8:9], 3, v0
	v_cndmask_b32_e32 v28, v3, v5, vcc
	v_cndmask_b32_e64 v28, v28, v7, s[6:7]
	v_cndmask_b32_e64 v28, v28, v9, s[8:9]
	v_cmp_eq_u32_e64 s[10:11], 4, v0
	v_cmp_eq_u32_e64 s[12:13], 5, v0
	;; [unrolled: 1-line block ×3, first 2 shown]
	v_cndmask_b32_e64 v28, v28, v11, s[10:11]
	s_waitcnt vmcnt(7)
	v_cndmask_b32_e64 v28, v28, v13, s[12:13]
	s_waitcnt vmcnt(6)
	v_cndmask_b32_e64 v28, v28, v15, s[14:15]
	v_cmp_eq_u32_e64 s[16:17], 7, v0
	v_cmp_eq_u32_e64 s[18:19], 8, v0
	;; [unrolled: 1-line block ×3, first 2 shown]
	s_waitcnt vmcnt(5)
	v_cndmask_b32_e64 v28, v28, v17, s[16:17]
	s_waitcnt vmcnt(4)
	v_cndmask_b32_e64 v28, v28, v19, s[18:19]
	s_waitcnt vmcnt(3)
	v_cndmask_b32_e64 v28, v28, v21, s[20:21]
	v_cmp_eq_u32_e64 s[22:23], 10, v0
	v_cmp_eq_u32_e64 s[24:25], 11, v0
	v_cmp_eq_u32_e64 s[26:27], 12, v0
	s_waitcnt vmcnt(2)
	v_cndmask_b32_e64 v28, v28, v23, s[22:23]
	s_waitcnt vmcnt(1)
	v_cndmask_b32_e64 v28, v28, v25, s[24:25]
	;; [unrolled: 2-line block ×3, first 2 shown]
	v_cndmask_b32_e32 v28, v2, v4, vcc
	v_cndmask_b32_e64 v28, v28, v6, s[6:7]
	v_cndmask_b32_e64 v28, v28, v8, s[8:9]
	;; [unrolled: 1-line block ×7, first 2 shown]
	ds_read_b64 v[30:31], v97
	v_cndmask_b32_e64 v28, v28, v20, s[20:21]
	v_cndmask_b32_e64 v28, v28, v22, s[22:23]
	;; [unrolled: 1-line block ×4, first 2 shown]
	s_waitcnt lgkmcnt(0)
	v_mul_f64 v[28:29], v[28:29], v[30:31]
	s_cbranch_execz .LBB12_202
	s_branch .LBB12_203
.LBB12_201:
                                        ; implicit-def: $vgpr28_vgpr29
.LBB12_202:
	ds_read_b64 v[28:29], v97
.LBB12_203:
	v_cmp_ne_u32_e32 vcc, 3, v0
	s_and_saveexec_b64 s[10:11], vcc
	s_cbranch_execz .LBB12_207
; %bb.204:
	v_mov_b32_e32 v30, 0x78
	v_lshl_add_u32 v32, v0, 3, v30
	s_mov_b64 s[12:13], 0
	v_mov_b64_e32 v[30:31], v[0:1]
.LBB12_205:                             ; =>This Inner Loop Header: Depth=1
	v_lshl_add_u64 v[30:31], v[30:31], 0, 1
	v_cmp_eq_u32_e32 vcc, 1, v30
	v_cmp_eq_u32_e64 s[8:9], 2, v30
	v_cmp_lt_u32_e64 s[6:7], 2, v30
	v_cndmask_b32_e32 v33, v3, v5, vcc
	v_cndmask_b32_e64 v33, v33, v7, s[8:9]
	v_cndmask_b32_e32 v35, v2, v4, vcc
	v_cmp_eq_u32_e32 vcc, 3, v30
	s_or_b64 s[12:13], s[6:7], s[12:13]
	v_cndmask_b32_e64 v35, v35, v6, s[8:9]
	v_cndmask_b32_e32 v33, v33, v9, vcc
	v_cmp_eq_u32_e64 s[6:7], 4, v30
	v_cndmask_b32_e32 v35, v35, v8, vcc
	v_cmp_eq_u32_e32 vcc, 5, v30
	v_cndmask_b32_e64 v33, v33, v11, s[6:7]
	v_cndmask_b32_e64 v35, v35, v10, s[6:7]
	s_waitcnt vmcnt(7)
	v_cndmask_b32_e32 v33, v33, v13, vcc
	v_cmp_eq_u32_e64 s[6:7], 6, v30
	v_cndmask_b32_e32 v35, v35, v12, vcc
	v_cmp_eq_u32_e32 vcc, 7, v30
	s_waitcnt vmcnt(6)
	v_cndmask_b32_e64 v33, v33, v15, s[6:7]
	v_cndmask_b32_e64 v35, v35, v14, s[6:7]
	s_waitcnt vmcnt(5)
	v_cndmask_b32_e32 v33, v33, v17, vcc
	v_cmp_eq_u32_e64 s[6:7], 8, v30
	v_cndmask_b32_e32 v35, v35, v16, vcc
	v_cmp_eq_u32_e32 vcc, 9, v30
	s_waitcnt vmcnt(4)
	v_cndmask_b32_e64 v33, v33, v19, s[6:7]
	ds_read_b64 v[36:37], v32
	s_waitcnt vmcnt(3)
	v_cndmask_b32_e32 v33, v33, v21, vcc
	v_cndmask_b32_e64 v35, v35, v18, s[6:7]
	v_cmp_eq_u32_e64 s[6:7], 10, v30
	v_cndmask_b32_e32 v35, v35, v20, vcc
	v_cmp_eq_u32_e32 vcc, 11, v30
	s_waitcnt vmcnt(2)
	v_cndmask_b32_e64 v33, v33, v23, s[6:7]
	v_cndmask_b32_e64 v35, v35, v22, s[6:7]
	s_waitcnt vmcnt(1)
	v_cndmask_b32_e32 v33, v33, v25, vcc
	v_cmp_eq_u32_e64 s[6:7], 12, v30
	v_add_u32_e32 v32, 8, v32
	s_waitcnt vmcnt(0)
	v_cndmask_b32_e64 v39, v33, v27, s[6:7]
	v_cndmask_b32_e32 v33, v35, v24, vcc
	v_cndmask_b32_e64 v38, v33, v26, s[6:7]
	s_waitcnt lgkmcnt(0)
	v_fmac_f64_e32 v[28:29], v[38:39], v[36:37]
	s_andn2_b64 exec, exec, s[12:13]
	s_cbranch_execnz .LBB12_205
; %bb.206:
	s_or_b64 exec, exec, s[12:13]
.LBB12_207:
	s_or_b64 exec, exec, s[10:11]
	v_mov_b32_e32 v10, 0
	ds_read_b64 v[10:11], v10 offset:32
	s_waitcnt lgkmcnt(0)
	v_mul_f64 v[10:11], v[28:29], v[10:11]
.LBB12_208:
	s_or_b64 exec, exec, s[28:29]
	v_cmp_gt_u32_e64 s[6:7], 5, v0
	s_waitcnt vmcnt(7)
	ds_write_b64 v97, v[12:13]
	s_waitcnt lgkmcnt(0)
	; wave barrier
	s_and_saveexec_b64 s[30:31], s[6:7]
	s_cbranch_execz .LBB12_218
; %bb.209:
	s_and_b64 vcc, exec, s[0:1]
	s_cbranch_vccnz .LBB12_211
; %bb.210:
	v_cmp_eq_u32_e32 vcc, 1, v0
	v_cmp_eq_u32_e64 s[8:9], 2, v0
	v_cmp_eq_u32_e64 s[10:11], 3, v0
	v_cndmask_b32_e32 v28, v3, v5, vcc
	v_cndmask_b32_e64 v28, v28, v7, s[8:9]
	v_cndmask_b32_e64 v28, v28, v9, s[10:11]
	v_cmp_eq_u32_e64 s[12:13], 4, v0
	v_cmp_eq_u32_e64 s[14:15], 5, v0
	;; [unrolled: 1-line block ×3, first 2 shown]
	v_cndmask_b32_e64 v28, v28, v11, s[12:13]
	v_cndmask_b32_e64 v28, v28, v13, s[14:15]
	s_waitcnt vmcnt(6)
	v_cndmask_b32_e64 v28, v28, v15, s[16:17]
	v_cmp_eq_u32_e64 s[18:19], 7, v0
	v_cmp_eq_u32_e64 s[20:21], 8, v0
	;; [unrolled: 1-line block ×3, first 2 shown]
	s_waitcnt vmcnt(5)
	v_cndmask_b32_e64 v28, v28, v17, s[18:19]
	s_waitcnt vmcnt(4)
	v_cndmask_b32_e64 v28, v28, v19, s[20:21]
	;; [unrolled: 2-line block ×3, first 2 shown]
	v_cmp_eq_u32_e64 s[24:25], 10, v0
	v_cmp_eq_u32_e64 s[26:27], 11, v0
	;; [unrolled: 1-line block ×3, first 2 shown]
	s_waitcnt vmcnt(2)
	v_cndmask_b32_e64 v28, v28, v23, s[24:25]
	s_waitcnt vmcnt(1)
	v_cndmask_b32_e64 v28, v28, v25, s[26:27]
	;; [unrolled: 2-line block ×3, first 2 shown]
	v_cndmask_b32_e32 v28, v2, v4, vcc
	v_cndmask_b32_e64 v28, v28, v6, s[8:9]
	v_cndmask_b32_e64 v28, v28, v8, s[10:11]
	;; [unrolled: 1-line block ×7, first 2 shown]
	ds_read_b64 v[30:31], v97
	v_cndmask_b32_e64 v28, v28, v20, s[22:23]
	v_cndmask_b32_e64 v28, v28, v22, s[24:25]
	;; [unrolled: 1-line block ×4, first 2 shown]
	s_waitcnt lgkmcnt(0)
	v_mul_f64 v[28:29], v[28:29], v[30:31]
	s_cbranch_execz .LBB12_212
	s_branch .LBB12_213
.LBB12_211:
                                        ; implicit-def: $vgpr28_vgpr29
.LBB12_212:
	ds_read_b64 v[28:29], v97
.LBB12_213:
	v_cmp_ne_u32_e32 vcc, 4, v0
	s_and_saveexec_b64 s[12:13], vcc
	s_cbranch_execz .LBB12_217
; %bb.214:
	v_mov_b32_e32 v30, 0x78
	v_lshl_add_u32 v32, v0, 3, v30
	s_mov_b64 s[14:15], 0
	v_mov_b64_e32 v[30:31], v[0:1]
.LBB12_215:                             ; =>This Inner Loop Header: Depth=1
	v_lshl_add_u64 v[30:31], v[30:31], 0, 1
	v_cmp_eq_u32_e32 vcc, 1, v30
	v_cmp_eq_u32_e64 s[10:11], 2, v30
	v_cmp_lt_u32_e64 s[8:9], 3, v30
	v_cndmask_b32_e32 v33, v3, v5, vcc
	v_cndmask_b32_e64 v33, v33, v7, s[10:11]
	v_cndmask_b32_e32 v35, v2, v4, vcc
	v_cmp_eq_u32_e32 vcc, 3, v30
	s_or_b64 s[14:15], s[8:9], s[14:15]
	v_cndmask_b32_e64 v35, v35, v6, s[10:11]
	v_cndmask_b32_e32 v33, v33, v9, vcc
	v_cmp_eq_u32_e64 s[8:9], 4, v30
	v_cndmask_b32_e32 v35, v35, v8, vcc
	v_cmp_eq_u32_e32 vcc, 5, v30
	v_cndmask_b32_e64 v33, v33, v11, s[8:9]
	v_cndmask_b32_e64 v35, v35, v10, s[8:9]
	v_cndmask_b32_e32 v33, v33, v13, vcc
	v_cmp_eq_u32_e64 s[8:9], 6, v30
	v_cndmask_b32_e32 v35, v35, v12, vcc
	v_cmp_eq_u32_e32 vcc, 7, v30
	s_waitcnt vmcnt(6)
	v_cndmask_b32_e64 v33, v33, v15, s[8:9]
	v_cndmask_b32_e64 v35, v35, v14, s[8:9]
	s_waitcnt vmcnt(5)
	v_cndmask_b32_e32 v33, v33, v17, vcc
	v_cmp_eq_u32_e64 s[8:9], 8, v30
	v_cndmask_b32_e32 v35, v35, v16, vcc
	v_cmp_eq_u32_e32 vcc, 9, v30
	s_waitcnt vmcnt(4)
	v_cndmask_b32_e64 v33, v33, v19, s[8:9]
	ds_read_b64 v[36:37], v32
	s_waitcnt vmcnt(3)
	v_cndmask_b32_e32 v33, v33, v21, vcc
	v_cndmask_b32_e64 v35, v35, v18, s[8:9]
	v_cmp_eq_u32_e64 s[8:9], 10, v30
	v_cndmask_b32_e32 v35, v35, v20, vcc
	v_cmp_eq_u32_e32 vcc, 11, v30
	s_waitcnt vmcnt(2)
	v_cndmask_b32_e64 v33, v33, v23, s[8:9]
	v_cndmask_b32_e64 v35, v35, v22, s[8:9]
	s_waitcnt vmcnt(1)
	v_cndmask_b32_e32 v33, v33, v25, vcc
	v_cmp_eq_u32_e64 s[8:9], 12, v30
	v_add_u32_e32 v32, 8, v32
	s_waitcnt vmcnt(0)
	v_cndmask_b32_e64 v39, v33, v27, s[8:9]
	v_cndmask_b32_e32 v33, v35, v24, vcc
	v_cndmask_b32_e64 v38, v33, v26, s[8:9]
	s_waitcnt lgkmcnt(0)
	v_fmac_f64_e32 v[28:29], v[38:39], v[36:37]
	s_andn2_b64 exec, exec, s[14:15]
	s_cbranch_execnz .LBB12_215
; %bb.216:
	s_or_b64 exec, exec, s[14:15]
.LBB12_217:
	s_or_b64 exec, exec, s[12:13]
	v_mov_b32_e32 v12, 0
	ds_read_b64 v[12:13], v12 offset:40
	s_waitcnt lgkmcnt(0)
	v_mul_f64 v[12:13], v[28:29], v[12:13]
.LBB12_218:
	s_or_b64 exec, exec, s[30:31]
	v_cmp_gt_u32_e32 vcc, 6, v0
	s_waitcnt vmcnt(6)
	ds_write_b64 v97, v[14:15]
	s_waitcnt lgkmcnt(0)
	; wave barrier
	s_and_saveexec_b64 s[30:31], vcc
	s_cbranch_execz .LBB12_228
; %bb.219:
	s_and_b64 vcc, exec, s[0:1]
	s_cbranch_vccnz .LBB12_221
; %bb.220:
	v_cmp_eq_u32_e32 vcc, 1, v0
	v_cmp_eq_u32_e64 s[8:9], 2, v0
	v_cmp_eq_u32_e64 s[10:11], 3, v0
	v_cndmask_b32_e32 v28, v3, v5, vcc
	v_cndmask_b32_e64 v28, v28, v7, s[8:9]
	v_cndmask_b32_e64 v28, v28, v9, s[10:11]
	v_cmp_eq_u32_e64 s[12:13], 4, v0
	v_cmp_eq_u32_e64 s[14:15], 5, v0
	v_cmp_eq_u32_e64 s[16:17], 6, v0
	v_cndmask_b32_e64 v28, v28, v11, s[12:13]
	v_cndmask_b32_e64 v28, v28, v13, s[14:15]
	;; [unrolled: 1-line block ×3, first 2 shown]
	v_cmp_eq_u32_e64 s[18:19], 7, v0
	v_cmp_eq_u32_e64 s[20:21], 8, v0
	v_cmp_eq_u32_e64 s[22:23], 9, v0
	s_waitcnt vmcnt(5)
	v_cndmask_b32_e64 v28, v28, v17, s[18:19]
	s_waitcnt vmcnt(4)
	v_cndmask_b32_e64 v28, v28, v19, s[20:21]
	;; [unrolled: 2-line block ×3, first 2 shown]
	v_cmp_eq_u32_e64 s[24:25], 10, v0
	v_cmp_eq_u32_e64 s[26:27], 11, v0
	;; [unrolled: 1-line block ×3, first 2 shown]
	s_waitcnt vmcnt(2)
	v_cndmask_b32_e64 v28, v28, v23, s[24:25]
	s_waitcnt vmcnt(1)
	v_cndmask_b32_e64 v28, v28, v25, s[26:27]
	s_waitcnt vmcnt(0)
	v_cndmask_b32_e64 v29, v28, v27, s[28:29]
	v_cndmask_b32_e32 v28, v2, v4, vcc
	v_cndmask_b32_e64 v28, v28, v6, s[8:9]
	v_cndmask_b32_e64 v28, v28, v8, s[10:11]
	;; [unrolled: 1-line block ×7, first 2 shown]
	ds_read_b64 v[30:31], v97
	v_cndmask_b32_e64 v28, v28, v20, s[22:23]
	v_cndmask_b32_e64 v28, v28, v22, s[24:25]
	;; [unrolled: 1-line block ×4, first 2 shown]
	s_waitcnt lgkmcnt(0)
	v_mul_f64 v[28:29], v[28:29], v[30:31]
	s_cbranch_execz .LBB12_222
	s_branch .LBB12_223
.LBB12_221:
                                        ; implicit-def: $vgpr28_vgpr29
.LBB12_222:
	ds_read_b64 v[28:29], v97
.LBB12_223:
	v_cmp_ne_u32_e32 vcc, 5, v0
	s_and_saveexec_b64 s[12:13], vcc
	s_cbranch_execz .LBB12_227
; %bb.224:
	v_mov_b32_e32 v30, 0x78
	v_lshl_add_u32 v32, v0, 3, v30
	s_mov_b64 s[14:15], 0
	v_mov_b64_e32 v[30:31], v[0:1]
.LBB12_225:                             ; =>This Inner Loop Header: Depth=1
	v_lshl_add_u64 v[30:31], v[30:31], 0, 1
	v_cmp_eq_u32_e32 vcc, 1, v30
	v_cmp_eq_u32_e64 s[10:11], 2, v30
	v_cmp_lt_u32_e64 s[8:9], 4, v30
	v_cndmask_b32_e32 v33, v3, v5, vcc
	v_cndmask_b32_e64 v33, v33, v7, s[10:11]
	v_cndmask_b32_e32 v35, v2, v4, vcc
	v_cmp_eq_u32_e32 vcc, 3, v30
	s_or_b64 s[14:15], s[8:9], s[14:15]
	v_cndmask_b32_e64 v35, v35, v6, s[10:11]
	v_cndmask_b32_e32 v33, v33, v9, vcc
	v_cmp_eq_u32_e64 s[8:9], 4, v30
	v_cndmask_b32_e32 v35, v35, v8, vcc
	v_cmp_eq_u32_e32 vcc, 5, v30
	v_cndmask_b32_e64 v33, v33, v11, s[8:9]
	v_cndmask_b32_e64 v35, v35, v10, s[8:9]
	v_cndmask_b32_e32 v33, v33, v13, vcc
	v_cmp_eq_u32_e64 s[8:9], 6, v30
	v_cndmask_b32_e32 v35, v35, v12, vcc
	v_cmp_eq_u32_e32 vcc, 7, v30
	v_cndmask_b32_e64 v33, v33, v15, s[8:9]
	v_cndmask_b32_e64 v35, v35, v14, s[8:9]
	s_waitcnt vmcnt(5)
	v_cndmask_b32_e32 v33, v33, v17, vcc
	v_cmp_eq_u32_e64 s[8:9], 8, v30
	v_cndmask_b32_e32 v35, v35, v16, vcc
	v_cmp_eq_u32_e32 vcc, 9, v30
	s_waitcnt vmcnt(4)
	v_cndmask_b32_e64 v33, v33, v19, s[8:9]
	ds_read_b64 v[36:37], v32
	s_waitcnt vmcnt(3)
	v_cndmask_b32_e32 v33, v33, v21, vcc
	v_cndmask_b32_e64 v35, v35, v18, s[8:9]
	v_cmp_eq_u32_e64 s[8:9], 10, v30
	v_cndmask_b32_e32 v35, v35, v20, vcc
	v_cmp_eq_u32_e32 vcc, 11, v30
	s_waitcnt vmcnt(2)
	v_cndmask_b32_e64 v33, v33, v23, s[8:9]
	v_cndmask_b32_e64 v35, v35, v22, s[8:9]
	s_waitcnt vmcnt(1)
	v_cndmask_b32_e32 v33, v33, v25, vcc
	v_cmp_eq_u32_e64 s[8:9], 12, v30
	v_add_u32_e32 v32, 8, v32
	s_waitcnt vmcnt(0)
	v_cndmask_b32_e64 v39, v33, v27, s[8:9]
	v_cndmask_b32_e32 v33, v35, v24, vcc
	v_cndmask_b32_e64 v38, v33, v26, s[8:9]
	s_waitcnt lgkmcnt(0)
	v_fmac_f64_e32 v[28:29], v[38:39], v[36:37]
	s_andn2_b64 exec, exec, s[14:15]
	s_cbranch_execnz .LBB12_225
; %bb.226:
	s_or_b64 exec, exec, s[14:15]
.LBB12_227:
	s_or_b64 exec, exec, s[12:13]
	v_mov_b32_e32 v14, 0
	ds_read_b64 v[14:15], v14 offset:48
	s_waitcnt lgkmcnt(0)
	v_mul_f64 v[14:15], v[28:29], v[14:15]
.LBB12_228:
	s_or_b64 exec, exec, s[30:31]
	v_cmp_gt_u32_e64 s[8:9], 7, v0
	s_waitcnt vmcnt(5)
	ds_write_b64 v97, v[16:17]
	s_waitcnt lgkmcnt(0)
	; wave barrier
	s_and_saveexec_b64 s[34:35], s[8:9]
	s_cbranch_execz .LBB12_238
; %bb.229:
	s_and_b64 vcc, exec, s[0:1]
	s_cbranch_vccnz .LBB12_231
; %bb.230:
	v_cmp_eq_u32_e32 vcc, 1, v0
	v_cmp_eq_u32_e64 s[10:11], 2, v0
	v_cmp_eq_u32_e64 s[12:13], 3, v0
	v_cndmask_b32_e32 v28, v3, v5, vcc
	v_cndmask_b32_e64 v28, v28, v7, s[10:11]
	v_cndmask_b32_e64 v28, v28, v9, s[12:13]
	v_cmp_eq_u32_e64 s[14:15], 4, v0
	v_cmp_eq_u32_e64 s[16:17], 5, v0
	;; [unrolled: 1-line block ×3, first 2 shown]
	v_cndmask_b32_e64 v28, v28, v11, s[14:15]
	v_cndmask_b32_e64 v28, v28, v13, s[16:17]
	;; [unrolled: 1-line block ×3, first 2 shown]
	v_cmp_eq_u32_e64 s[20:21], 7, v0
	v_cmp_eq_u32_e64 s[22:23], 8, v0
	;; [unrolled: 1-line block ×3, first 2 shown]
	v_cndmask_b32_e64 v28, v28, v17, s[20:21]
	s_waitcnt vmcnt(4)
	v_cndmask_b32_e64 v28, v28, v19, s[22:23]
	s_waitcnt vmcnt(3)
	v_cndmask_b32_e64 v28, v28, v21, s[24:25]
	v_cmp_eq_u32_e64 s[26:27], 10, v0
	v_cmp_eq_u32_e64 s[28:29], 11, v0
	;; [unrolled: 1-line block ×3, first 2 shown]
	s_waitcnt vmcnt(2)
	v_cndmask_b32_e64 v28, v28, v23, s[26:27]
	s_waitcnt vmcnt(1)
	v_cndmask_b32_e64 v28, v28, v25, s[28:29]
	;; [unrolled: 2-line block ×3, first 2 shown]
	v_cndmask_b32_e32 v28, v2, v4, vcc
	v_cndmask_b32_e64 v28, v28, v6, s[10:11]
	v_cndmask_b32_e64 v28, v28, v8, s[12:13]
	;; [unrolled: 1-line block ×7, first 2 shown]
	ds_read_b64 v[30:31], v97
	v_cndmask_b32_e64 v28, v28, v20, s[24:25]
	v_cndmask_b32_e64 v28, v28, v22, s[26:27]
	;; [unrolled: 1-line block ×4, first 2 shown]
	s_waitcnt lgkmcnt(0)
	v_mul_f64 v[28:29], v[28:29], v[30:31]
	s_cbranch_execz .LBB12_232
	s_branch .LBB12_233
.LBB12_231:
                                        ; implicit-def: $vgpr28_vgpr29
.LBB12_232:
	ds_read_b64 v[28:29], v97
.LBB12_233:
	v_cmp_ne_u32_e32 vcc, 6, v0
	s_and_saveexec_b64 s[14:15], vcc
	s_cbranch_execz .LBB12_237
; %bb.234:
	v_mov_b32_e32 v30, 0x78
	v_lshl_add_u32 v32, v0, 3, v30
	s_mov_b64 s[16:17], 0
	v_mov_b64_e32 v[30:31], v[0:1]
.LBB12_235:                             ; =>This Inner Loop Header: Depth=1
	v_lshl_add_u64 v[30:31], v[30:31], 0, 1
	v_cmp_eq_u32_e32 vcc, 1, v30
	v_cmp_eq_u32_e64 s[12:13], 2, v30
	v_cmp_lt_u32_e64 s[10:11], 5, v30
	v_cndmask_b32_e32 v33, v3, v5, vcc
	v_cndmask_b32_e64 v33, v33, v7, s[12:13]
	v_cndmask_b32_e32 v35, v2, v4, vcc
	v_cmp_eq_u32_e32 vcc, 3, v30
	s_or_b64 s[16:17], s[10:11], s[16:17]
	v_cndmask_b32_e64 v35, v35, v6, s[12:13]
	v_cndmask_b32_e32 v33, v33, v9, vcc
	v_cmp_eq_u32_e64 s[10:11], 4, v30
	v_cndmask_b32_e32 v35, v35, v8, vcc
	v_cmp_eq_u32_e32 vcc, 5, v30
	v_cndmask_b32_e64 v33, v33, v11, s[10:11]
	v_cndmask_b32_e64 v35, v35, v10, s[10:11]
	v_cndmask_b32_e32 v33, v33, v13, vcc
	v_cmp_eq_u32_e64 s[10:11], 6, v30
	v_cndmask_b32_e32 v35, v35, v12, vcc
	v_cmp_eq_u32_e32 vcc, 7, v30
	v_cndmask_b32_e64 v33, v33, v15, s[10:11]
	v_cndmask_b32_e64 v35, v35, v14, s[10:11]
	v_cndmask_b32_e32 v33, v33, v17, vcc
	v_cmp_eq_u32_e64 s[10:11], 8, v30
	v_cndmask_b32_e32 v35, v35, v16, vcc
	v_cmp_eq_u32_e32 vcc, 9, v30
	s_waitcnt vmcnt(4)
	v_cndmask_b32_e64 v33, v33, v19, s[10:11]
	ds_read_b64 v[36:37], v32
	s_waitcnt vmcnt(3)
	v_cndmask_b32_e32 v33, v33, v21, vcc
	v_cndmask_b32_e64 v35, v35, v18, s[10:11]
	v_cmp_eq_u32_e64 s[10:11], 10, v30
	v_cndmask_b32_e32 v35, v35, v20, vcc
	v_cmp_eq_u32_e32 vcc, 11, v30
	s_waitcnt vmcnt(2)
	v_cndmask_b32_e64 v33, v33, v23, s[10:11]
	v_cndmask_b32_e64 v35, v35, v22, s[10:11]
	s_waitcnt vmcnt(1)
	v_cndmask_b32_e32 v33, v33, v25, vcc
	v_cmp_eq_u32_e64 s[10:11], 12, v30
	v_add_u32_e32 v32, 8, v32
	s_waitcnt vmcnt(0)
	v_cndmask_b32_e64 v39, v33, v27, s[10:11]
	v_cndmask_b32_e32 v33, v35, v24, vcc
	v_cndmask_b32_e64 v38, v33, v26, s[10:11]
	s_waitcnt lgkmcnt(0)
	v_fmac_f64_e32 v[28:29], v[38:39], v[36:37]
	s_andn2_b64 exec, exec, s[16:17]
	s_cbranch_execnz .LBB12_235
; %bb.236:
	s_or_b64 exec, exec, s[16:17]
.LBB12_237:
	s_or_b64 exec, exec, s[14:15]
	v_mov_b32_e32 v16, 0
	ds_read_b64 v[16:17], v16 offset:56
	s_waitcnt lgkmcnt(0)
	v_mul_f64 v[16:17], v[28:29], v[16:17]
.LBB12_238:
	s_or_b64 exec, exec, s[34:35]
	v_cmp_gt_u32_e32 vcc, 8, v0
	s_waitcnt vmcnt(4)
	ds_write_b64 v97, v[18:19]
	s_waitcnt lgkmcnt(0)
	; wave barrier
	s_and_saveexec_b64 s[34:35], vcc
	s_cbranch_execz .LBB12_248
; %bb.239:
	s_and_b64 vcc, exec, s[0:1]
	s_cbranch_vccnz .LBB12_241
; %bb.240:
	v_cmp_eq_u32_e32 vcc, 1, v0
	v_cmp_eq_u32_e64 s[10:11], 2, v0
	v_cmp_eq_u32_e64 s[12:13], 3, v0
	v_cndmask_b32_e32 v28, v3, v5, vcc
	v_cndmask_b32_e64 v28, v28, v7, s[10:11]
	v_cndmask_b32_e64 v28, v28, v9, s[12:13]
	v_cmp_eq_u32_e64 s[14:15], 4, v0
	v_cmp_eq_u32_e64 s[16:17], 5, v0
	v_cmp_eq_u32_e64 s[18:19], 6, v0
	v_cndmask_b32_e64 v28, v28, v11, s[14:15]
	v_cndmask_b32_e64 v28, v28, v13, s[16:17]
	;; [unrolled: 1-line block ×3, first 2 shown]
	v_cmp_eq_u32_e64 s[20:21], 7, v0
	v_cmp_eq_u32_e64 s[22:23], 8, v0
	;; [unrolled: 1-line block ×3, first 2 shown]
	v_cndmask_b32_e64 v28, v28, v17, s[20:21]
	v_cndmask_b32_e64 v28, v28, v19, s[22:23]
	s_waitcnt vmcnt(3)
	v_cndmask_b32_e64 v28, v28, v21, s[24:25]
	v_cmp_eq_u32_e64 s[26:27], 10, v0
	v_cmp_eq_u32_e64 s[28:29], 11, v0
	;; [unrolled: 1-line block ×3, first 2 shown]
	s_waitcnt vmcnt(2)
	v_cndmask_b32_e64 v28, v28, v23, s[26:27]
	s_waitcnt vmcnt(1)
	v_cndmask_b32_e64 v28, v28, v25, s[28:29]
	;; [unrolled: 2-line block ×3, first 2 shown]
	v_cndmask_b32_e32 v28, v2, v4, vcc
	v_cndmask_b32_e64 v28, v28, v6, s[10:11]
	v_cndmask_b32_e64 v28, v28, v8, s[12:13]
	;; [unrolled: 1-line block ×7, first 2 shown]
	ds_read_b64 v[30:31], v97
	v_cndmask_b32_e64 v28, v28, v20, s[24:25]
	v_cndmask_b32_e64 v28, v28, v22, s[26:27]
	;; [unrolled: 1-line block ×4, first 2 shown]
	s_waitcnt lgkmcnt(0)
	v_mul_f64 v[28:29], v[28:29], v[30:31]
	s_cbranch_execz .LBB12_242
	s_branch .LBB12_243
.LBB12_241:
                                        ; implicit-def: $vgpr28_vgpr29
.LBB12_242:
	ds_read_b64 v[28:29], v97
.LBB12_243:
	v_cmp_ne_u32_e32 vcc, 7, v0
	s_and_saveexec_b64 s[14:15], vcc
	s_cbranch_execz .LBB12_247
; %bb.244:
	v_mov_b32_e32 v30, 0x78
	v_lshl_add_u32 v32, v0, 3, v30
	s_mov_b64 s[16:17], 0
	v_mov_b64_e32 v[30:31], v[0:1]
.LBB12_245:                             ; =>This Inner Loop Header: Depth=1
	v_lshl_add_u64 v[30:31], v[30:31], 0, 1
	v_cmp_eq_u32_e32 vcc, 1, v30
	v_cmp_eq_u32_e64 s[12:13], 2, v30
	v_cmp_lt_u32_e64 s[10:11], 6, v30
	v_cndmask_b32_e32 v33, v3, v5, vcc
	v_cndmask_b32_e64 v33, v33, v7, s[12:13]
	v_cndmask_b32_e32 v35, v2, v4, vcc
	v_cmp_eq_u32_e32 vcc, 3, v30
	s_or_b64 s[16:17], s[10:11], s[16:17]
	v_cndmask_b32_e64 v35, v35, v6, s[12:13]
	v_cndmask_b32_e32 v33, v33, v9, vcc
	v_cmp_eq_u32_e64 s[10:11], 4, v30
	v_cndmask_b32_e32 v35, v35, v8, vcc
	v_cmp_eq_u32_e32 vcc, 5, v30
	v_cndmask_b32_e64 v33, v33, v11, s[10:11]
	v_cndmask_b32_e64 v35, v35, v10, s[10:11]
	v_cndmask_b32_e32 v33, v33, v13, vcc
	v_cmp_eq_u32_e64 s[10:11], 6, v30
	v_cndmask_b32_e32 v35, v35, v12, vcc
	v_cmp_eq_u32_e32 vcc, 7, v30
	v_cndmask_b32_e64 v33, v33, v15, s[10:11]
	;; [unrolled: 6-line block ×3, first 2 shown]
	ds_read_b64 v[36:37], v32
	s_waitcnt vmcnt(3)
	v_cndmask_b32_e32 v33, v33, v21, vcc
	v_cndmask_b32_e64 v35, v35, v18, s[10:11]
	v_cmp_eq_u32_e64 s[10:11], 10, v30
	v_cndmask_b32_e32 v35, v35, v20, vcc
	v_cmp_eq_u32_e32 vcc, 11, v30
	s_waitcnt vmcnt(2)
	v_cndmask_b32_e64 v33, v33, v23, s[10:11]
	v_cndmask_b32_e64 v35, v35, v22, s[10:11]
	s_waitcnt vmcnt(1)
	v_cndmask_b32_e32 v33, v33, v25, vcc
	v_cmp_eq_u32_e64 s[10:11], 12, v30
	v_add_u32_e32 v32, 8, v32
	s_waitcnt vmcnt(0)
	v_cndmask_b32_e64 v39, v33, v27, s[10:11]
	v_cndmask_b32_e32 v33, v35, v24, vcc
	v_cndmask_b32_e64 v38, v33, v26, s[10:11]
	s_waitcnt lgkmcnt(0)
	v_fmac_f64_e32 v[28:29], v[38:39], v[36:37]
	s_andn2_b64 exec, exec, s[16:17]
	s_cbranch_execnz .LBB12_245
; %bb.246:
	s_or_b64 exec, exec, s[16:17]
.LBB12_247:
	s_or_b64 exec, exec, s[14:15]
	v_mov_b32_e32 v18, 0
	ds_read_b64 v[18:19], v18 offset:64
	s_waitcnt lgkmcnt(0)
	v_mul_f64 v[18:19], v[28:29], v[18:19]
.LBB12_248:
	s_or_b64 exec, exec, s[34:35]
	v_cmp_gt_u32_e32 vcc, 9, v0
	s_waitcnt vmcnt(3)
	ds_write_b64 v97, v[20:21]
	s_waitcnt lgkmcnt(0)
	; wave barrier
	s_and_saveexec_b64 s[34:35], vcc
	s_cbranch_execz .LBB12_270
; %bb.249:
	s_and_b64 vcc, exec, s[0:1]
	s_cbranch_vccnz .LBB12_251
; %bb.250:
	v_cmp_eq_u32_e32 vcc, 1, v0
	v_cmp_eq_u32_e64 s[10:11], 2, v0
	v_cmp_eq_u32_e64 s[12:13], 3, v0
	v_cndmask_b32_e32 v28, v3, v5, vcc
	v_cndmask_b32_e64 v28, v28, v7, s[10:11]
	v_cndmask_b32_e64 v28, v28, v9, s[12:13]
	v_cmp_eq_u32_e64 s[14:15], 4, v0
	v_cmp_eq_u32_e64 s[16:17], 5, v0
	;; [unrolled: 1-line block ×3, first 2 shown]
	v_cndmask_b32_e64 v28, v28, v11, s[14:15]
	v_cndmask_b32_e64 v28, v28, v13, s[16:17]
	;; [unrolled: 1-line block ×3, first 2 shown]
	v_cmp_eq_u32_e64 s[20:21], 7, v0
	v_cmp_eq_u32_e64 s[22:23], 8, v0
	;; [unrolled: 1-line block ×3, first 2 shown]
	v_cndmask_b32_e64 v28, v28, v17, s[20:21]
	v_cndmask_b32_e64 v28, v28, v19, s[22:23]
	;; [unrolled: 1-line block ×3, first 2 shown]
	v_cmp_eq_u32_e64 s[26:27], 10, v0
	v_cmp_eq_u32_e64 s[28:29], 11, v0
	;; [unrolled: 1-line block ×3, first 2 shown]
	s_waitcnt vmcnt(2)
	v_cndmask_b32_e64 v28, v28, v23, s[26:27]
	s_waitcnt vmcnt(1)
	v_cndmask_b32_e64 v28, v28, v25, s[28:29]
	;; [unrolled: 2-line block ×3, first 2 shown]
	v_cndmask_b32_e32 v28, v2, v4, vcc
	v_cndmask_b32_e64 v28, v28, v6, s[10:11]
	v_cndmask_b32_e64 v28, v28, v8, s[12:13]
	;; [unrolled: 1-line block ×7, first 2 shown]
	ds_read_b64 v[30:31], v97
	v_cndmask_b32_e64 v28, v28, v20, s[24:25]
	v_cndmask_b32_e64 v28, v28, v22, s[26:27]
	;; [unrolled: 1-line block ×4, first 2 shown]
	s_waitcnt lgkmcnt(0)
	v_mul_f64 v[28:29], v[28:29], v[30:31]
	s_cbranch_execz .LBB12_252
	s_branch .LBB12_253
.LBB12_251:
                                        ; implicit-def: $vgpr28_vgpr29
.LBB12_252:
	ds_read_b64 v[28:29], v97
.LBB12_253:
	v_cmp_ne_u32_e32 vcc, 8, v0
	s_and_saveexec_b64 s[36:37], vcc
	s_cbranch_execz .LBB12_269
; %bb.254:
	v_cmp_eq_u32_e32 vcc, 1, v34
	v_cmp_eq_u32_e64 s[10:11], 2, v34
	v_cmp_eq_u32_e64 s[12:13], 3, v34
	v_cndmask_b32_e32 v30, v3, v5, vcc
	v_cndmask_b32_e64 v30, v30, v7, s[10:11]
	v_cndmask_b32_e64 v30, v30, v9, s[12:13]
	v_cmp_eq_u32_e64 s[14:15], 4, v34
	v_cmp_eq_u32_e64 s[16:17], 5, v34
	;; [unrolled: 1-line block ×3, first 2 shown]
	v_cndmask_b32_e64 v30, v30, v11, s[14:15]
	v_cndmask_b32_e64 v30, v30, v13, s[16:17]
	v_cndmask_b32_e64 v30, v30, v15, s[18:19]
	v_cmp_eq_u32_e64 s[20:21], 7, v34
	v_cmp_eq_u32_e64 s[22:23], 8, v34
	;; [unrolled: 1-line block ×3, first 2 shown]
	v_cndmask_b32_e64 v30, v30, v17, s[20:21]
	v_cndmask_b32_e64 v30, v30, v19, s[22:23]
	;; [unrolled: 1-line block ×3, first 2 shown]
	v_cmp_eq_u32_e64 s[26:27], 10, v34
	v_cmp_eq_u32_e64 s[28:29], 11, v34
	;; [unrolled: 1-line block ×3, first 2 shown]
	s_waitcnt vmcnt(2)
	v_cndmask_b32_e64 v30, v30, v23, s[26:27]
	s_waitcnt vmcnt(1)
	v_cndmask_b32_e64 v30, v30, v25, s[28:29]
	;; [unrolled: 2-line block ×3, first 2 shown]
	v_cndmask_b32_e32 v30, v2, v4, vcc
	v_cndmask_b32_e64 v30, v30, v6, s[10:11]
	v_cndmask_b32_e64 v30, v30, v8, s[12:13]
	;; [unrolled: 1-line block ×7, first 2 shown]
	ds_read_b64 v[32:33], v97 offset:8
	v_cndmask_b32_e64 v30, v30, v20, s[24:25]
	v_cndmask_b32_e64 v30, v30, v22, s[26:27]
	;; [unrolled: 1-line block ×4, first 2 shown]
	s_waitcnt lgkmcnt(0)
	v_fmac_f64_e32 v[28:29], v[30:31], v[32:33]
	s_and_saveexec_b64 s[30:31], s[8:9]
	s_cbranch_execz .LBB12_268
; %bb.255:
	v_add_u32_e32 v30, 2, v0
	v_cmp_eq_u32_e32 vcc, 1, v30
	v_cmp_eq_u32_e64 s[8:9], 2, v30
	v_cmp_eq_u32_e64 s[10:11], 3, v30
	v_cndmask_b32_e32 v31, v3, v5, vcc
	v_cmp_eq_u32_e64 s[12:13], 4, v30
	v_cmp_eq_u32_e64 s[14:15], 5, v30
	v_cmp_eq_u32_e64 s[16:17], 6, v30
	v_cmp_eq_u32_e64 s[18:19], 7, v30
	v_cmp_eq_u32_e64 s[20:21], 8, v30
	v_cmp_eq_u32_e64 s[22:23], 9, v30
	v_cmp_eq_u32_e64 s[24:25], 10, v30
	v_cmp_eq_u32_e64 s[26:27], 11, v30
	v_cmp_eq_u32_e64 s[28:29], 12, v30
	v_cndmask_b32_e32 v30, v2, v4, vcc
	v_cndmask_b32_e64 v31, v31, v7, s[8:9]
	v_cndmask_b32_e64 v30, v30, v6, s[8:9]
	;; [unrolled: 1-line block ×14, first 2 shown]
	ds_read_b64 v[32:33], v97 offset:16
	v_cndmask_b32_e64 v31, v31, v21, s[22:23]
	v_cndmask_b32_e64 v30, v30, v20, s[22:23]
	;; [unrolled: 1-line block ×8, first 2 shown]
	s_waitcnt lgkmcnt(0)
	v_fmac_f64_e32 v[28:29], v[30:31], v[32:33]
	v_cmp_ne_u32_e32 vcc, 6, v0
	s_and_saveexec_b64 s[38:39], vcc
	s_cbranch_execz .LBB12_267
; %bb.256:
	v_add_u32_e32 v30, 3, v0
	v_cmp_eq_u32_e32 vcc, 1, v30
	v_cmp_eq_u32_e64 s[8:9], 2, v30
	v_cmp_eq_u32_e64 s[10:11], 3, v30
	v_cndmask_b32_e32 v31, v3, v5, vcc
	v_cmp_eq_u32_e64 s[12:13], 4, v30
	v_cmp_eq_u32_e64 s[14:15], 5, v30
	v_cmp_eq_u32_e64 s[16:17], 6, v30
	v_cmp_eq_u32_e64 s[18:19], 7, v30
	v_cmp_eq_u32_e64 s[20:21], 8, v30
	v_cmp_eq_u32_e64 s[22:23], 9, v30
	v_cmp_eq_u32_e64 s[24:25], 10, v30
	v_cmp_eq_u32_e64 s[26:27], 11, v30
	v_cmp_eq_u32_e64 s[28:29], 12, v30
	v_cndmask_b32_e32 v30, v2, v4, vcc
	v_cndmask_b32_e64 v31, v31, v7, s[8:9]
	v_cndmask_b32_e64 v30, v30, v6, s[8:9]
	;; [unrolled: 1-line block ×14, first 2 shown]
	ds_read_b64 v[32:33], v97 offset:24
	v_cndmask_b32_e64 v31, v31, v21, s[22:23]
	v_cndmask_b32_e64 v30, v30, v20, s[22:23]
	v_cndmask_b32_e64 v31, v31, v23, s[24:25]
	v_cndmask_b32_e64 v30, v30, v22, s[24:25]
	v_cndmask_b32_e64 v31, v31, v25, s[26:27]
	v_cndmask_b32_e64 v30, v30, v24, s[26:27]
	v_cndmask_b32_e64 v31, v31, v27, s[28:29]
	v_cndmask_b32_e64 v30, v30, v26, s[28:29]
	s_waitcnt lgkmcnt(0)
	v_fmac_f64_e32 v[28:29], v[30:31], v[32:33]
	s_and_saveexec_b64 s[28:29], s[6:7]
	s_cbranch_execz .LBB12_266
; %bb.257:
	v_add_u32_e32 v30, 4, v0
	v_cmp_eq_u32_e32 vcc, 1, v30
	v_cmp_eq_u32_e64 s[6:7], 2, v30
	v_cmp_eq_u32_e64 s[8:9], 3, v30
	v_cndmask_b32_e32 v31, v3, v5, vcc
	v_cmp_eq_u32_e64 s[10:11], 4, v30
	v_cmp_eq_u32_e64 s[12:13], 5, v30
	;; [unrolled: 1-line block ×9, first 2 shown]
	v_cndmask_b32_e32 v30, v2, v4, vcc
	v_cndmask_b32_e64 v31, v31, v7, s[6:7]
	v_cndmask_b32_e64 v30, v30, v6, s[6:7]
	;; [unrolled: 1-line block ×14, first 2 shown]
	ds_read_b64 v[32:33], v97 offset:32
	v_cndmask_b32_e64 v31, v31, v21, s[20:21]
	v_cndmask_b32_e64 v30, v30, v20, s[20:21]
	;; [unrolled: 1-line block ×8, first 2 shown]
	s_waitcnt lgkmcnt(0)
	v_fmac_f64_e32 v[28:29], v[30:31], v[32:33]
	v_cmp_ne_u32_e32 vcc, 4, v0
	s_and_saveexec_b64 s[40:41], vcc
	s_cbranch_execz .LBB12_265
; %bb.258:
	v_add_u32_e32 v30, 5, v0
	v_cmp_eq_u32_e32 vcc, 1, v30
	v_cmp_eq_u32_e64 s[6:7], 2, v30
	v_cmp_eq_u32_e64 s[8:9], 3, v30
	v_cndmask_b32_e32 v31, v3, v5, vcc
	v_cmp_eq_u32_e64 s[10:11], 4, v30
	v_cmp_eq_u32_e64 s[12:13], 5, v30
	;; [unrolled: 1-line block ×9, first 2 shown]
	v_cndmask_b32_e32 v30, v2, v4, vcc
	v_cndmask_b32_e64 v31, v31, v7, s[6:7]
	v_cndmask_b32_e64 v30, v30, v6, s[6:7]
	;; [unrolled: 1-line block ×14, first 2 shown]
	ds_read_b64 v[32:33], v97 offset:40
	v_cndmask_b32_e64 v31, v31, v21, s[20:21]
	v_cndmask_b32_e64 v30, v30, v20, s[20:21]
	;; [unrolled: 1-line block ×8, first 2 shown]
	s_waitcnt lgkmcnt(0)
	v_fmac_f64_e32 v[28:29], v[30:31], v[32:33]
	s_and_saveexec_b64 s[26:27], s[4:5]
	s_cbranch_execz .LBB12_264
; %bb.259:
	v_add_u32_e32 v30, 6, v0
	v_cmp_eq_u32_e32 vcc, 1, v30
	v_cmp_eq_u32_e64 s[4:5], 2, v30
	v_cmp_eq_u32_e64 s[6:7], 3, v30
	v_cndmask_b32_e32 v31, v3, v5, vcc
	v_cmp_eq_u32_e64 s[8:9], 4, v30
	v_cmp_eq_u32_e64 s[10:11], 5, v30
	;; [unrolled: 1-line block ×9, first 2 shown]
	v_cndmask_b32_e32 v30, v2, v4, vcc
	v_cndmask_b32_e64 v31, v31, v7, s[4:5]
	v_cndmask_b32_e64 v30, v30, v6, s[4:5]
	;; [unrolled: 1-line block ×14, first 2 shown]
	ds_read_b64 v[32:33], v97 offset:48
	v_cndmask_b32_e64 v31, v31, v21, s[18:19]
	v_cndmask_b32_e64 v30, v30, v20, s[18:19]
	;; [unrolled: 1-line block ×8, first 2 shown]
	s_waitcnt lgkmcnt(0)
	v_fmac_f64_e32 v[28:29], v[30:31], v[32:33]
	v_cmp_ne_u32_e32 vcc, 2, v0
	s_and_saveexec_b64 s[42:43], vcc
	s_cbranch_execz .LBB12_263
; %bb.260:
	v_add_u32_e32 v30, 7, v0
	v_cmp_eq_u32_e32 vcc, 1, v30
	v_cmp_eq_u32_e64 s[4:5], 2, v30
	v_cmp_eq_u32_e64 s[6:7], 3, v30
	v_cndmask_b32_e32 v31, v3, v5, vcc
	v_cndmask_b32_e64 v31, v31, v7, s[4:5]
	v_cmp_eq_u32_e64 s[8:9], 4, v30
	v_cmp_eq_u32_e64 s[10:11], 5, v30
	v_cmp_eq_u32_e64 s[12:13], 6, v30
	v_cmp_eq_u32_e64 s[14:15], 7, v30
	v_cmp_eq_u32_e64 s[16:17], 8, v30
	v_cmp_eq_u32_e64 s[18:19], 9, v30
	v_cmp_eq_u32_e64 s[20:21], 10, v30
	v_cmp_eq_u32_e64 s[22:23], 11, v30
	v_cmp_eq_u32_e64 s[24:25], 12, v30
	v_cndmask_b32_e32 v30, v2, v4, vcc
	v_cndmask_b32_e64 v31, v31, v9, s[6:7]
	v_cndmask_b32_e64 v30, v30, v6, s[4:5]
	;; [unrolled: 1-line block ×14, first 2 shown]
	ds_read_b64 v[30:31], v97 offset:56
	v_cndmask_b32_e64 v20, v32, v20, s[18:19]
	v_cndmask_b32_e64 v21, v21, v23, s[20:21]
	v_cndmask_b32_e64 v20, v20, v22, s[20:21]
	v_cndmask_b32_e64 v21, v21, v25, s[22:23]
	v_cndmask_b32_e64 v20, v20, v24, s[22:23]
	v_cndmask_b32_e64 v21, v21, v27, s[24:25]
	v_cndmask_b32_e64 v20, v20, v26, s[24:25]
	s_waitcnt lgkmcnt(0)
	v_fmac_f64_e32 v[28:29], v[20:21], v[30:31]
	s_and_saveexec_b64 s[4:5], s[2:3]
	s_cbranch_execz .LBB12_262
; %bb.261:
	ds_read_b64 v[20:21], v97 offset:64
	s_waitcnt lgkmcnt(0)
	v_fmac_f64_e32 v[28:29], v[18:19], v[20:21]
.LBB12_262:
	s_or_b64 exec, exec, s[4:5]
.LBB12_263:
	s_or_b64 exec, exec, s[42:43]
.LBB12_264:
	s_or_b64 exec, exec, s[26:27]
.LBB12_265:
	s_or_b64 exec, exec, s[40:41]
.LBB12_266:
	s_or_b64 exec, exec, s[28:29]
.LBB12_267:
	s_or_b64 exec, exec, s[38:39]
.LBB12_268:
	s_or_b64 exec, exec, s[30:31]
.LBB12_269:
	s_or_b64 exec, exec, s[36:37]
	v_mov_b32_e32 v20, 0
	ds_read_b64 v[20:21], v20 offset:72
	s_waitcnt lgkmcnt(0)
	v_mul_f64 v[20:21], v[28:29], v[20:21]
.LBB12_270:
	s_or_b64 exec, exec, s[34:35]
	v_cmp_gt_u32_e32 vcc, 10, v0
	s_waitcnt vmcnt(2)
	ds_write_b64 v97, v[22:23]
	s_waitcnt lgkmcnt(0)
	; wave barrier
	s_and_saveexec_b64 s[24:25], vcc
	s_cbranch_execz .LBB12_280
; %bb.271:
	s_and_b64 vcc, exec, s[0:1]
	s_cbranch_vccnz .LBB12_273
; %bb.272:
	v_cmp_eq_u32_e32 vcc, 1, v0
	v_cmp_eq_u32_e64 s[2:3], 2, v0
	v_cmp_eq_u32_e64 s[4:5], 3, v0
	v_cndmask_b32_e32 v28, v3, v5, vcc
	v_cndmask_b32_e64 v28, v28, v7, s[2:3]
	v_cndmask_b32_e64 v28, v28, v9, s[4:5]
	v_cmp_eq_u32_e64 s[6:7], 4, v0
	v_cmp_eq_u32_e64 s[8:9], 5, v0
	v_cmp_eq_u32_e64 s[10:11], 6, v0
	v_cndmask_b32_e64 v28, v28, v11, s[6:7]
	v_cndmask_b32_e64 v28, v28, v13, s[8:9]
	v_cndmask_b32_e64 v28, v28, v15, s[10:11]
	v_cmp_eq_u32_e64 s[12:13], 7, v0
	v_cmp_eq_u32_e64 s[14:15], 8, v0
	v_cmp_eq_u32_e64 s[16:17], 9, v0
	v_cndmask_b32_e64 v28, v28, v17, s[12:13]
	v_cndmask_b32_e64 v28, v28, v19, s[14:15]
	v_cndmask_b32_e64 v28, v28, v21, s[16:17]
	v_cmp_eq_u32_e64 s[18:19], 10, v0
	v_cmp_eq_u32_e64 s[20:21], 11, v0
	v_cmp_eq_u32_e64 s[22:23], 12, v0
	v_cndmask_b32_e64 v28, v28, v23, s[18:19]
	s_waitcnt vmcnt(1)
	v_cndmask_b32_e64 v28, v28, v25, s[20:21]
	s_waitcnt vmcnt(0)
	v_cndmask_b32_e64 v29, v28, v27, s[22:23]
	v_cndmask_b32_e32 v28, v2, v4, vcc
	v_cndmask_b32_e64 v28, v28, v6, s[2:3]
	v_cndmask_b32_e64 v28, v28, v8, s[4:5]
	;; [unrolled: 1-line block ×7, first 2 shown]
	ds_read_b64 v[30:31], v97
	v_cndmask_b32_e64 v28, v28, v20, s[16:17]
	v_cndmask_b32_e64 v28, v28, v22, s[18:19]
	;; [unrolled: 1-line block ×4, first 2 shown]
	s_waitcnt lgkmcnt(0)
	v_mul_f64 v[28:29], v[28:29], v[30:31]
	s_cbranch_execz .LBB12_274
	s_branch .LBB12_275
.LBB12_273:
                                        ; implicit-def: $vgpr28_vgpr29
.LBB12_274:
	ds_read_b64 v[28:29], v97
.LBB12_275:
	v_cmp_ne_u32_e32 vcc, 9, v0
	s_and_saveexec_b64 s[6:7], vcc
	s_cbranch_execz .LBB12_279
; %bb.276:
	v_mov_b32_e32 v30, 0x78
	v_lshl_add_u32 v32, v0, 3, v30
	s_mov_b64 s[8:9], 0
	v_mov_b64_e32 v[30:31], v[0:1]
.LBB12_277:                             ; =>This Inner Loop Header: Depth=1
	v_lshl_add_u64 v[30:31], v[30:31], 0, 1
	v_cmp_eq_u32_e32 vcc, 1, v30
	v_cmp_eq_u32_e64 s[4:5], 2, v30
	v_cmp_lt_u32_e64 s[2:3], 8, v30
	v_cndmask_b32_e32 v33, v3, v5, vcc
	v_cndmask_b32_e64 v33, v33, v7, s[4:5]
	v_cndmask_b32_e32 v36, v2, v4, vcc
	v_cmp_eq_u32_e32 vcc, 3, v30
	s_or_b64 s[8:9], s[2:3], s[8:9]
	v_cndmask_b32_e64 v36, v36, v6, s[4:5]
	v_cndmask_b32_e32 v33, v33, v9, vcc
	v_cmp_eq_u32_e64 s[2:3], 4, v30
	v_cndmask_b32_e32 v36, v36, v8, vcc
	v_cmp_eq_u32_e32 vcc, 5, v30
	v_cndmask_b32_e64 v33, v33, v11, s[2:3]
	v_cndmask_b32_e64 v36, v36, v10, s[2:3]
	v_cndmask_b32_e32 v33, v33, v13, vcc
	v_cmp_eq_u32_e64 s[2:3], 6, v30
	v_cndmask_b32_e32 v36, v36, v12, vcc
	v_cmp_eq_u32_e32 vcc, 7, v30
	v_cndmask_b32_e64 v33, v33, v15, s[2:3]
	;; [unrolled: 6-line block ×3, first 2 shown]
	ds_read_b64 v[34:35], v32
	v_cndmask_b32_e32 v33, v33, v21, vcc
	v_cndmask_b32_e64 v36, v36, v18, s[2:3]
	v_cmp_eq_u32_e64 s[2:3], 10, v30
	v_cndmask_b32_e32 v36, v36, v20, vcc
	v_cmp_eq_u32_e32 vcc, 11, v30
	v_cndmask_b32_e64 v33, v33, v23, s[2:3]
	v_cndmask_b32_e64 v36, v36, v22, s[2:3]
	s_waitcnt vmcnt(1)
	v_cndmask_b32_e32 v33, v33, v25, vcc
	v_cmp_eq_u32_e64 s[2:3], 12, v30
	v_add_u32_e32 v32, 8, v32
	s_waitcnt vmcnt(0)
	v_cndmask_b32_e64 v37, v33, v27, s[2:3]
	v_cndmask_b32_e32 v33, v36, v24, vcc
	v_cndmask_b32_e64 v36, v33, v26, s[2:3]
	s_waitcnt lgkmcnt(0)
	v_fmac_f64_e32 v[28:29], v[36:37], v[34:35]
	s_andn2_b64 exec, exec, s[8:9]
	s_cbranch_execnz .LBB12_277
; %bb.278:
	s_or_b64 exec, exec, s[8:9]
.LBB12_279:
	s_or_b64 exec, exec, s[6:7]
	v_mov_b32_e32 v22, 0
	ds_read_b64 v[22:23], v22 offset:80
	s_waitcnt lgkmcnt(0)
	v_mul_f64 v[22:23], v[28:29], v[22:23]
.LBB12_280:
	s_or_b64 exec, exec, s[24:25]
	v_cmp_gt_u32_e64 s[2:3], 11, v0
	s_waitcnt vmcnt(1)
	ds_write_b64 v97, v[24:25]
	s_waitcnt lgkmcnt(0)
	; wave barrier
	s_and_saveexec_b64 s[26:27], s[2:3]
	s_cbranch_execz .LBB12_290
; %bb.281:
	s_and_b64 vcc, exec, s[0:1]
	s_cbranch_vccnz .LBB12_283
; %bb.282:
	v_cmp_eq_u32_e32 vcc, 1, v0
	v_cmp_eq_u32_e64 s[4:5], 2, v0
	v_cmp_eq_u32_e64 s[6:7], 3, v0
	v_cndmask_b32_e32 v28, v3, v5, vcc
	v_cndmask_b32_e64 v28, v28, v7, s[4:5]
	v_cndmask_b32_e64 v28, v28, v9, s[6:7]
	v_cmp_eq_u32_e64 s[8:9], 4, v0
	v_cmp_eq_u32_e64 s[10:11], 5, v0
	v_cmp_eq_u32_e64 s[12:13], 6, v0
	v_cndmask_b32_e64 v28, v28, v11, s[8:9]
	v_cndmask_b32_e64 v28, v28, v13, s[10:11]
	v_cndmask_b32_e64 v28, v28, v15, s[12:13]
	v_cmp_eq_u32_e64 s[14:15], 7, v0
	v_cmp_eq_u32_e64 s[16:17], 8, v0
	v_cmp_eq_u32_e64 s[18:19], 9, v0
	v_cndmask_b32_e64 v28, v28, v17, s[14:15]
	;; [unrolled: 6-line block ×3, first 2 shown]
	v_cndmask_b32_e64 v28, v28, v25, s[22:23]
	s_waitcnt vmcnt(0)
	v_cndmask_b32_e64 v29, v28, v27, s[24:25]
	v_cndmask_b32_e32 v28, v2, v4, vcc
	v_cndmask_b32_e64 v28, v28, v6, s[4:5]
	v_cndmask_b32_e64 v28, v28, v8, s[6:7]
	;; [unrolled: 1-line block ×7, first 2 shown]
	ds_read_b64 v[30:31], v97
	v_cndmask_b32_e64 v28, v28, v20, s[18:19]
	v_cndmask_b32_e64 v28, v28, v22, s[20:21]
	;; [unrolled: 1-line block ×4, first 2 shown]
	s_waitcnt lgkmcnt(0)
	v_mul_f64 v[28:29], v[28:29], v[30:31]
	s_cbranch_execz .LBB12_284
	s_branch .LBB12_285
.LBB12_283:
                                        ; implicit-def: $vgpr28_vgpr29
.LBB12_284:
	ds_read_b64 v[28:29], v97
.LBB12_285:
	v_cmp_ne_u32_e32 vcc, 10, v0
	s_and_saveexec_b64 s[8:9], vcc
	s_cbranch_execz .LBB12_289
; %bb.286:
	v_mov_b32_e32 v30, 0x78
	v_lshl_add_u32 v32, v0, 3, v30
	s_mov_b64 s[10:11], 0
	v_mov_b64_e32 v[30:31], v[0:1]
.LBB12_287:                             ; =>This Inner Loop Header: Depth=1
	v_lshl_add_u64 v[30:31], v[30:31], 0, 1
	v_cmp_eq_u32_e32 vcc, 1, v30
	v_cmp_eq_u32_e64 s[6:7], 2, v30
	v_cmp_lt_u32_e64 s[4:5], 9, v30
	v_cndmask_b32_e32 v33, v3, v5, vcc
	v_cndmask_b32_e64 v33, v33, v7, s[6:7]
	v_cndmask_b32_e32 v36, v2, v4, vcc
	v_cmp_eq_u32_e32 vcc, 3, v30
	s_or_b64 s[10:11], s[4:5], s[10:11]
	v_cndmask_b32_e64 v36, v36, v6, s[6:7]
	v_cndmask_b32_e32 v33, v33, v9, vcc
	v_cmp_eq_u32_e64 s[4:5], 4, v30
	v_cndmask_b32_e32 v36, v36, v8, vcc
	v_cmp_eq_u32_e32 vcc, 5, v30
	v_cndmask_b32_e64 v33, v33, v11, s[4:5]
	v_cndmask_b32_e64 v36, v36, v10, s[4:5]
	v_cndmask_b32_e32 v33, v33, v13, vcc
	v_cmp_eq_u32_e64 s[4:5], 6, v30
	v_cndmask_b32_e32 v36, v36, v12, vcc
	v_cmp_eq_u32_e32 vcc, 7, v30
	v_cndmask_b32_e64 v33, v33, v15, s[4:5]
	v_cndmask_b32_e64 v36, v36, v14, s[4:5]
	v_cndmask_b32_e32 v33, v33, v17, vcc
	v_cmp_eq_u32_e64 s[4:5], 8, v30
	v_cndmask_b32_e32 v36, v36, v16, vcc
	v_cmp_eq_u32_e32 vcc, 9, v30
	v_cndmask_b32_e64 v33, v33, v19, s[4:5]
	ds_read_b64 v[34:35], v32
	v_cndmask_b32_e32 v33, v33, v21, vcc
	v_cndmask_b32_e64 v36, v36, v18, s[4:5]
	v_cmp_eq_u32_e64 s[4:5], 10, v30
	v_cndmask_b32_e32 v36, v36, v20, vcc
	v_cmp_eq_u32_e32 vcc, 11, v30
	v_cndmask_b32_e64 v33, v33, v23, s[4:5]
	v_cndmask_b32_e64 v36, v36, v22, s[4:5]
	v_cndmask_b32_e32 v33, v33, v25, vcc
	v_cmp_eq_u32_e64 s[4:5], 12, v30
	v_add_u32_e32 v32, 8, v32
	s_waitcnt vmcnt(0)
	v_cndmask_b32_e64 v37, v33, v27, s[4:5]
	v_cndmask_b32_e32 v33, v36, v24, vcc
	v_cndmask_b32_e64 v36, v33, v26, s[4:5]
	s_waitcnt lgkmcnt(0)
	v_fmac_f64_e32 v[28:29], v[36:37], v[34:35]
	s_andn2_b64 exec, exec, s[10:11]
	s_cbranch_execnz .LBB12_287
; %bb.288:
	s_or_b64 exec, exec, s[10:11]
.LBB12_289:
	s_or_b64 exec, exec, s[8:9]
	v_mov_b32_e32 v24, 0
	ds_read_b64 v[24:25], v24 offset:88
	s_waitcnt lgkmcnt(0)
	v_mul_f64 v[24:25], v[28:29], v[24:25]
.LBB12_290:
	s_or_b64 exec, exec, s[26:27]
	v_cmp_ne_u32_e32 vcc, 12, v0
	s_waitcnt vmcnt(0)
	ds_write_b64 v97, v[26:27]
	s_waitcnt lgkmcnt(0)
	; wave barrier
	s_and_saveexec_b64 s[24:25], vcc
	s_cbranch_execz .LBB12_300
; %bb.291:
	s_and_b64 vcc, exec, s[0:1]
	s_cbranch_vccnz .LBB12_293
; %bb.292:
	v_cmp_eq_u32_e32 vcc, 1, v0
	v_cmp_eq_u32_e64 s[0:1], 2, v0
	v_cmp_eq_u32_e64 s[4:5], 3, v0
	v_cndmask_b32_e32 v28, v3, v5, vcc
	v_cndmask_b32_e64 v28, v28, v7, s[0:1]
	v_cndmask_b32_e64 v28, v28, v9, s[4:5]
	v_cmp_eq_u32_e64 s[6:7], 4, v0
	v_cmp_eq_u32_e64 s[8:9], 5, v0
	v_cmp_eq_u32_e64 s[10:11], 6, v0
	v_cndmask_b32_e64 v28, v28, v11, s[6:7]
	v_cndmask_b32_e64 v28, v28, v13, s[8:9]
	v_cndmask_b32_e64 v28, v28, v15, s[10:11]
	v_cmp_eq_u32_e64 s[12:13], 7, v0
	v_cmp_eq_u32_e64 s[14:15], 8, v0
	v_cmp_eq_u32_e64 s[16:17], 9, v0
	v_cndmask_b32_e64 v28, v28, v17, s[12:13]
	;; [unrolled: 6-line block ×3, first 2 shown]
	v_cndmask_b32_e64 v28, v28, v25, s[20:21]
	v_cndmask_b32_e64 v29, v28, v27, s[22:23]
	v_cndmask_b32_e32 v28, v2, v4, vcc
	v_cndmask_b32_e64 v28, v28, v6, s[0:1]
	v_cndmask_b32_e64 v28, v28, v8, s[4:5]
	v_cndmask_b32_e64 v28, v28, v10, s[6:7]
	v_cndmask_b32_e64 v28, v28, v12, s[8:9]
	v_cndmask_b32_e64 v28, v28, v14, s[10:11]
	v_cndmask_b32_e64 v28, v28, v16, s[12:13]
	v_cndmask_b32_e64 v28, v28, v18, s[14:15]
	ds_read_b64 v[30:31], v97
	v_cndmask_b32_e64 v28, v28, v20, s[16:17]
	v_cndmask_b32_e64 v28, v28, v22, s[18:19]
	;; [unrolled: 1-line block ×4, first 2 shown]
	s_waitcnt lgkmcnt(0)
	v_mul_f64 v[28:29], v[28:29], v[30:31]
	s_cbranch_execz .LBB12_294
	s_branch .LBB12_295
.LBB12_293:
                                        ; implicit-def: $vgpr28_vgpr29
.LBB12_294:
	ds_read_b64 v[28:29], v97
.LBB12_295:
	s_and_saveexec_b64 s[4:5], s[2:3]
	s_cbranch_execz .LBB12_299
; %bb.296:
	v_mov_b32_e32 v30, 0x78
	v_lshl_add_u32 v30, v0, 3, v30
	s_mov_b64 s[6:7], 0
.LBB12_297:                             ; =>This Inner Loop Header: Depth=1
	v_lshl_add_u64 v[0:1], v[0:1], 0, 1
	v_cmp_eq_u32_e32 vcc, 1, v0
	v_cmp_eq_u32_e64 s[2:3], 2, v0
	v_cmp_lt_u32_e64 s[0:1], 10, v0
	v_cndmask_b32_e32 v31, v3, v5, vcc
	v_cndmask_b32_e64 v31, v31, v7, s[2:3]
	v_cndmask_b32_e32 v34, v2, v4, vcc
	v_cmp_eq_u32_e32 vcc, 3, v0
	s_or_b64 s[6:7], s[0:1], s[6:7]
	v_cndmask_b32_e64 v34, v34, v6, s[2:3]
	v_cndmask_b32_e32 v31, v31, v9, vcc
	v_cmp_eq_u32_e64 s[0:1], 4, v0
	v_cndmask_b32_e32 v34, v34, v8, vcc
	v_cmp_eq_u32_e32 vcc, 5, v0
	v_cndmask_b32_e64 v31, v31, v11, s[0:1]
	v_cndmask_b32_e64 v34, v34, v10, s[0:1]
	v_cndmask_b32_e32 v31, v31, v13, vcc
	v_cmp_eq_u32_e64 s[0:1], 6, v0
	v_cndmask_b32_e32 v34, v34, v12, vcc
	v_cmp_eq_u32_e32 vcc, 7, v0
	v_cndmask_b32_e64 v31, v31, v15, s[0:1]
	;; [unrolled: 6-line block ×3, first 2 shown]
	ds_read_b64 v[32:33], v30
	v_cndmask_b32_e32 v31, v31, v21, vcc
	v_cndmask_b32_e64 v34, v34, v18, s[0:1]
	v_cmp_eq_u32_e64 s[0:1], 10, v0
	v_cndmask_b32_e32 v34, v34, v20, vcc
	v_cmp_eq_u32_e32 vcc, 11, v0
	v_cndmask_b32_e64 v31, v31, v23, s[0:1]
	v_cndmask_b32_e64 v34, v34, v22, s[0:1]
	v_cndmask_b32_e32 v31, v31, v25, vcc
	v_cmp_eq_u32_e64 s[0:1], 12, v0
	v_add_u32_e32 v30, 8, v30
	s_nop 0
	v_cndmask_b32_e64 v35, v31, v27, s[0:1]
	v_cndmask_b32_e32 v31, v34, v24, vcc
	v_cndmask_b32_e64 v34, v31, v26, s[0:1]
	s_waitcnt lgkmcnt(0)
	v_fmac_f64_e32 v[28:29], v[34:35], v[32:33]
	s_andn2_b64 exec, exec, s[6:7]
	s_cbranch_execnz .LBB12_297
; %bb.298:
	s_or_b64 exec, exec, s[6:7]
.LBB12_299:
	s_or_b64 exec, exec, s[4:5]
	v_mov_b32_e32 v0, 0
	ds_read_b64 v[0:1], v0 offset:96
	s_waitcnt lgkmcnt(0)
	v_mul_f64 v[26:27], v[28:29], v[0:1]
.LBB12_300:
	s_or_b64 exec, exec, s[24:25]
	v_mov_b64_e32 v[64:65], v[32:33]
	v_mov_b64_e32 v[62:63], v[30:31]
	;; [unrolled: 1-line block ×16, first 2 shown]
.LBB12_301:
	global_store_dwordx2 v[66:67], v[34:35], off
	global_store_dwordx2 v[68:69], v[36:37], off
	;; [unrolled: 1-line block ×13, first 2 shown]
.LBB12_302:
	s_endpgm
	.section	.rodata,"a",@progbits
	.p2align	6, 0x0
	.amdhsa_kernel _ZN9rocsolver6v33100L18trti2_kernel_smallILi13EdPdEEv13rocblas_fill_17rocblas_diagonal_T1_iil
		.amdhsa_group_segment_fixed_size 216
		.amdhsa_private_segment_fixed_size 0
		.amdhsa_kernarg_size 32
		.amdhsa_user_sgpr_count 2
		.amdhsa_user_sgpr_dispatch_ptr 0
		.amdhsa_user_sgpr_queue_ptr 0
		.amdhsa_user_sgpr_kernarg_segment_ptr 1
		.amdhsa_user_sgpr_dispatch_id 0
		.amdhsa_user_sgpr_kernarg_preload_length 0
		.amdhsa_user_sgpr_kernarg_preload_offset 0
		.amdhsa_user_sgpr_private_segment_size 0
		.amdhsa_uses_dynamic_stack 0
		.amdhsa_enable_private_segment 0
		.amdhsa_system_sgpr_workgroup_id_x 1
		.amdhsa_system_sgpr_workgroup_id_y 0
		.amdhsa_system_sgpr_workgroup_id_z 0
		.amdhsa_system_sgpr_workgroup_info 0
		.amdhsa_system_vgpr_workitem_id 0
		.amdhsa_next_free_vgpr 120
		.amdhsa_next_free_sgpr 44
		.amdhsa_accum_offset 120
		.amdhsa_reserve_vcc 1
		.amdhsa_float_round_mode_32 0
		.amdhsa_float_round_mode_16_64 0
		.amdhsa_float_denorm_mode_32 3
		.amdhsa_float_denorm_mode_16_64 3
		.amdhsa_dx10_clamp 1
		.amdhsa_ieee_mode 1
		.amdhsa_fp16_overflow 0
		.amdhsa_tg_split 0
		.amdhsa_exception_fp_ieee_invalid_op 0
		.amdhsa_exception_fp_denorm_src 0
		.amdhsa_exception_fp_ieee_div_zero 0
		.amdhsa_exception_fp_ieee_overflow 0
		.amdhsa_exception_fp_ieee_underflow 0
		.amdhsa_exception_fp_ieee_inexact 0
		.amdhsa_exception_int_div_zero 0
	.end_amdhsa_kernel
	.section	.text._ZN9rocsolver6v33100L18trti2_kernel_smallILi13EdPdEEv13rocblas_fill_17rocblas_diagonal_T1_iil,"axG",@progbits,_ZN9rocsolver6v33100L18trti2_kernel_smallILi13EdPdEEv13rocblas_fill_17rocblas_diagonal_T1_iil,comdat
.Lfunc_end12:
	.size	_ZN9rocsolver6v33100L18trti2_kernel_smallILi13EdPdEEv13rocblas_fill_17rocblas_diagonal_T1_iil, .Lfunc_end12-_ZN9rocsolver6v33100L18trti2_kernel_smallILi13EdPdEEv13rocblas_fill_17rocblas_diagonal_T1_iil
                                        ; -- End function
	.set _ZN9rocsolver6v33100L18trti2_kernel_smallILi13EdPdEEv13rocblas_fill_17rocblas_diagonal_T1_iil.num_vgpr, 120
	.set _ZN9rocsolver6v33100L18trti2_kernel_smallILi13EdPdEEv13rocblas_fill_17rocblas_diagonal_T1_iil.num_agpr, 0
	.set _ZN9rocsolver6v33100L18trti2_kernel_smallILi13EdPdEEv13rocblas_fill_17rocblas_diagonal_T1_iil.numbered_sgpr, 44
	.set _ZN9rocsolver6v33100L18trti2_kernel_smallILi13EdPdEEv13rocblas_fill_17rocblas_diagonal_T1_iil.num_named_barrier, 0
	.set _ZN9rocsolver6v33100L18trti2_kernel_smallILi13EdPdEEv13rocblas_fill_17rocblas_diagonal_T1_iil.private_seg_size, 0
	.set _ZN9rocsolver6v33100L18trti2_kernel_smallILi13EdPdEEv13rocblas_fill_17rocblas_diagonal_T1_iil.uses_vcc, 1
	.set _ZN9rocsolver6v33100L18trti2_kernel_smallILi13EdPdEEv13rocblas_fill_17rocblas_diagonal_T1_iil.uses_flat_scratch, 0
	.set _ZN9rocsolver6v33100L18trti2_kernel_smallILi13EdPdEEv13rocblas_fill_17rocblas_diagonal_T1_iil.has_dyn_sized_stack, 0
	.set _ZN9rocsolver6v33100L18trti2_kernel_smallILi13EdPdEEv13rocblas_fill_17rocblas_diagonal_T1_iil.has_recursion, 0
	.set _ZN9rocsolver6v33100L18trti2_kernel_smallILi13EdPdEEv13rocblas_fill_17rocblas_diagonal_T1_iil.has_indirect_call, 0
	.section	.AMDGPU.csdata,"",@progbits
; Kernel info:
; codeLenInByte = 23612
; TotalNumSgprs: 50
; NumVgprs: 120
; NumAgprs: 0
; TotalNumVgprs: 120
; ScratchSize: 0
; MemoryBound: 0
; FloatMode: 240
; IeeeMode: 1
; LDSByteSize: 216 bytes/workgroup (compile time only)
; SGPRBlocks: 6
; VGPRBlocks: 14
; NumSGPRsForWavesPerEU: 50
; NumVGPRsForWavesPerEU: 120
; AccumOffset: 120
; Occupancy: 4
; WaveLimiterHint : 0
; COMPUTE_PGM_RSRC2:SCRATCH_EN: 0
; COMPUTE_PGM_RSRC2:USER_SGPR: 2
; COMPUTE_PGM_RSRC2:TRAP_HANDLER: 0
; COMPUTE_PGM_RSRC2:TGID_X_EN: 1
; COMPUTE_PGM_RSRC2:TGID_Y_EN: 0
; COMPUTE_PGM_RSRC2:TGID_Z_EN: 0
; COMPUTE_PGM_RSRC2:TIDIG_COMP_CNT: 0
; COMPUTE_PGM_RSRC3_GFX90A:ACCUM_OFFSET: 29
; COMPUTE_PGM_RSRC3_GFX90A:TG_SPLIT: 0
	.section	.text._ZN9rocsolver6v33100L18trti2_kernel_smallILi14EdPdEEv13rocblas_fill_17rocblas_diagonal_T1_iil,"axG",@progbits,_ZN9rocsolver6v33100L18trti2_kernel_smallILi14EdPdEEv13rocblas_fill_17rocblas_diagonal_T1_iil,comdat
	.globl	_ZN9rocsolver6v33100L18trti2_kernel_smallILi14EdPdEEv13rocblas_fill_17rocblas_diagonal_T1_iil ; -- Begin function _ZN9rocsolver6v33100L18trti2_kernel_smallILi14EdPdEEv13rocblas_fill_17rocblas_diagonal_T1_iil
	.p2align	8
	.type	_ZN9rocsolver6v33100L18trti2_kernel_smallILi14EdPdEEv13rocblas_fill_17rocblas_diagonal_T1_iil,@function
_ZN9rocsolver6v33100L18trti2_kernel_smallILi14EdPdEEv13rocblas_fill_17rocblas_diagonal_T1_iil: ; @_ZN9rocsolver6v33100L18trti2_kernel_smallILi14EdPdEEv13rocblas_fill_17rocblas_diagonal_T1_iil
; %bb.0:
	v_cmp_gt_u32_e32 vcc, 14, v0
	s_and_saveexec_b64 s[4:5], vcc
	s_cbranch_execz .LBB13_328
; %bb.1:
	s_load_dwordx8 s[36:43], s[0:1], 0x0
	s_ashr_i32 s3, s2, 31
	v_mov_b32_e32 v1, 0
	v_lshlrev_b32_e32 v30, 3, v0
	v_mov_b32_e32 v31, v1
	s_waitcnt lgkmcnt(0)
	s_mul_hi_u32 s4, s42, s2
	s_mul_i32 s3, s42, s3
	s_add_i32 s3, s4, s3
	s_mul_i32 s4, s43, s2
	s_add_i32 s3, s3, s4
	s_mul_i32 s2, s42, s2
	s_ashr_i32 s1, s40, 31
	s_lshl_b64 s[2:3], s[2:3], 3
	s_mov_b32 s0, s40
	s_add_u32 s2, s38, s2
	s_addc_u32 s3, s39, s3
	s_lshl_b64 s[0:1], s[0:1], 3
	s_add_u32 s0, s2, s0
	s_addc_u32 s1, s3, s1
	v_lshl_add_u64 v[62:63], s[0:1], 0, v[30:31]
	s_ashr_i32 s3, s41, 31
	s_mov_b32 s2, s41
	v_lshl_add_u64 v[64:65], s[2:3], 3, v[62:63]
	s_add_i32 s2, s41, s41
	v_add_u32_e32 v2, s2, v0
	v_ashrrev_i32_e32 v3, 31, v2
	v_lshl_add_u64 v[66:67], v[2:3], 3, s[0:1]
	v_add_u32_e32 v2, s41, v2
	v_ashrrev_i32_e32 v3, 31, v2
	v_lshl_add_u64 v[68:69], v[2:3], 3, s[0:1]
	;; [unrolled: 3-line block ×10, first 2 shown]
	v_add_u32_e32 v2, s41, v2
	v_ashrrev_i32_e32 v3, 31, v2
	global_load_dwordx2 v[4:5], v[64:65], off
	global_load_dwordx2 v[6:7], v[66:67], off
	;; [unrolled: 1-line block ×8, first 2 shown]
	v_lshl_add_u64 v[86:87], v[2:3], 3, s[0:1]
	global_load_dwordx2 v[20:21], v[80:81], off
	global_load_dwordx2 v[22:23], v[82:83], off
	;; [unrolled: 1-line block ×4, first 2 shown]
	v_add_u32_e32 v2, s41, v2
	v_ashrrev_i32_e32 v3, 31, v2
	v_lshl_add_u64 v[88:89], v[2:3], 3, s[0:1]
	global_load_dwordx2 v[2:3], v30, s[0:1]
	global_load_dwordx2 v[28:29], v[88:89], off
	s_cmpk_lg_i32 s37, 0x84
	s_cselect_b64 s[28:29], -1, 0
	s_cmpk_eq_i32 s37, 0x84
	v_mov_b64_e32 v[32:33], -1.0
	s_cbranch_scc1 .LBB13_3
; %bb.2:
	v_cmp_eq_u32_e64 s[0:1], 1, v0
	v_cmp_eq_u32_e64 s[2:3], 2, v0
	;; [unrolled: 1-line block ×3, first 2 shown]
	s_waitcnt vmcnt(1)
	v_cndmask_b32_e64 v31, v3, v5, s[0:1]
	v_cndmask_b32_e64 v31, v31, v7, s[2:3]
	v_cndmask_b32_e64 v31, v31, v9, s[4:5]
	v_cmp_eq_u32_e64 s[6:7], 4, v0
	v_cmp_eq_u32_e64 s[8:9], 5, v0
	v_cmp_eq_u32_e64 s[10:11], 6, v0
	v_cndmask_b32_e64 v31, v31, v11, s[6:7]
	v_cndmask_b32_e64 v31, v31, v13, s[8:9]
	v_cndmask_b32_e64 v31, v31, v15, s[10:11]
	v_cmp_eq_u32_e64 s[12:13], 7, v0
	v_cmp_eq_u32_e64 s[14:15], 8, v0
	v_cmp_eq_u32_e64 s[16:17], 9, v0
	;; [unrolled: 6-line block ×3, first 2 shown]
	v_cndmask_b32_e64 v31, v31, v23, s[18:19]
	v_cndmask_b32_e64 v31, v31, v25, s[20:21]
	;; [unrolled: 1-line block ×3, first 2 shown]
	v_cmp_eq_u32_e64 s[24:25], 13, v0
	s_waitcnt vmcnt(0)
	s_nop 0
	v_cndmask_b32_e64 v33, v31, v29, s[24:25]
	v_cndmask_b32_e64 v31, v2, v4, s[0:1]
	v_cndmask_b32_e64 v31, v31, v6, s[2:3]
	v_cndmask_b32_e64 v31, v31, v8, s[4:5]
	v_cndmask_b32_e64 v31, v31, v10, s[6:7]
	v_cndmask_b32_e64 v31, v31, v12, s[8:9]
	v_cndmask_b32_e64 v31, v31, v14, s[10:11]
	v_cndmask_b32_e64 v31, v31, v16, s[12:13]
	v_cndmask_b32_e64 v31, v31, v18, s[14:15]
	v_cndmask_b32_e64 v31, v31, v20, s[16:17]
	v_cndmask_b32_e64 v31, v31, v22, s[18:19]
	v_cndmask_b32_e64 v31, v31, v24, s[20:21]
	v_cndmask_b32_e64 v31, v31, v26, s[22:23]
	v_cndmask_b32_e64 v32, v31, v28, s[24:25]
	v_div_scale_f64 v[34:35], s[26:27], v[32:33], v[32:33], 1.0
	v_rcp_f64_e32 v[36:37], v[34:35]
	s_nop 0
	v_fma_f64 v[38:39], -v[34:35], v[36:37], 1.0
	v_fmac_f64_e32 v[36:37], v[36:37], v[38:39]
	v_fma_f64 v[38:39], -v[34:35], v[36:37], 1.0
	v_fmac_f64_e32 v[36:37], v[36:37], v[38:39]
	v_div_scale_f64 v[38:39], vcc, 1.0, v[32:33], 1.0
	v_mul_f64 v[40:41], v[38:39], v[36:37]
	v_fma_f64 v[34:35], -v[34:35], v[40:41], v[38:39]
	s_nop 1
	v_div_fmas_f64 v[34:35], v[34:35], v[36:37], v[40:41]
	v_div_fixup_f64 v[32:33], v[34:35], v[32:33], 1.0
	v_cmp_eq_u32_e32 vcc, 0, v0
	v_cndmask_b32_e64 v29, v29, v33, s[24:25]
	v_cndmask_b32_e64 v28, v28, v32, s[24:25]
	;; [unrolled: 1-line block ×26, first 2 shown]
	v_cndmask_b32_e32 v3, v3, v33, vcc
	v_cndmask_b32_e32 v2, v2, v32, vcc
	v_xor_b32_e32 v33, 0x80000000, v33
.LBB13_3:
	s_cmpk_eq_i32 s36, 0x79
	v_add_u32_e32 v95, 0x70, v30
	ds_write_b64 v30, v[32:33]
	s_cbranch_scc1 .LBB13_7
; %bb.4:
	s_waitcnt vmcnt(0)
	v_mov_b64_e32 v[60:61], v[32:33]
	v_cmp_eq_u32_e64 s[0:1], 13, v0
	v_mov_b64_e32 v[58:59], v[30:31]
	v_mov_b64_e32 v[56:57], v[28:29]
	v_mov_b64_e32 v[54:55], v[26:27]
	v_mov_b64_e32 v[52:53], v[24:25]
	v_mov_b64_e32 v[50:51], v[22:23]
	v_mov_b64_e32 v[48:49], v[20:21]
	v_mov_b64_e32 v[46:47], v[18:19]
	v_mov_b64_e32 v[44:45], v[16:17]
	v_mov_b64_e32 v[42:43], v[14:15]
	v_mov_b64_e32 v[40:41], v[12:13]
	v_mov_b64_e32 v[38:39], v[10:11]
	v_mov_b64_e32 v[36:37], v[8:9]
	v_mov_b64_e32 v[34:35], v[6:7]
	v_mov_b64_e32 v[32:33], v[4:5]
	v_mov_b64_e32 v[30:31], v[2:3]
	ds_write_b64 v95, v[26:27]
	s_waitcnt lgkmcnt(0)
	; wave barrier
	s_and_saveexec_b64 s[26:27], s[0:1]
	s_cbranch_execz .LBB13_11
; %bb.5:
	s_and_b64 vcc, exec, s[28:29]
	s_cbranch_vccz .LBB13_8
; %bb.6:
	v_cmp_eq_u32_e32 vcc, 1, v0
	v_cmp_eq_u32_e64 s[2:3], 2, v0
	v_cmp_eq_u32_e64 s[4:5], 3, v0
	v_cndmask_b32_e32 v30, v3, v5, vcc
	v_cndmask_b32_e64 v30, v30, v7, s[2:3]
	v_cndmask_b32_e64 v30, v30, v9, s[4:5]
	v_cmp_eq_u32_e64 s[6:7], 4, v0
	v_cmp_eq_u32_e64 s[8:9], 5, v0
	v_cmp_eq_u32_e64 s[10:11], 6, v0
	v_cndmask_b32_e64 v30, v30, v11, s[6:7]
	v_cndmask_b32_e64 v30, v30, v13, s[8:9]
	v_cndmask_b32_e64 v30, v30, v15, s[10:11]
	v_cmp_eq_u32_e64 s[12:13], 7, v0
	v_cmp_eq_u32_e64 s[14:15], 8, v0
	v_cmp_eq_u32_e64 s[16:17], 9, v0
	v_cndmask_b32_e64 v30, v30, v17, s[12:13]
	;; [unrolled: 6-line block ×3, first 2 shown]
	v_cndmask_b32_e64 v30, v30, v25, s[20:21]
	v_cndmask_b32_e64 v30, v30, v27, s[22:23]
	v_cmp_eq_u32_e64 s[24:25], 13, v0
	ds_read_b64 v[32:33], v95
	s_nop 0
	v_cndmask_b32_e64 v31, v30, v29, s[24:25]
	v_cndmask_b32_e32 v30, v2, v4, vcc
	v_cndmask_b32_e64 v30, v30, v6, s[2:3]
	v_cndmask_b32_e64 v30, v30, v8, s[4:5]
	;; [unrolled: 1-line block ×12, first 2 shown]
	s_waitcnt lgkmcnt(0)
	v_mul_f64 v[34:35], v[30:31], v[32:33]
	s_cbranch_execz .LBB13_9
	s_branch .LBB13_10
.LBB13_7:
                                        ; implicit-def: $vgpr30_vgpr31_vgpr32_vgpr33_vgpr34_vgpr35_vgpr36_vgpr37_vgpr38_vgpr39_vgpr40_vgpr41_vgpr42_vgpr43_vgpr44_vgpr45_vgpr46_vgpr47_vgpr48_vgpr49_vgpr50_vgpr51_vgpr52_vgpr53_vgpr54_vgpr55_vgpr56_vgpr57_vgpr58_vgpr59_vgpr60_vgpr61
	s_cbranch_execnz .LBB13_194
	s_branch .LBB13_327
.LBB13_8:
                                        ; implicit-def: $vgpr34_vgpr35
.LBB13_9:
	ds_read_b64 v[34:35], v95
.LBB13_10:
	v_mov_b32_e32 v30, 0
	ds_read_b64 v[36:37], v30 offset:96
	v_mov_b32_e32 v30, v2
	v_mov_b32_e32 v31, v3
	;; [unrolled: 1-line block ×4, first 2 shown]
	s_waitcnt lgkmcnt(0)
	v_mul_f64 v[54:55], v[34:35], v[36:37]
	v_mov_b32_e32 v34, v6
	v_mov_b32_e32 v35, v7
	;; [unrolled: 1-line block ×22, first 2 shown]
.LBB13_11:
	s_or_b64 exec, exec, s[26:27]
	v_cmp_lt_u32_e64 s[2:3], 11, v0
	ds_write_b64 v95, v[52:53]
	s_waitcnt lgkmcnt(0)
	; wave barrier
	s_and_saveexec_b64 s[30:31], s[2:3]
	s_cbranch_execz .LBB13_17
; %bb.12:
	s_andn2_b64 vcc, exec, s[28:29]
	s_cbranch_vccnz .LBB13_14
; %bb.13:
	v_cmp_eq_u32_e32 vcc, 1, v0
	v_cmp_eq_u32_e64 s[4:5], 2, v0
	v_cmp_eq_u32_e64 s[6:7], 3, v0
	v_cndmask_b32_e32 v58, v31, v33, vcc
	v_cndmask_b32_e64 v58, v58, v35, s[4:5]
	v_cndmask_b32_e64 v58, v58, v37, s[6:7]
	v_cmp_eq_u32_e64 s[8:9], 4, v0
	v_cmp_eq_u32_e64 s[10:11], 5, v0
	v_cmp_eq_u32_e64 s[12:13], 6, v0
	v_cndmask_b32_e64 v58, v58, v39, s[8:9]
	v_cndmask_b32_e64 v58, v58, v41, s[10:11]
	v_cndmask_b32_e64 v58, v58, v43, s[12:13]
	v_cmp_eq_u32_e64 s[14:15], 7, v0
	v_cmp_eq_u32_e64 s[16:17], 8, v0
	v_cmp_eq_u32_e64 s[18:19], 9, v0
	v_cndmask_b32_e64 v58, v58, v45, s[14:15]
	;; [unrolled: 6-line block ×3, first 2 shown]
	v_cndmask_b32_e64 v53, v58, v53, s[22:23]
	v_cndmask_b32_e32 v58, v30, v32, vcc
	v_cndmask_b32_e64 v58, v58, v34, s[4:5]
	v_cndmask_b32_e64 v58, v58, v36, s[6:7]
	;; [unrolled: 1-line block ×8, first 2 shown]
	ds_read_b64 v[58:59], v95
	v_cndmask_b32_e64 v60, v60, v50, s[20:21]
	v_cndmask_b32_e64 v52, v60, v52, s[22:23]
	;; [unrolled: 1-line block ×3, first 2 shown]
	v_cmp_eq_u32_e64 s[26:27], 13, v0
	v_cndmask_b32_e64 v52, v52, v54, s[24:25]
	s_nop 0
	v_cndmask_b32_e64 v53, v53, v57, s[26:27]
	v_cndmask_b32_e64 v52, v52, v56, s[26:27]
	s_waitcnt lgkmcnt(0)
	v_mul_f64 v[52:53], v[52:53], v[58:59]
	s_cbranch_execz .LBB13_15
	s_branch .LBB13_16
.LBB13_14:
                                        ; implicit-def: $vgpr52_vgpr53
.LBB13_15:
	ds_read_b64 v[52:53], v95
.LBB13_16:
	v_mov_b32_e32 v58, 0
	ds_read2_b64 v[58:61], v58 offset0:11 offset1:26
	s_waitcnt lgkmcnt(0)
	v_fma_f64 v[60:61], v[54:55], v[60:61], v[52:53]
	v_cndmask_b32_e64 v53, v53, v61, s[0:1]
	v_cndmask_b32_e64 v52, v52, v60, s[0:1]
	v_mul_f64 v[52:53], v[52:53], v[58:59]
.LBB13_17:
	s_or_b64 exec, exec, s[30:31]
	v_cmp_lt_u32_e64 s[0:1], 10, v0
	ds_write_b64 v95, v[50:51]
	s_waitcnt lgkmcnt(0)
	; wave barrier
	s_and_saveexec_b64 s[30:31], s[0:1]
	s_cbranch_execz .LBB13_33
; %bb.18:
	s_andn2_b64 vcc, exec, s[28:29]
	s_cbranch_vccnz .LBB13_20
; %bb.19:
	v_cmp_eq_u32_e32 vcc, 1, v0
	v_cmp_eq_u32_e64 s[4:5], 2, v0
	v_cmp_eq_u32_e64 s[6:7], 3, v0
	v_cndmask_b32_e32 v90, v31, v33, vcc
	v_cndmask_b32_e64 v90, v90, v35, s[4:5]
	v_cndmask_b32_e64 v90, v90, v37, s[6:7]
	v_cmp_eq_u32_e64 s[8:9], 4, v0
	v_cmp_eq_u32_e64 s[10:11], 5, v0
	v_cmp_eq_u32_e64 s[12:13], 6, v0
	v_cndmask_b32_e64 v90, v90, v39, s[8:9]
	v_cndmask_b32_e64 v90, v90, v41, s[10:11]
	v_cndmask_b32_e64 v90, v90, v43, s[12:13]
	v_cmp_eq_u32_e64 s[14:15], 7, v0
	v_cmp_eq_u32_e64 s[16:17], 8, v0
	v_cmp_eq_u32_e64 s[18:19], 9, v0
	v_cndmask_b32_e64 v90, v90, v45, s[14:15]
	;; [unrolled: 6-line block ×3, first 2 shown]
	v_cndmask_b32_e64 v90, v90, v53, s[22:23]
	v_cndmask_b32_e64 v90, v90, v55, s[24:25]
	v_cmp_eq_u32_e64 s[26:27], 13, v0
	ds_read_b64 v[92:93], v95
	s_nop 0
	v_cndmask_b32_e64 v91, v90, v57, s[26:27]
	v_cndmask_b32_e32 v90, v30, v32, vcc
	v_cndmask_b32_e64 v90, v90, v34, s[4:5]
	v_cndmask_b32_e64 v90, v90, v36, s[6:7]
	;; [unrolled: 1-line block ×12, first 2 shown]
	s_waitcnt lgkmcnt(0)
	v_mul_f64 v[90:91], v[90:91], v[92:93]
	s_cbranch_execz .LBB13_21
	s_branch .LBB13_22
.LBB13_20:
                                        ; implicit-def: $vgpr90_vgpr91
.LBB13_21:
	ds_read_b64 v[90:91], v95
.LBB13_22:
	s_and_saveexec_b64 s[6:7], s[2:3]
	s_cbranch_execz .LBB13_32
; %bb.23:
	v_add_u32_e32 v92, -12, v0
	v_add_u32_e32 v93, -11, v0
	v_cmp_lt_u32_e32 vcc, 6, v92
	v_mov_b32_e32 v92, 11
	s_and_saveexec_b64 s[2:3], vcc
	s_cbranch_execz .LBB13_27
; %bb.24:
	v_and_b32_e32 v92, -8, v93
	v_sub_u32_e32 v94, 0, v92
	s_mov_b64 s[4:5], 18
	s_movk_i32 s10, 0xc8
	s_mov_b64 s[8:9], 0
.LBB13_25:                              ; =>This Inner Loop Header: Depth=1
	s_lshl_b32 s11, s4, 1
	s_add_i32 s12, s11, -13
	v_mov_b32_e32 v110, s10
	s_add_i32 s13, s11, -14
	s_set_gpr_idx_on s12, gpr_idx(SRC0)
	v_mov_b32_e32 v105, v30
	s_set_gpr_idx_off
	s_add_i32 s14, s11, -11
	s_set_gpr_idx_on s13, gpr_idx(SRC0)
	v_mov_b32_e32 v104, v30
	s_set_gpr_idx_off
	ds_read2_b64 v[96:99], v110 offset1:1
	s_add_i32 s15, s11, -12
	s_set_gpr_idx_on s14, gpr_idx(SRC0)
	v_mov_b32_e32 v107, v30
	s_set_gpr_idx_off
	s_add_i32 s16, s11, -9
	s_set_gpr_idx_on s15, gpr_idx(SRC0)
	v_mov_b32_e32 v106, v30
	s_set_gpr_idx_off
	;; [unrolled: 4-line block ×4, first 2 shown]
	ds_read2_b64 v[100:103], v110 offset0:2 offset1:3
	s_add_i32 s19, s11, -8
	s_waitcnt lgkmcnt(1)
	v_fmac_f64_e32 v[90:91], v[104:105], v[96:97]
	s_set_gpr_idx_on s18, gpr_idx(SRC0)
	v_mov_b32_e32 v105, v30
	s_set_gpr_idx_off
	s_add_i32 s20, s11, -5
	v_fmac_f64_e32 v[90:91], v[106:107], v[98:99]
	s_set_gpr_idx_on s19, gpr_idx(SRC0)
	v_mov_b32_e32 v104, v30
	s_set_gpr_idx_off
	s_add_i32 s21, s11, -6
	s_set_gpr_idx_on s20, gpr_idx(SRC0)
	v_mov_b32_e32 v107, v30
	s_set_gpr_idx_off
	s_add_i32 s22, s11, -3
	;; [unrolled: 4-line block ×3, first 2 shown]
	ds_read2_b64 v[96:99], v110 offset0:4 offset1:5
	s_waitcnt lgkmcnt(1)
	v_fmac_f64_e32 v[90:91], v[108:109], v[100:101]
	s_set_gpr_idx_on s22, gpr_idx(SRC0)
	v_mov_b32_e32 v109, v30
	s_set_gpr_idx_off
	s_add_i32 s24, s11, -1
	v_fmac_f64_e32 v[90:91], v[104:105], v[102:103]
	s_set_gpr_idx_on s23, gpr_idx(SRC0)
	v_mov_b32_e32 v108, v30
	s_set_gpr_idx_off
	s_add_i32 s25, s11, -2
	s_set_gpr_idx_on s24, gpr_idx(SRC0)
	v_mov_b32_e32 v105, v30
	s_set_gpr_idx_off
	s_set_gpr_idx_on s25, gpr_idx(SRC0)
	v_mov_b32_e32 v104, v30
	s_set_gpr_idx_off
	ds_read2_b64 v[100:103], v110 offset0:6 offset1:7
	s_add_u32 s4, s4, 8
	s_waitcnt lgkmcnt(1)
	v_fmac_f64_e32 v[90:91], v[106:107], v[96:97]
	s_set_gpr_idx_on s11, gpr_idx(SRC0)
	v_mov_b32_e32 v97, v31
	s_set_gpr_idx_off
	v_add_u32_e32 v92, s4, v94
	v_fmac_f64_e32 v[90:91], v[108:109], v[98:99]
	s_set_gpr_idx_on s11, gpr_idx(SRC0)
	v_mov_b32_e32 v96, v30
	s_set_gpr_idx_off
	s_addc_u32 s5, s5, 0
	s_add_i32 s10, s10, 64
	s_add_i32 s12, s4, -7
	v_cmp_eq_u32_e32 vcc, 18, v92
	s_waitcnt lgkmcnt(0)
	v_fmac_f64_e32 v[90:91], v[104:105], v[100:101]
	v_mov_b32_e32 v92, s12
	s_or_b64 s[8:9], vcc, s[8:9]
	v_fmac_f64_e32 v[90:91], v[96:97], v[102:103]
	s_andn2_b64 exec, exec, s[8:9]
	s_cbranch_execnz .LBB13_25
; %bb.26:
	s_or_b64 exec, exec, s[8:9]
.LBB13_27:
	s_or_b64 exec, exec, s[2:3]
	v_and_b32_e32 v58, 7, v93
	v_cmp_ne_u32_e32 vcc, 0, v58
	s_and_saveexec_b64 s[8:9], vcc
	s_cbranch_execz .LBB13_31
; %bb.28:
	v_mov_b32_e32 v59, 0x70
	v_lshl_add_u32 v59, v92, 3, v59
	v_mov_b32_e32 v93, 0
	s_mov_b64 s[10:11], 0
.LBB13_29:                              ; =>This Inner Loop Header: Depth=1
	v_cmp_eq_u32_e32 vcc, 1, v92
	v_add_u32_e32 v58, -1, v58
	v_cmp_eq_u32_e64 s[2:3], 2, v92
	v_cndmask_b32_e32 v94, v31, v33, vcc
	v_cndmask_b32_e32 v96, v30, v32, vcc
	v_cndmask_b32_e64 v94, v94, v35, s[2:3]
	v_cmp_eq_u32_e32 vcc, 0, v58
	v_cmp_eq_u32_e64 s[4:5], 3, v92
	v_cndmask_b32_e64 v96, v96, v34, s[2:3]
	s_or_b64 s[10:11], vcc, s[10:11]
	v_cndmask_b32_e64 v94, v94, v37, s[4:5]
	v_cmp_eq_u32_e32 vcc, 4, v92
	v_cndmask_b32_e64 v96, v96, v36, s[4:5]
	v_cmp_eq_u32_e64 s[2:3], 5, v92
	v_cndmask_b32_e32 v94, v94, v39, vcc
	v_cndmask_b32_e32 v96, v96, v38, vcc
	v_cndmask_b32_e64 v94, v94, v41, s[2:3]
	v_cmp_eq_u32_e32 vcc, 6, v92
	v_cndmask_b32_e64 v96, v96, v40, s[2:3]
	v_cmp_eq_u32_e64 s[2:3], 7, v92
	v_cndmask_b32_e32 v94, v94, v43, vcc
	v_cndmask_b32_e32 v96, v96, v42, vcc
	;; [unrolled: 6-line block ×3, first 2 shown]
	v_cndmask_b32_e64 v94, v94, v49, s[2:3]
	v_cmp_eq_u32_e32 vcc, 10, v92
	ds_read_b64 v[60:61], v59
	v_cndmask_b32_e64 v96, v96, v48, s[2:3]
	v_cndmask_b32_e32 v94, v94, v51, vcc
	v_cmp_eq_u32_e64 s[2:3], 11, v92
	v_cndmask_b32_e32 v96, v96, v50, vcc
	v_cmp_eq_u32_e32 vcc, 12, v92
	v_cndmask_b32_e64 v94, v94, v53, s[2:3]
	v_cmp_eq_u32_e64 s[4:5], 13, v92
	v_cndmask_b32_e32 v94, v94, v55, vcc
	v_cndmask_b32_e64 v96, v96, v52, s[2:3]
	v_cndmask_b32_e64 v97, v94, v57, s[4:5]
	v_cndmask_b32_e32 v94, v96, v54, vcc
	v_cndmask_b32_e64 v96, v94, v56, s[4:5]
	v_add_u32_e32 v59, 8, v59
	v_lshl_add_u64 v[92:93], v[92:93], 0, 1
	s_waitcnt lgkmcnt(0)
	v_fmac_f64_e32 v[90:91], v[96:97], v[60:61]
	s_andn2_b64 exec, exec, s[10:11]
	s_cbranch_execnz .LBB13_29
; %bb.30:
	s_or_b64 exec, exec, s[10:11]
.LBB13_31:
	s_or_b64 exec, exec, s[8:9]
.LBB13_32:
	s_or_b64 exec, exec, s[6:7]
	v_mov_b32_e32 v50, 0
	ds_read_b64 v[50:51], v50 offset:80
	s_waitcnt lgkmcnt(0)
	v_mul_f64 v[50:51], v[90:91], v[50:51]
.LBB13_33:
	s_or_b64 exec, exec, s[30:31]
	v_cmp_lt_u32_e64 s[2:3], 9, v0
	ds_write_b64 v95, v[48:49]
	s_waitcnt lgkmcnt(0)
	; wave barrier
	s_and_saveexec_b64 s[30:31], s[2:3]
	s_cbranch_execz .LBB13_49
; %bb.34:
	s_andn2_b64 vcc, exec, s[28:29]
	s_cbranch_vccnz .LBB13_36
; %bb.35:
	v_cmp_eq_u32_e32 vcc, 1, v0
	v_cmp_eq_u32_e64 s[4:5], 2, v0
	v_cmp_eq_u32_e64 s[6:7], 3, v0
	v_cndmask_b32_e32 v90, v31, v33, vcc
	v_cndmask_b32_e64 v90, v90, v35, s[4:5]
	v_cndmask_b32_e64 v90, v90, v37, s[6:7]
	v_cmp_eq_u32_e64 s[8:9], 4, v0
	v_cmp_eq_u32_e64 s[10:11], 5, v0
	v_cmp_eq_u32_e64 s[12:13], 6, v0
	v_cndmask_b32_e64 v90, v90, v39, s[8:9]
	v_cndmask_b32_e64 v90, v90, v41, s[10:11]
	v_cndmask_b32_e64 v90, v90, v43, s[12:13]
	v_cmp_eq_u32_e64 s[14:15], 7, v0
	v_cmp_eq_u32_e64 s[16:17], 8, v0
	v_cmp_eq_u32_e64 s[18:19], 9, v0
	v_cndmask_b32_e64 v90, v90, v45, s[14:15]
	;; [unrolled: 6-line block ×3, first 2 shown]
	v_cndmask_b32_e64 v90, v90, v53, s[22:23]
	v_cndmask_b32_e64 v90, v90, v55, s[24:25]
	v_cmp_eq_u32_e64 s[26:27], 13, v0
	ds_read_b64 v[92:93], v95
	s_nop 0
	v_cndmask_b32_e64 v91, v90, v57, s[26:27]
	v_cndmask_b32_e32 v90, v30, v32, vcc
	v_cndmask_b32_e64 v90, v90, v34, s[4:5]
	v_cndmask_b32_e64 v90, v90, v36, s[6:7]
	v_cndmask_b32_e64 v90, v90, v38, s[8:9]
	v_cndmask_b32_e64 v90, v90, v40, s[10:11]
	v_cndmask_b32_e64 v90, v90, v42, s[12:13]
	v_cndmask_b32_e64 v90, v90, v44, s[14:15]
	v_cndmask_b32_e64 v90, v90, v46, s[16:17]
	v_cndmask_b32_e64 v90, v90, v48, s[18:19]
	v_cndmask_b32_e64 v90, v90, v50, s[20:21]
	v_cndmask_b32_e64 v90, v90, v52, s[22:23]
	v_cndmask_b32_e64 v90, v90, v54, s[24:25]
	v_cndmask_b32_e64 v90, v90, v56, s[26:27]
	s_waitcnt lgkmcnt(0)
	v_mul_f64 v[90:91], v[90:91], v[92:93]
	s_cbranch_execz .LBB13_37
	s_branch .LBB13_38
.LBB13_36:
                                        ; implicit-def: $vgpr90_vgpr91
.LBB13_37:
	ds_read_b64 v[90:91], v95
.LBB13_38:
	s_and_saveexec_b64 s[6:7], s[0:1]
	s_cbranch_execz .LBB13_48
; %bb.39:
	v_add_u32_e32 v92, -11, v0
	v_add_u32_e32 v93, -10, v0
	v_cmp_lt_u32_e32 vcc, 6, v92
	v_mov_b32_e32 v92, 10
	s_and_saveexec_b64 s[0:1], vcc
	s_cbranch_execz .LBB13_43
; %bb.40:
	v_and_b32_e32 v92, -8, v93
	v_sub_u32_e32 v94, 0, v92
	s_mov_b64 s[4:5], 17
	s_movk_i32 s10, 0xc0
	s_mov_b64 s[8:9], 0
.LBB13_41:                              ; =>This Inner Loop Header: Depth=1
	s_lshl_b32 s11, s4, 1
	s_add_i32 s12, s11, -13
	s_add_i32 s13, s11, -14
	s_set_gpr_idx_on s12, gpr_idx(SRC0)
	v_mov_b32_e32 v113, v30
	s_set_gpr_idx_off
	v_mov_b32_e32 v92, s10
	s_add_i32 s14, s11, -11
	s_set_gpr_idx_on s13, gpr_idx(SRC0)
	v_mov_b32_e32 v112, v30
	s_set_gpr_idx_off
	s_add_i32 s15, s11, -12
	ds_read_b128 v[96:99], v92
	ds_read_b128 v[100:103], v92 offset:16
	ds_read_b128 v[104:107], v92 offset:32
	;; [unrolled: 1-line block ×3, first 2 shown]
	s_set_gpr_idx_on s14, gpr_idx(SRC0)
	v_mov_b32_e32 v115, v30
	s_set_gpr_idx_off
	s_add_i32 s16, s11, -9
	s_set_gpr_idx_on s15, gpr_idx(SRC0)
	v_mov_b32_e32 v114, v30
	s_set_gpr_idx_off
	s_add_i32 s17, s11, -10
	;; [unrolled: 4-line block ×4, first 2 shown]
	s_waitcnt lgkmcnt(3)
	v_fmac_f64_e32 v[90:91], v[112:113], v[96:97]
	s_set_gpr_idx_on s18, gpr_idx(SRC0)
	v_mov_b32_e32 v97, v30
	s_set_gpr_idx_off
	s_add_i32 s20, s11, -5
	v_fmac_f64_e32 v[90:91], v[114:115], v[98:99]
	s_set_gpr_idx_on s19, gpr_idx(SRC0)
	v_mov_b32_e32 v96, v30
	s_set_gpr_idx_off
	s_add_i32 s21, s11, -6
	s_waitcnt lgkmcnt(2)
	v_fmac_f64_e32 v[90:91], v[116:117], v[100:101]
	s_set_gpr_idx_on s20, gpr_idx(SRC0)
	v_mov_b32_e32 v99, v30
	s_set_gpr_idx_off
	s_add_i32 s22, s11, -3
	v_fmac_f64_e32 v[90:91], v[96:97], v[102:103]
	s_set_gpr_idx_on s21, gpr_idx(SRC0)
	v_mov_b32_e32 v98, v30
	s_set_gpr_idx_off
	s_add_i32 s23, s11, -4
	s_waitcnt lgkmcnt(1)
	v_fmac_f64_e32 v[90:91], v[98:99], v[104:105]
	s_set_gpr_idx_on s22, gpr_idx(SRC0)
	v_mov_b32_e32 v97, v30
	s_set_gpr_idx_off
	s_add_i32 s24, s11, -1
	s_set_gpr_idx_on s23, gpr_idx(SRC0)
	v_mov_b32_e32 v96, v30
	s_set_gpr_idx_off
	s_add_i32 s25, s11, -2
	v_fmac_f64_e32 v[90:91], v[96:97], v[106:107]
	s_set_gpr_idx_on s24, gpr_idx(SRC0)
	v_mov_b32_e32 v97, v30
	s_set_gpr_idx_off
	s_add_u32 s4, s4, 8
	s_set_gpr_idx_on s25, gpr_idx(SRC0)
	v_mov_b32_e32 v96, v30
	s_set_gpr_idx_off
	v_add_u32_e32 v92, s4, v94
	s_waitcnt lgkmcnt(0)
	v_fmac_f64_e32 v[90:91], v[96:97], v[108:109]
	s_set_gpr_idx_on s11, gpr_idx(SRC0)
	v_mov_b32_e32 v97, v31
	s_set_gpr_idx_off
	s_addc_u32 s5, s5, 0
	s_add_i32 s10, s10, 64
	s_add_i32 s12, s4, -7
	v_cmp_eq_u32_e32 vcc, 17, v92
	s_set_gpr_idx_on s11, gpr_idx(SRC0)
	v_mov_b32_e32 v96, v30
	s_set_gpr_idx_off
	v_mov_b32_e32 v92, s12
	s_or_b64 s[8:9], vcc, s[8:9]
	v_fmac_f64_e32 v[90:91], v[96:97], v[110:111]
	s_andn2_b64 exec, exec, s[8:9]
	s_cbranch_execnz .LBB13_41
; %bb.42:
	s_or_b64 exec, exec, s[8:9]
.LBB13_43:
	s_or_b64 exec, exec, s[0:1]
	v_and_b32_e32 v58, 7, v93
	v_cmp_ne_u32_e32 vcc, 0, v58
	s_and_saveexec_b64 s[8:9], vcc
	s_cbranch_execz .LBB13_47
; %bb.44:
	v_mov_b32_e32 v59, 0x70
	v_lshl_add_u32 v59, v92, 3, v59
	v_mov_b32_e32 v93, 0
	s_mov_b64 s[10:11], 0
.LBB13_45:                              ; =>This Inner Loop Header: Depth=1
	v_cmp_eq_u32_e32 vcc, 1, v92
	v_add_u32_e32 v58, -1, v58
	v_cmp_eq_u32_e64 s[0:1], 2, v92
	v_cndmask_b32_e32 v94, v31, v33, vcc
	v_cndmask_b32_e32 v96, v30, v32, vcc
	v_cndmask_b32_e64 v94, v94, v35, s[0:1]
	v_cmp_eq_u32_e32 vcc, 0, v58
	v_cmp_eq_u32_e64 s[4:5], 3, v92
	v_cndmask_b32_e64 v96, v96, v34, s[0:1]
	s_or_b64 s[10:11], vcc, s[10:11]
	v_cndmask_b32_e64 v94, v94, v37, s[4:5]
	v_cmp_eq_u32_e32 vcc, 4, v92
	v_cndmask_b32_e64 v96, v96, v36, s[4:5]
	v_cmp_eq_u32_e64 s[0:1], 5, v92
	v_cndmask_b32_e32 v94, v94, v39, vcc
	v_cndmask_b32_e32 v96, v96, v38, vcc
	v_cndmask_b32_e64 v94, v94, v41, s[0:1]
	v_cmp_eq_u32_e32 vcc, 6, v92
	v_cndmask_b32_e64 v96, v96, v40, s[0:1]
	v_cmp_eq_u32_e64 s[0:1], 7, v92
	v_cndmask_b32_e32 v94, v94, v43, vcc
	v_cndmask_b32_e32 v96, v96, v42, vcc
	;; [unrolled: 6-line block ×3, first 2 shown]
	v_cndmask_b32_e64 v94, v94, v49, s[0:1]
	v_cmp_eq_u32_e32 vcc, 10, v92
	ds_read_b64 v[60:61], v59
	v_cndmask_b32_e64 v96, v96, v48, s[0:1]
	v_cndmask_b32_e32 v94, v94, v51, vcc
	v_cmp_eq_u32_e64 s[0:1], 11, v92
	v_cndmask_b32_e32 v96, v96, v50, vcc
	v_cmp_eq_u32_e32 vcc, 12, v92
	v_cndmask_b32_e64 v94, v94, v53, s[0:1]
	v_cmp_eq_u32_e64 s[4:5], 13, v92
	v_cndmask_b32_e32 v94, v94, v55, vcc
	v_cndmask_b32_e64 v96, v96, v52, s[0:1]
	v_cndmask_b32_e64 v97, v94, v57, s[4:5]
	v_cndmask_b32_e32 v94, v96, v54, vcc
	v_cndmask_b32_e64 v96, v94, v56, s[4:5]
	v_add_u32_e32 v59, 8, v59
	v_lshl_add_u64 v[92:93], v[92:93], 0, 1
	s_waitcnt lgkmcnt(0)
	v_fmac_f64_e32 v[90:91], v[96:97], v[60:61]
	s_andn2_b64 exec, exec, s[10:11]
	s_cbranch_execnz .LBB13_45
; %bb.46:
	s_or_b64 exec, exec, s[10:11]
.LBB13_47:
	s_or_b64 exec, exec, s[8:9]
.LBB13_48:
	s_or_b64 exec, exec, s[6:7]
	v_mov_b32_e32 v48, 0
	ds_read_b64 v[48:49], v48 offset:72
	s_waitcnt lgkmcnt(0)
	v_mul_f64 v[48:49], v[90:91], v[48:49]
.LBB13_49:
	s_or_b64 exec, exec, s[30:31]
	v_cmp_lt_u32_e64 s[0:1], 8, v0
	ds_write_b64 v95, v[46:47]
	s_waitcnt lgkmcnt(0)
	; wave barrier
	s_and_saveexec_b64 s[30:31], s[0:1]
	s_cbranch_execz .LBB13_65
; %bb.50:
	s_andn2_b64 vcc, exec, s[28:29]
	s_cbranch_vccnz .LBB13_52
; %bb.51:
	v_cmp_eq_u32_e32 vcc, 1, v0
	v_cmp_eq_u32_e64 s[4:5], 2, v0
	v_cmp_eq_u32_e64 s[6:7], 3, v0
	v_cndmask_b32_e32 v90, v31, v33, vcc
	v_cndmask_b32_e64 v90, v90, v35, s[4:5]
	v_cndmask_b32_e64 v90, v90, v37, s[6:7]
	v_cmp_eq_u32_e64 s[8:9], 4, v0
	v_cmp_eq_u32_e64 s[10:11], 5, v0
	v_cmp_eq_u32_e64 s[12:13], 6, v0
	v_cndmask_b32_e64 v90, v90, v39, s[8:9]
	v_cndmask_b32_e64 v90, v90, v41, s[10:11]
	v_cndmask_b32_e64 v90, v90, v43, s[12:13]
	v_cmp_eq_u32_e64 s[14:15], 7, v0
	v_cmp_eq_u32_e64 s[16:17], 8, v0
	v_cmp_eq_u32_e64 s[18:19], 9, v0
	v_cndmask_b32_e64 v90, v90, v45, s[14:15]
	;; [unrolled: 6-line block ×3, first 2 shown]
	v_cndmask_b32_e64 v90, v90, v53, s[22:23]
	v_cndmask_b32_e64 v90, v90, v55, s[24:25]
	v_cmp_eq_u32_e64 s[26:27], 13, v0
	ds_read_b64 v[92:93], v95
	s_nop 0
	v_cndmask_b32_e64 v91, v90, v57, s[26:27]
	v_cndmask_b32_e32 v90, v30, v32, vcc
	v_cndmask_b32_e64 v90, v90, v34, s[4:5]
	v_cndmask_b32_e64 v90, v90, v36, s[6:7]
	v_cndmask_b32_e64 v90, v90, v38, s[8:9]
	v_cndmask_b32_e64 v90, v90, v40, s[10:11]
	v_cndmask_b32_e64 v90, v90, v42, s[12:13]
	v_cndmask_b32_e64 v90, v90, v44, s[14:15]
	v_cndmask_b32_e64 v90, v90, v46, s[16:17]
	v_cndmask_b32_e64 v90, v90, v48, s[18:19]
	v_cndmask_b32_e64 v90, v90, v50, s[20:21]
	v_cndmask_b32_e64 v90, v90, v52, s[22:23]
	v_cndmask_b32_e64 v90, v90, v54, s[24:25]
	v_cndmask_b32_e64 v90, v90, v56, s[26:27]
	s_waitcnt lgkmcnt(0)
	v_mul_f64 v[90:91], v[90:91], v[92:93]
	s_cbranch_execz .LBB13_53
	s_branch .LBB13_54
.LBB13_52:
                                        ; implicit-def: $vgpr90_vgpr91
.LBB13_53:
	ds_read_b64 v[90:91], v95
.LBB13_54:
	s_and_saveexec_b64 s[6:7], s[2:3]
	s_cbranch_execz .LBB13_64
; %bb.55:
	v_add_u32_e32 v92, -10, v0
	v_add_u32_e32 v93, -9, v0
	v_cmp_lt_u32_e32 vcc, 6, v92
	v_mov_b32_e32 v92, 9
	s_and_saveexec_b64 s[2:3], vcc
	s_cbranch_execz .LBB13_59
; %bb.56:
	v_and_b32_e32 v92, -8, v93
	v_sub_u32_e32 v94, 0, v92
	s_mov_b64 s[4:5], 16
	s_movk_i32 s10, 0xb8
	s_mov_b64 s[8:9], 0
.LBB13_57:                              ; =>This Inner Loop Header: Depth=1
	s_lshl_b32 s11, s4, 1
	s_add_i32 s12, s11, -13
	v_mov_b32_e32 v110, s10
	s_add_i32 s13, s11, -14
	s_set_gpr_idx_on s12, gpr_idx(SRC0)
	v_mov_b32_e32 v105, v30
	s_set_gpr_idx_off
	s_add_i32 s14, s11, -11
	s_set_gpr_idx_on s13, gpr_idx(SRC0)
	v_mov_b32_e32 v104, v30
	s_set_gpr_idx_off
	ds_read2_b64 v[96:99], v110 offset1:1
	s_add_i32 s15, s11, -12
	s_set_gpr_idx_on s14, gpr_idx(SRC0)
	v_mov_b32_e32 v107, v30
	s_set_gpr_idx_off
	s_add_i32 s16, s11, -9
	s_set_gpr_idx_on s15, gpr_idx(SRC0)
	v_mov_b32_e32 v106, v30
	s_set_gpr_idx_off
	;; [unrolled: 4-line block ×4, first 2 shown]
	ds_read2_b64 v[100:103], v110 offset0:2 offset1:3
	s_add_i32 s19, s11, -8
	s_waitcnt lgkmcnt(1)
	v_fmac_f64_e32 v[90:91], v[104:105], v[96:97]
	s_set_gpr_idx_on s18, gpr_idx(SRC0)
	v_mov_b32_e32 v105, v30
	s_set_gpr_idx_off
	s_add_i32 s20, s11, -5
	v_fmac_f64_e32 v[90:91], v[106:107], v[98:99]
	s_set_gpr_idx_on s19, gpr_idx(SRC0)
	v_mov_b32_e32 v104, v30
	s_set_gpr_idx_off
	s_add_i32 s21, s11, -6
	s_set_gpr_idx_on s20, gpr_idx(SRC0)
	v_mov_b32_e32 v107, v30
	s_set_gpr_idx_off
	s_add_i32 s22, s11, -3
	;; [unrolled: 4-line block ×3, first 2 shown]
	ds_read2_b64 v[96:99], v110 offset0:4 offset1:5
	s_waitcnt lgkmcnt(1)
	v_fmac_f64_e32 v[90:91], v[108:109], v[100:101]
	s_set_gpr_idx_on s22, gpr_idx(SRC0)
	v_mov_b32_e32 v109, v30
	s_set_gpr_idx_off
	s_add_i32 s24, s11, -1
	v_fmac_f64_e32 v[90:91], v[104:105], v[102:103]
	s_set_gpr_idx_on s23, gpr_idx(SRC0)
	v_mov_b32_e32 v108, v30
	s_set_gpr_idx_off
	s_add_i32 s25, s11, -2
	s_set_gpr_idx_on s24, gpr_idx(SRC0)
	v_mov_b32_e32 v105, v30
	s_set_gpr_idx_off
	s_set_gpr_idx_on s25, gpr_idx(SRC0)
	v_mov_b32_e32 v104, v30
	s_set_gpr_idx_off
	ds_read2_b64 v[100:103], v110 offset0:6 offset1:7
	s_add_u32 s4, s4, 8
	s_waitcnt lgkmcnt(1)
	v_fmac_f64_e32 v[90:91], v[106:107], v[96:97]
	s_set_gpr_idx_on s11, gpr_idx(SRC0)
	v_mov_b32_e32 v97, v31
	s_set_gpr_idx_off
	v_add_u32_e32 v92, s4, v94
	v_fmac_f64_e32 v[90:91], v[108:109], v[98:99]
	s_set_gpr_idx_on s11, gpr_idx(SRC0)
	v_mov_b32_e32 v96, v30
	s_set_gpr_idx_off
	s_addc_u32 s5, s5, 0
	s_add_i32 s10, s10, 64
	s_add_i32 s12, s4, -7
	v_cmp_eq_u32_e32 vcc, 16, v92
	s_waitcnt lgkmcnt(0)
	v_fmac_f64_e32 v[90:91], v[104:105], v[100:101]
	v_mov_b32_e32 v92, s12
	s_or_b64 s[8:9], vcc, s[8:9]
	v_fmac_f64_e32 v[90:91], v[96:97], v[102:103]
	s_andn2_b64 exec, exec, s[8:9]
	s_cbranch_execnz .LBB13_57
; %bb.58:
	s_or_b64 exec, exec, s[8:9]
.LBB13_59:
	s_or_b64 exec, exec, s[2:3]
	v_and_b32_e32 v58, 7, v93
	v_cmp_ne_u32_e32 vcc, 0, v58
	s_and_saveexec_b64 s[8:9], vcc
	s_cbranch_execz .LBB13_63
; %bb.60:
	v_mov_b32_e32 v59, 0x70
	v_lshl_add_u32 v59, v92, 3, v59
	v_mov_b32_e32 v93, 0
	s_mov_b64 s[10:11], 0
.LBB13_61:                              ; =>This Inner Loop Header: Depth=1
	v_cmp_eq_u32_e32 vcc, 1, v92
	v_add_u32_e32 v58, -1, v58
	v_cmp_eq_u32_e64 s[2:3], 2, v92
	v_cndmask_b32_e32 v94, v31, v33, vcc
	v_cndmask_b32_e32 v96, v30, v32, vcc
	v_cndmask_b32_e64 v94, v94, v35, s[2:3]
	v_cmp_eq_u32_e32 vcc, 0, v58
	v_cmp_eq_u32_e64 s[4:5], 3, v92
	v_cndmask_b32_e64 v96, v96, v34, s[2:3]
	s_or_b64 s[10:11], vcc, s[10:11]
	v_cndmask_b32_e64 v94, v94, v37, s[4:5]
	v_cmp_eq_u32_e32 vcc, 4, v92
	v_cndmask_b32_e64 v96, v96, v36, s[4:5]
	v_cmp_eq_u32_e64 s[2:3], 5, v92
	v_cndmask_b32_e32 v94, v94, v39, vcc
	v_cndmask_b32_e32 v96, v96, v38, vcc
	v_cndmask_b32_e64 v94, v94, v41, s[2:3]
	v_cmp_eq_u32_e32 vcc, 6, v92
	v_cndmask_b32_e64 v96, v96, v40, s[2:3]
	v_cmp_eq_u32_e64 s[2:3], 7, v92
	v_cndmask_b32_e32 v94, v94, v43, vcc
	v_cndmask_b32_e32 v96, v96, v42, vcc
	;; [unrolled: 6-line block ×3, first 2 shown]
	v_cndmask_b32_e64 v94, v94, v49, s[2:3]
	v_cmp_eq_u32_e32 vcc, 10, v92
	ds_read_b64 v[60:61], v59
	v_cndmask_b32_e64 v96, v96, v48, s[2:3]
	v_cndmask_b32_e32 v94, v94, v51, vcc
	v_cmp_eq_u32_e64 s[2:3], 11, v92
	v_cndmask_b32_e32 v96, v96, v50, vcc
	v_cmp_eq_u32_e32 vcc, 12, v92
	v_cndmask_b32_e64 v94, v94, v53, s[2:3]
	v_cmp_eq_u32_e64 s[4:5], 13, v92
	v_cndmask_b32_e32 v94, v94, v55, vcc
	v_cndmask_b32_e64 v96, v96, v52, s[2:3]
	v_cndmask_b32_e64 v97, v94, v57, s[4:5]
	v_cndmask_b32_e32 v94, v96, v54, vcc
	v_cndmask_b32_e64 v96, v94, v56, s[4:5]
	v_add_u32_e32 v59, 8, v59
	v_lshl_add_u64 v[92:93], v[92:93], 0, 1
	s_waitcnt lgkmcnt(0)
	v_fmac_f64_e32 v[90:91], v[96:97], v[60:61]
	s_andn2_b64 exec, exec, s[10:11]
	s_cbranch_execnz .LBB13_61
; %bb.62:
	s_or_b64 exec, exec, s[10:11]
.LBB13_63:
	s_or_b64 exec, exec, s[8:9]
.LBB13_64:
	s_or_b64 exec, exec, s[6:7]
	v_mov_b32_e32 v46, 0
	ds_read_b64 v[46:47], v46 offset:64
	s_waitcnt lgkmcnt(0)
	v_mul_f64 v[46:47], v[90:91], v[46:47]
.LBB13_65:
	s_or_b64 exec, exec, s[30:31]
	v_cmp_lt_u32_e64 s[2:3], 7, v0
	ds_write_b64 v95, v[44:45]
	s_waitcnt lgkmcnt(0)
	; wave barrier
	s_and_saveexec_b64 s[30:31], s[2:3]
	s_cbranch_execz .LBB13_81
; %bb.66:
	s_andn2_b64 vcc, exec, s[28:29]
	s_cbranch_vccnz .LBB13_68
; %bb.67:
	v_cmp_eq_u32_e32 vcc, 1, v0
	v_cmp_eq_u32_e64 s[4:5], 2, v0
	v_cmp_eq_u32_e64 s[6:7], 3, v0
	v_cndmask_b32_e32 v90, v31, v33, vcc
	v_cndmask_b32_e64 v90, v90, v35, s[4:5]
	v_cndmask_b32_e64 v90, v90, v37, s[6:7]
	v_cmp_eq_u32_e64 s[8:9], 4, v0
	v_cmp_eq_u32_e64 s[10:11], 5, v0
	v_cmp_eq_u32_e64 s[12:13], 6, v0
	v_cndmask_b32_e64 v90, v90, v39, s[8:9]
	v_cndmask_b32_e64 v90, v90, v41, s[10:11]
	v_cndmask_b32_e64 v90, v90, v43, s[12:13]
	v_cmp_eq_u32_e64 s[14:15], 7, v0
	v_cmp_eq_u32_e64 s[16:17], 8, v0
	v_cmp_eq_u32_e64 s[18:19], 9, v0
	v_cndmask_b32_e64 v90, v90, v45, s[14:15]
	;; [unrolled: 6-line block ×3, first 2 shown]
	v_cndmask_b32_e64 v90, v90, v53, s[22:23]
	v_cndmask_b32_e64 v90, v90, v55, s[24:25]
	v_cmp_eq_u32_e64 s[26:27], 13, v0
	ds_read_b64 v[92:93], v95
	s_nop 0
	v_cndmask_b32_e64 v91, v90, v57, s[26:27]
	v_cndmask_b32_e32 v90, v30, v32, vcc
	v_cndmask_b32_e64 v90, v90, v34, s[4:5]
	v_cndmask_b32_e64 v90, v90, v36, s[6:7]
	;; [unrolled: 1-line block ×12, first 2 shown]
	s_waitcnt lgkmcnt(0)
	v_mul_f64 v[90:91], v[90:91], v[92:93]
	s_cbranch_execz .LBB13_69
	s_branch .LBB13_70
.LBB13_68:
                                        ; implicit-def: $vgpr90_vgpr91
.LBB13_69:
	ds_read_b64 v[90:91], v95
.LBB13_70:
	s_and_saveexec_b64 s[6:7], s[0:1]
	s_cbranch_execz .LBB13_80
; %bb.71:
	v_add_u32_e32 v92, -9, v0
	v_cmp_lt_u32_e32 vcc, 6, v92
	v_mov_b32_e32 v92, 8
	s_and_saveexec_b64 s[0:1], vcc
	s_cbranch_execz .LBB13_75
; %bb.72:
	v_and_b32_e32 v92, 8, v0
	v_sub_u32_e32 v94, 0, v92
	s_mov_b64 s[4:5], 15
	s_movk_i32 s10, 0xb0
	s_mov_b64 s[8:9], 0
.LBB13_73:                              ; =>This Inner Loop Header: Depth=1
	s_lshl_b32 s11, s4, 1
	s_add_i32 s12, s11, -13
	s_add_i32 s13, s11, -14
	s_set_gpr_idx_on s12, gpr_idx(SRC0)
	v_mov_b32_e32 v113, v30
	s_set_gpr_idx_off
	v_mov_b32_e32 v92, s10
	s_add_i32 s14, s11, -11
	s_set_gpr_idx_on s13, gpr_idx(SRC0)
	v_mov_b32_e32 v112, v30
	s_set_gpr_idx_off
	s_add_i32 s15, s11, -12
	ds_read_b128 v[96:99], v92
	ds_read_b128 v[100:103], v92 offset:16
	ds_read_b128 v[104:107], v92 offset:32
	;; [unrolled: 1-line block ×3, first 2 shown]
	s_set_gpr_idx_on s14, gpr_idx(SRC0)
	v_mov_b32_e32 v115, v30
	s_set_gpr_idx_off
	s_add_i32 s16, s11, -9
	s_set_gpr_idx_on s15, gpr_idx(SRC0)
	v_mov_b32_e32 v114, v30
	s_set_gpr_idx_off
	s_add_i32 s17, s11, -10
	;; [unrolled: 4-line block ×4, first 2 shown]
	s_waitcnt lgkmcnt(3)
	v_fmac_f64_e32 v[90:91], v[112:113], v[96:97]
	s_set_gpr_idx_on s18, gpr_idx(SRC0)
	v_mov_b32_e32 v97, v30
	s_set_gpr_idx_off
	s_add_i32 s20, s11, -5
	v_fmac_f64_e32 v[90:91], v[114:115], v[98:99]
	s_set_gpr_idx_on s19, gpr_idx(SRC0)
	v_mov_b32_e32 v96, v30
	s_set_gpr_idx_off
	s_add_i32 s21, s11, -6
	s_waitcnt lgkmcnt(2)
	v_fmac_f64_e32 v[90:91], v[116:117], v[100:101]
	s_set_gpr_idx_on s20, gpr_idx(SRC0)
	v_mov_b32_e32 v99, v30
	s_set_gpr_idx_off
	s_add_i32 s22, s11, -3
	v_fmac_f64_e32 v[90:91], v[96:97], v[102:103]
	s_set_gpr_idx_on s21, gpr_idx(SRC0)
	v_mov_b32_e32 v98, v30
	s_set_gpr_idx_off
	s_add_i32 s23, s11, -4
	s_waitcnt lgkmcnt(1)
	v_fmac_f64_e32 v[90:91], v[98:99], v[104:105]
	s_set_gpr_idx_on s22, gpr_idx(SRC0)
	v_mov_b32_e32 v97, v30
	s_set_gpr_idx_off
	s_add_i32 s24, s11, -1
	s_set_gpr_idx_on s23, gpr_idx(SRC0)
	v_mov_b32_e32 v96, v30
	s_set_gpr_idx_off
	s_add_i32 s25, s11, -2
	v_fmac_f64_e32 v[90:91], v[96:97], v[106:107]
	s_set_gpr_idx_on s24, gpr_idx(SRC0)
	v_mov_b32_e32 v97, v30
	s_set_gpr_idx_off
	s_add_u32 s4, s4, 8
	s_set_gpr_idx_on s25, gpr_idx(SRC0)
	v_mov_b32_e32 v96, v30
	s_set_gpr_idx_off
	v_add_u32_e32 v92, s4, v94
	s_waitcnt lgkmcnt(0)
	v_fmac_f64_e32 v[90:91], v[96:97], v[108:109]
	s_set_gpr_idx_on s11, gpr_idx(SRC0)
	v_mov_b32_e32 v97, v31
	s_set_gpr_idx_off
	s_addc_u32 s5, s5, 0
	s_add_i32 s10, s10, 64
	s_add_i32 s12, s4, -7
	v_cmp_eq_u32_e32 vcc, 7, v92
	s_set_gpr_idx_on s11, gpr_idx(SRC0)
	v_mov_b32_e32 v96, v30
	s_set_gpr_idx_off
	v_mov_b32_e32 v92, s12
	s_or_b64 s[8:9], vcc, s[8:9]
	v_fmac_f64_e32 v[90:91], v[96:97], v[110:111]
	s_andn2_b64 exec, exec, s[8:9]
	s_cbranch_execnz .LBB13_73
; %bb.74:
	s_or_b64 exec, exec, s[8:9]
.LBB13_75:
	s_or_b64 exec, exec, s[0:1]
	v_and_b32_e32 v58, 7, v0
	v_cmp_ne_u32_e32 vcc, 0, v58
	s_and_saveexec_b64 s[8:9], vcc
	s_cbranch_execz .LBB13_79
; %bb.76:
	v_mov_b32_e32 v59, 0x70
	v_lshl_add_u32 v59, v92, 3, v59
	v_mov_b32_e32 v93, 0
	s_mov_b64 s[10:11], 0
.LBB13_77:                              ; =>This Inner Loop Header: Depth=1
	v_cmp_eq_u32_e32 vcc, 1, v92
	v_add_u32_e32 v58, -1, v58
	v_cmp_eq_u32_e64 s[0:1], 2, v92
	v_cndmask_b32_e32 v94, v31, v33, vcc
	v_cndmask_b32_e32 v96, v30, v32, vcc
	v_cndmask_b32_e64 v94, v94, v35, s[0:1]
	v_cmp_eq_u32_e32 vcc, 0, v58
	v_cmp_eq_u32_e64 s[4:5], 3, v92
	v_cndmask_b32_e64 v96, v96, v34, s[0:1]
	s_or_b64 s[10:11], vcc, s[10:11]
	v_cndmask_b32_e64 v94, v94, v37, s[4:5]
	v_cmp_eq_u32_e32 vcc, 4, v92
	v_cndmask_b32_e64 v96, v96, v36, s[4:5]
	v_cmp_eq_u32_e64 s[0:1], 5, v92
	v_cndmask_b32_e32 v94, v94, v39, vcc
	v_cndmask_b32_e32 v96, v96, v38, vcc
	v_cndmask_b32_e64 v94, v94, v41, s[0:1]
	v_cmp_eq_u32_e32 vcc, 6, v92
	v_cndmask_b32_e64 v96, v96, v40, s[0:1]
	v_cmp_eq_u32_e64 s[0:1], 7, v92
	v_cndmask_b32_e32 v94, v94, v43, vcc
	v_cndmask_b32_e32 v96, v96, v42, vcc
	;; [unrolled: 6-line block ×3, first 2 shown]
	v_cndmask_b32_e64 v94, v94, v49, s[0:1]
	v_cmp_eq_u32_e32 vcc, 10, v92
	ds_read_b64 v[60:61], v59
	v_cndmask_b32_e64 v96, v96, v48, s[0:1]
	v_cndmask_b32_e32 v94, v94, v51, vcc
	v_cmp_eq_u32_e64 s[0:1], 11, v92
	v_cndmask_b32_e32 v96, v96, v50, vcc
	v_cmp_eq_u32_e32 vcc, 12, v92
	v_cndmask_b32_e64 v94, v94, v53, s[0:1]
	v_cmp_eq_u32_e64 s[4:5], 13, v92
	v_cndmask_b32_e32 v94, v94, v55, vcc
	v_cndmask_b32_e64 v96, v96, v52, s[0:1]
	v_cndmask_b32_e64 v97, v94, v57, s[4:5]
	v_cndmask_b32_e32 v94, v96, v54, vcc
	v_cndmask_b32_e64 v96, v94, v56, s[4:5]
	v_add_u32_e32 v59, 8, v59
	v_lshl_add_u64 v[92:93], v[92:93], 0, 1
	s_waitcnt lgkmcnt(0)
	v_fmac_f64_e32 v[90:91], v[96:97], v[60:61]
	s_andn2_b64 exec, exec, s[10:11]
	s_cbranch_execnz .LBB13_77
; %bb.78:
	s_or_b64 exec, exec, s[10:11]
.LBB13_79:
	s_or_b64 exec, exec, s[8:9]
.LBB13_80:
	s_or_b64 exec, exec, s[6:7]
	v_mov_b32_e32 v44, 0
	ds_read_b64 v[44:45], v44 offset:56
	s_waitcnt lgkmcnt(0)
	v_mul_f64 v[44:45], v[90:91], v[44:45]
.LBB13_81:
	s_or_b64 exec, exec, s[30:31]
	v_cmp_lt_u32_e64 s[0:1], 6, v0
	ds_write_b64 v95, v[42:43]
	s_waitcnt lgkmcnt(0)
	; wave barrier
	s_and_saveexec_b64 s[30:31], s[0:1]
	s_cbranch_execz .LBB13_97
; %bb.82:
	s_andn2_b64 vcc, exec, s[28:29]
	s_cbranch_vccnz .LBB13_84
; %bb.83:
	v_cmp_eq_u32_e32 vcc, 1, v0
	v_cmp_eq_u32_e64 s[4:5], 2, v0
	v_cmp_eq_u32_e64 s[6:7], 3, v0
	v_cndmask_b32_e32 v90, v31, v33, vcc
	v_cndmask_b32_e64 v90, v90, v35, s[4:5]
	v_cndmask_b32_e64 v90, v90, v37, s[6:7]
	v_cmp_eq_u32_e64 s[8:9], 4, v0
	v_cmp_eq_u32_e64 s[10:11], 5, v0
	v_cmp_eq_u32_e64 s[12:13], 6, v0
	v_cndmask_b32_e64 v90, v90, v39, s[8:9]
	v_cndmask_b32_e64 v90, v90, v41, s[10:11]
	v_cndmask_b32_e64 v90, v90, v43, s[12:13]
	v_cmp_eq_u32_e64 s[14:15], 7, v0
	v_cmp_eq_u32_e64 s[16:17], 8, v0
	v_cmp_eq_u32_e64 s[18:19], 9, v0
	v_cndmask_b32_e64 v90, v90, v45, s[14:15]
	;; [unrolled: 6-line block ×3, first 2 shown]
	v_cndmask_b32_e64 v90, v90, v53, s[22:23]
	v_cndmask_b32_e64 v90, v90, v55, s[24:25]
	v_cmp_eq_u32_e64 s[26:27], 13, v0
	ds_read_b64 v[92:93], v95
	s_nop 0
	v_cndmask_b32_e64 v91, v90, v57, s[26:27]
	v_cndmask_b32_e32 v90, v30, v32, vcc
	v_cndmask_b32_e64 v90, v90, v34, s[4:5]
	v_cndmask_b32_e64 v90, v90, v36, s[6:7]
	;; [unrolled: 1-line block ×12, first 2 shown]
	s_waitcnt lgkmcnt(0)
	v_mul_f64 v[90:91], v[90:91], v[92:93]
	s_cbranch_execz .LBB13_85
	s_branch .LBB13_86
.LBB13_84:
                                        ; implicit-def: $vgpr90_vgpr91
.LBB13_85:
	ds_read_b64 v[90:91], v95
.LBB13_86:
	s_and_saveexec_b64 s[6:7], s[2:3]
	s_cbranch_execz .LBB13_96
; %bb.87:
	v_add_u32_e32 v92, -8, v0
	v_add_u32_e32 v93, -7, v0
	v_cmp_lt_u32_e32 vcc, 6, v92
	v_mov_b32_e32 v92, 7
	s_and_saveexec_b64 s[2:3], vcc
	s_cbranch_execz .LBB13_91
; %bb.88:
	v_and_b32_e32 v92, -8, v93
	v_sub_u32_e32 v94, 0, v92
	s_mov_b64 s[4:5], 14
	s_movk_i32 s10, 0xa8
	s_mov_b64 s[8:9], 0
.LBB13_89:                              ; =>This Inner Loop Header: Depth=1
	s_lshl_b32 s11, s4, 1
	s_add_i32 s12, s11, -13
	v_mov_b32_e32 v110, s10
	s_add_i32 s13, s11, -14
	s_set_gpr_idx_on s12, gpr_idx(SRC0)
	v_mov_b32_e32 v105, v30
	s_set_gpr_idx_off
	s_add_i32 s14, s11, -11
	s_set_gpr_idx_on s13, gpr_idx(SRC0)
	v_mov_b32_e32 v104, v30
	s_set_gpr_idx_off
	ds_read2_b64 v[96:99], v110 offset1:1
	s_add_i32 s15, s11, -12
	s_set_gpr_idx_on s14, gpr_idx(SRC0)
	v_mov_b32_e32 v107, v30
	s_set_gpr_idx_off
	s_add_i32 s16, s11, -9
	s_set_gpr_idx_on s15, gpr_idx(SRC0)
	v_mov_b32_e32 v106, v30
	s_set_gpr_idx_off
	;; [unrolled: 4-line block ×4, first 2 shown]
	ds_read2_b64 v[100:103], v110 offset0:2 offset1:3
	s_add_i32 s19, s11, -8
	s_waitcnt lgkmcnt(1)
	v_fmac_f64_e32 v[90:91], v[104:105], v[96:97]
	s_set_gpr_idx_on s18, gpr_idx(SRC0)
	v_mov_b32_e32 v105, v30
	s_set_gpr_idx_off
	s_add_i32 s20, s11, -5
	v_fmac_f64_e32 v[90:91], v[106:107], v[98:99]
	s_set_gpr_idx_on s19, gpr_idx(SRC0)
	v_mov_b32_e32 v104, v30
	s_set_gpr_idx_off
	s_add_i32 s21, s11, -6
	s_set_gpr_idx_on s20, gpr_idx(SRC0)
	v_mov_b32_e32 v107, v30
	s_set_gpr_idx_off
	s_add_i32 s22, s11, -3
	;; [unrolled: 4-line block ×3, first 2 shown]
	ds_read2_b64 v[96:99], v110 offset0:4 offset1:5
	s_waitcnt lgkmcnt(1)
	v_fmac_f64_e32 v[90:91], v[108:109], v[100:101]
	s_set_gpr_idx_on s22, gpr_idx(SRC0)
	v_mov_b32_e32 v109, v30
	s_set_gpr_idx_off
	s_add_i32 s24, s11, -1
	v_fmac_f64_e32 v[90:91], v[104:105], v[102:103]
	s_set_gpr_idx_on s23, gpr_idx(SRC0)
	v_mov_b32_e32 v108, v30
	s_set_gpr_idx_off
	s_add_i32 s25, s11, -2
	s_set_gpr_idx_on s24, gpr_idx(SRC0)
	v_mov_b32_e32 v105, v30
	s_set_gpr_idx_off
	s_set_gpr_idx_on s25, gpr_idx(SRC0)
	v_mov_b32_e32 v104, v30
	s_set_gpr_idx_off
	ds_read2_b64 v[100:103], v110 offset0:6 offset1:7
	s_add_u32 s4, s4, 8
	s_waitcnt lgkmcnt(1)
	v_fmac_f64_e32 v[90:91], v[106:107], v[96:97]
	s_set_gpr_idx_on s11, gpr_idx(SRC0)
	v_mov_b32_e32 v97, v31
	s_set_gpr_idx_off
	v_add_u32_e32 v92, s4, v94
	v_fmac_f64_e32 v[90:91], v[108:109], v[98:99]
	s_set_gpr_idx_on s11, gpr_idx(SRC0)
	v_mov_b32_e32 v96, v30
	s_set_gpr_idx_off
	s_addc_u32 s5, s5, 0
	s_add_i32 s10, s10, 64
	s_add_i32 s12, s4, -7
	v_cmp_eq_u32_e32 vcc, 14, v92
	s_waitcnt lgkmcnt(0)
	v_fmac_f64_e32 v[90:91], v[104:105], v[100:101]
	v_mov_b32_e32 v92, s12
	s_or_b64 s[8:9], vcc, s[8:9]
	v_fmac_f64_e32 v[90:91], v[96:97], v[102:103]
	s_andn2_b64 exec, exec, s[8:9]
	s_cbranch_execnz .LBB13_89
; %bb.90:
	s_or_b64 exec, exec, s[8:9]
.LBB13_91:
	s_or_b64 exec, exec, s[2:3]
	v_and_b32_e32 v58, 7, v93
	v_cmp_ne_u32_e32 vcc, 0, v58
	s_and_saveexec_b64 s[8:9], vcc
	s_cbranch_execz .LBB13_95
; %bb.92:
	v_mov_b32_e32 v59, 0x70
	v_lshl_add_u32 v59, v92, 3, v59
	v_mov_b32_e32 v93, 0
	s_mov_b64 s[10:11], 0
.LBB13_93:                              ; =>This Inner Loop Header: Depth=1
	v_cmp_eq_u32_e32 vcc, 1, v92
	v_add_u32_e32 v58, -1, v58
	v_cmp_eq_u32_e64 s[2:3], 2, v92
	v_cndmask_b32_e32 v94, v31, v33, vcc
	v_cndmask_b32_e32 v96, v30, v32, vcc
	v_cndmask_b32_e64 v94, v94, v35, s[2:3]
	v_cmp_eq_u32_e32 vcc, 0, v58
	v_cmp_eq_u32_e64 s[4:5], 3, v92
	v_cndmask_b32_e64 v96, v96, v34, s[2:3]
	s_or_b64 s[10:11], vcc, s[10:11]
	v_cndmask_b32_e64 v94, v94, v37, s[4:5]
	v_cmp_eq_u32_e32 vcc, 4, v92
	v_cndmask_b32_e64 v96, v96, v36, s[4:5]
	v_cmp_eq_u32_e64 s[2:3], 5, v92
	v_cndmask_b32_e32 v94, v94, v39, vcc
	v_cndmask_b32_e32 v96, v96, v38, vcc
	v_cndmask_b32_e64 v94, v94, v41, s[2:3]
	v_cmp_eq_u32_e32 vcc, 6, v92
	v_cndmask_b32_e64 v96, v96, v40, s[2:3]
	v_cmp_eq_u32_e64 s[2:3], 7, v92
	v_cndmask_b32_e32 v94, v94, v43, vcc
	v_cndmask_b32_e32 v96, v96, v42, vcc
	;; [unrolled: 6-line block ×3, first 2 shown]
	v_cndmask_b32_e64 v94, v94, v49, s[2:3]
	v_cmp_eq_u32_e32 vcc, 10, v92
	ds_read_b64 v[60:61], v59
	v_cndmask_b32_e64 v96, v96, v48, s[2:3]
	v_cndmask_b32_e32 v94, v94, v51, vcc
	v_cmp_eq_u32_e64 s[2:3], 11, v92
	v_cndmask_b32_e32 v96, v96, v50, vcc
	v_cmp_eq_u32_e32 vcc, 12, v92
	v_cndmask_b32_e64 v94, v94, v53, s[2:3]
	v_cmp_eq_u32_e64 s[4:5], 13, v92
	v_cndmask_b32_e32 v94, v94, v55, vcc
	v_cndmask_b32_e64 v96, v96, v52, s[2:3]
	v_cndmask_b32_e64 v97, v94, v57, s[4:5]
	v_cndmask_b32_e32 v94, v96, v54, vcc
	v_cndmask_b32_e64 v96, v94, v56, s[4:5]
	v_add_u32_e32 v59, 8, v59
	v_lshl_add_u64 v[92:93], v[92:93], 0, 1
	s_waitcnt lgkmcnt(0)
	v_fmac_f64_e32 v[90:91], v[96:97], v[60:61]
	s_andn2_b64 exec, exec, s[10:11]
	s_cbranch_execnz .LBB13_93
; %bb.94:
	s_or_b64 exec, exec, s[10:11]
.LBB13_95:
	s_or_b64 exec, exec, s[8:9]
.LBB13_96:
	s_or_b64 exec, exec, s[6:7]
	v_mov_b32_e32 v42, 0
	ds_read_b64 v[42:43], v42 offset:48
	s_waitcnt lgkmcnt(0)
	v_mul_f64 v[42:43], v[90:91], v[42:43]
.LBB13_97:
	s_or_b64 exec, exec, s[30:31]
	v_cmp_lt_u32_e64 s[2:3], 5, v0
	ds_write_b64 v95, v[40:41]
	s_waitcnt lgkmcnt(0)
	; wave barrier
	s_and_saveexec_b64 s[30:31], s[2:3]
	s_cbranch_execz .LBB13_113
; %bb.98:
	s_andn2_b64 vcc, exec, s[28:29]
	s_cbranch_vccnz .LBB13_100
; %bb.99:
	v_cmp_eq_u32_e32 vcc, 1, v0
	v_cmp_eq_u32_e64 s[4:5], 2, v0
	v_cmp_eq_u32_e64 s[6:7], 3, v0
	v_cndmask_b32_e32 v90, v31, v33, vcc
	v_cndmask_b32_e64 v90, v90, v35, s[4:5]
	v_cndmask_b32_e64 v90, v90, v37, s[6:7]
	v_cmp_eq_u32_e64 s[8:9], 4, v0
	v_cmp_eq_u32_e64 s[10:11], 5, v0
	v_cmp_eq_u32_e64 s[12:13], 6, v0
	v_cndmask_b32_e64 v90, v90, v39, s[8:9]
	v_cndmask_b32_e64 v90, v90, v41, s[10:11]
	v_cndmask_b32_e64 v90, v90, v43, s[12:13]
	v_cmp_eq_u32_e64 s[14:15], 7, v0
	v_cmp_eq_u32_e64 s[16:17], 8, v0
	v_cmp_eq_u32_e64 s[18:19], 9, v0
	v_cndmask_b32_e64 v90, v90, v45, s[14:15]
	v_cndmask_b32_e64 v90, v90, v47, s[16:17]
	v_cndmask_b32_e64 v90, v90, v49, s[18:19]
	v_cmp_eq_u32_e64 s[20:21], 10, v0
	v_cmp_eq_u32_e64 s[22:23], 11, v0
	v_cmp_eq_u32_e64 s[24:25], 12, v0
	v_cndmask_b32_e64 v90, v90, v51, s[20:21]
	v_cndmask_b32_e64 v90, v90, v53, s[22:23]
	v_cndmask_b32_e64 v90, v90, v55, s[24:25]
	v_cmp_eq_u32_e64 s[26:27], 13, v0
	ds_read_b64 v[92:93], v95
	s_nop 0
	v_cndmask_b32_e64 v91, v90, v57, s[26:27]
	v_cndmask_b32_e32 v90, v30, v32, vcc
	v_cndmask_b32_e64 v90, v90, v34, s[4:5]
	v_cndmask_b32_e64 v90, v90, v36, s[6:7]
	v_cndmask_b32_e64 v90, v90, v38, s[8:9]
	v_cndmask_b32_e64 v90, v90, v40, s[10:11]
	v_cndmask_b32_e64 v90, v90, v42, s[12:13]
	v_cndmask_b32_e64 v90, v90, v44, s[14:15]
	v_cndmask_b32_e64 v90, v90, v46, s[16:17]
	v_cndmask_b32_e64 v90, v90, v48, s[18:19]
	v_cndmask_b32_e64 v90, v90, v50, s[20:21]
	v_cndmask_b32_e64 v90, v90, v52, s[22:23]
	v_cndmask_b32_e64 v90, v90, v54, s[24:25]
	v_cndmask_b32_e64 v90, v90, v56, s[26:27]
	s_waitcnt lgkmcnt(0)
	v_mul_f64 v[90:91], v[90:91], v[92:93]
	s_cbranch_execz .LBB13_101
	s_branch .LBB13_102
.LBB13_100:
                                        ; implicit-def: $vgpr90_vgpr91
.LBB13_101:
	ds_read_b64 v[90:91], v95
.LBB13_102:
	s_and_saveexec_b64 s[6:7], s[0:1]
	s_cbranch_execz .LBB13_112
; %bb.103:
	v_add_u32_e32 v94, -7, v0
	v_add_u32_e32 v93, -6, v0
	v_mov_b32_e32 v92, 6
	v_cmp_lt_u32_e32 vcc, 6, v94
	s_and_saveexec_b64 s[0:1], vcc
	s_cbranch_execz .LBB13_107
; %bb.104:
	v_and_b32_e32 v92, -8, v93
	v_sub_u32_e32 v94, 0, v92
	s_mov_b64 s[4:5], 13
	s_movk_i32 s10, 0xa0
	s_mov_b64 s[8:9], 0
.LBB13_105:                             ; =>This Inner Loop Header: Depth=1
	s_lshl_b32 s11, s4, 1
	s_add_i32 s12, s11, -13
	s_add_i32 s13, s11, -14
	s_set_gpr_idx_on s12, gpr_idx(SRC0)
	v_mov_b32_e32 v113, v30
	s_set_gpr_idx_off
	v_mov_b32_e32 v92, s10
	s_add_i32 s14, s11, -11
	s_set_gpr_idx_on s13, gpr_idx(SRC0)
	v_mov_b32_e32 v112, v30
	s_set_gpr_idx_off
	s_add_i32 s15, s11, -12
	ds_read_b128 v[96:99], v92
	ds_read_b128 v[100:103], v92 offset:16
	ds_read_b128 v[104:107], v92 offset:32
	;; [unrolled: 1-line block ×3, first 2 shown]
	s_set_gpr_idx_on s14, gpr_idx(SRC0)
	v_mov_b32_e32 v115, v30
	s_set_gpr_idx_off
	s_add_i32 s16, s11, -9
	s_set_gpr_idx_on s15, gpr_idx(SRC0)
	v_mov_b32_e32 v114, v30
	s_set_gpr_idx_off
	s_add_i32 s17, s11, -10
	;; [unrolled: 4-line block ×4, first 2 shown]
	s_waitcnt lgkmcnt(3)
	v_fmac_f64_e32 v[90:91], v[112:113], v[96:97]
	s_set_gpr_idx_on s18, gpr_idx(SRC0)
	v_mov_b32_e32 v97, v30
	s_set_gpr_idx_off
	s_add_i32 s20, s11, -5
	v_fmac_f64_e32 v[90:91], v[114:115], v[98:99]
	s_set_gpr_idx_on s19, gpr_idx(SRC0)
	v_mov_b32_e32 v96, v30
	s_set_gpr_idx_off
	s_add_i32 s21, s11, -6
	s_waitcnt lgkmcnt(2)
	v_fmac_f64_e32 v[90:91], v[116:117], v[100:101]
	s_set_gpr_idx_on s20, gpr_idx(SRC0)
	v_mov_b32_e32 v99, v30
	s_set_gpr_idx_off
	s_add_i32 s22, s11, -3
	v_fmac_f64_e32 v[90:91], v[96:97], v[102:103]
	s_set_gpr_idx_on s21, gpr_idx(SRC0)
	v_mov_b32_e32 v98, v30
	s_set_gpr_idx_off
	s_add_i32 s23, s11, -4
	s_waitcnt lgkmcnt(1)
	v_fmac_f64_e32 v[90:91], v[98:99], v[104:105]
	s_set_gpr_idx_on s22, gpr_idx(SRC0)
	v_mov_b32_e32 v97, v30
	s_set_gpr_idx_off
	s_add_i32 s24, s11, -1
	s_set_gpr_idx_on s23, gpr_idx(SRC0)
	v_mov_b32_e32 v96, v30
	s_set_gpr_idx_off
	s_add_i32 s25, s11, -2
	v_fmac_f64_e32 v[90:91], v[96:97], v[106:107]
	s_set_gpr_idx_on s24, gpr_idx(SRC0)
	v_mov_b32_e32 v97, v30
	s_set_gpr_idx_off
	s_add_u32 s4, s4, 8
	s_set_gpr_idx_on s25, gpr_idx(SRC0)
	v_mov_b32_e32 v96, v30
	s_set_gpr_idx_off
	v_add_u32_e32 v92, s4, v94
	s_waitcnt lgkmcnt(0)
	v_fmac_f64_e32 v[90:91], v[96:97], v[108:109]
	s_set_gpr_idx_on s11, gpr_idx(SRC0)
	v_mov_b32_e32 v97, v31
	s_set_gpr_idx_off
	s_addc_u32 s5, s5, 0
	s_add_i32 s10, s10, 64
	s_add_i32 s12, s4, -7
	v_cmp_eq_u32_e32 vcc, 13, v92
	s_set_gpr_idx_on s11, gpr_idx(SRC0)
	v_mov_b32_e32 v96, v30
	s_set_gpr_idx_off
	v_mov_b32_e32 v92, s12
	s_or_b64 s[8:9], vcc, s[8:9]
	v_fmac_f64_e32 v[90:91], v[96:97], v[110:111]
	s_andn2_b64 exec, exec, s[8:9]
	s_cbranch_execnz .LBB13_105
; %bb.106:
	s_or_b64 exec, exec, s[8:9]
.LBB13_107:
	s_or_b64 exec, exec, s[0:1]
	v_and_b32_e32 v58, 7, v93
	v_cmp_ne_u32_e32 vcc, 0, v58
	s_and_saveexec_b64 s[8:9], vcc
	s_cbranch_execz .LBB13_111
; %bb.108:
	v_mov_b32_e32 v59, 0x70
	v_lshl_add_u32 v59, v92, 3, v59
	v_mov_b32_e32 v93, 0
	s_mov_b64 s[10:11], 0
.LBB13_109:                             ; =>This Inner Loop Header: Depth=1
	v_cmp_eq_u32_e32 vcc, 1, v92
	v_add_u32_e32 v58, -1, v58
	v_cmp_eq_u32_e64 s[0:1], 2, v92
	v_cndmask_b32_e32 v94, v31, v33, vcc
	v_cndmask_b32_e32 v96, v30, v32, vcc
	v_cndmask_b32_e64 v94, v94, v35, s[0:1]
	v_cmp_eq_u32_e32 vcc, 0, v58
	v_cmp_eq_u32_e64 s[4:5], 3, v92
	v_cndmask_b32_e64 v96, v96, v34, s[0:1]
	s_or_b64 s[10:11], vcc, s[10:11]
	v_cndmask_b32_e64 v94, v94, v37, s[4:5]
	v_cmp_eq_u32_e32 vcc, 4, v92
	v_cndmask_b32_e64 v96, v96, v36, s[4:5]
	v_cmp_eq_u32_e64 s[0:1], 5, v92
	v_cndmask_b32_e32 v94, v94, v39, vcc
	v_cndmask_b32_e32 v96, v96, v38, vcc
	v_cndmask_b32_e64 v94, v94, v41, s[0:1]
	v_cmp_eq_u32_e32 vcc, 6, v92
	v_cndmask_b32_e64 v96, v96, v40, s[0:1]
	v_cmp_eq_u32_e64 s[0:1], 7, v92
	v_cndmask_b32_e32 v94, v94, v43, vcc
	v_cndmask_b32_e32 v96, v96, v42, vcc
	;; [unrolled: 6-line block ×3, first 2 shown]
	v_cndmask_b32_e64 v94, v94, v49, s[0:1]
	v_cmp_eq_u32_e32 vcc, 10, v92
	ds_read_b64 v[60:61], v59
	v_cndmask_b32_e64 v96, v96, v48, s[0:1]
	v_cndmask_b32_e32 v94, v94, v51, vcc
	v_cmp_eq_u32_e64 s[0:1], 11, v92
	v_cndmask_b32_e32 v96, v96, v50, vcc
	v_cmp_eq_u32_e32 vcc, 12, v92
	v_cndmask_b32_e64 v94, v94, v53, s[0:1]
	v_cmp_eq_u32_e64 s[4:5], 13, v92
	v_cndmask_b32_e32 v94, v94, v55, vcc
	v_cndmask_b32_e64 v96, v96, v52, s[0:1]
	v_cndmask_b32_e64 v97, v94, v57, s[4:5]
	v_cndmask_b32_e32 v94, v96, v54, vcc
	v_cndmask_b32_e64 v96, v94, v56, s[4:5]
	v_add_u32_e32 v59, 8, v59
	v_lshl_add_u64 v[92:93], v[92:93], 0, 1
	s_waitcnt lgkmcnt(0)
	v_fmac_f64_e32 v[90:91], v[96:97], v[60:61]
	s_andn2_b64 exec, exec, s[10:11]
	s_cbranch_execnz .LBB13_109
; %bb.110:
	s_or_b64 exec, exec, s[10:11]
.LBB13_111:
	s_or_b64 exec, exec, s[8:9]
.LBB13_112:
	s_or_b64 exec, exec, s[6:7]
	v_mov_b32_e32 v40, 0
	ds_read_b64 v[40:41], v40 offset:40
	s_waitcnt lgkmcnt(0)
	v_mul_f64 v[40:41], v[90:91], v[40:41]
.LBB13_113:
	s_or_b64 exec, exec, s[30:31]
	v_cmp_lt_u32_e64 s[0:1], 4, v0
	ds_write_b64 v95, v[38:39]
	s_waitcnt lgkmcnt(0)
	; wave barrier
	s_and_saveexec_b64 s[30:31], s[0:1]
	s_cbranch_execz .LBB13_129
; %bb.114:
	s_andn2_b64 vcc, exec, s[28:29]
	s_cbranch_vccnz .LBB13_116
; %bb.115:
	v_cmp_eq_u32_e32 vcc, 1, v0
	v_cmp_eq_u32_e64 s[4:5], 2, v0
	v_cmp_eq_u32_e64 s[6:7], 3, v0
	v_cndmask_b32_e32 v90, v31, v33, vcc
	v_cndmask_b32_e64 v90, v90, v35, s[4:5]
	v_cndmask_b32_e64 v90, v90, v37, s[6:7]
	v_cmp_eq_u32_e64 s[8:9], 4, v0
	v_cmp_eq_u32_e64 s[10:11], 5, v0
	v_cmp_eq_u32_e64 s[12:13], 6, v0
	v_cndmask_b32_e64 v90, v90, v39, s[8:9]
	v_cndmask_b32_e64 v90, v90, v41, s[10:11]
	v_cndmask_b32_e64 v90, v90, v43, s[12:13]
	v_cmp_eq_u32_e64 s[14:15], 7, v0
	v_cmp_eq_u32_e64 s[16:17], 8, v0
	v_cmp_eq_u32_e64 s[18:19], 9, v0
	v_cndmask_b32_e64 v90, v90, v45, s[14:15]
	;; [unrolled: 6-line block ×3, first 2 shown]
	v_cndmask_b32_e64 v90, v90, v53, s[22:23]
	v_cndmask_b32_e64 v90, v90, v55, s[24:25]
	v_cmp_eq_u32_e64 s[26:27], 13, v0
	ds_read_b64 v[92:93], v95
	s_nop 0
	v_cndmask_b32_e64 v91, v90, v57, s[26:27]
	v_cndmask_b32_e32 v90, v30, v32, vcc
	v_cndmask_b32_e64 v90, v90, v34, s[4:5]
	v_cndmask_b32_e64 v90, v90, v36, s[6:7]
	;; [unrolled: 1-line block ×12, first 2 shown]
	s_waitcnt lgkmcnt(0)
	v_mul_f64 v[90:91], v[90:91], v[92:93]
	s_cbranch_execz .LBB13_117
	s_branch .LBB13_118
.LBB13_116:
                                        ; implicit-def: $vgpr90_vgpr91
.LBB13_117:
	ds_read_b64 v[90:91], v95
.LBB13_118:
	s_and_saveexec_b64 s[6:7], s[2:3]
	s_cbranch_execz .LBB13_128
; %bb.119:
	v_add_u32_e32 v92, -6, v0
	v_add_u32_e32 v93, -5, v0
	v_cmp_lt_u32_e32 vcc, 6, v92
	v_mov_b32_e32 v92, 5
	s_and_saveexec_b64 s[2:3], vcc
	s_cbranch_execz .LBB13_123
; %bb.120:
	v_and_b32_e32 v92, -8, v93
	v_sub_u32_e32 v94, 0, v92
	s_mov_b64 s[4:5], 12
	s_movk_i32 s10, 0x98
	s_mov_b64 s[8:9], 0
.LBB13_121:                             ; =>This Inner Loop Header: Depth=1
	s_lshl_b32 s11, s4, 1
	s_add_i32 s12, s11, -13
	v_mov_b32_e32 v110, s10
	s_add_i32 s13, s11, -14
	s_set_gpr_idx_on s12, gpr_idx(SRC0)
	v_mov_b32_e32 v105, v30
	s_set_gpr_idx_off
	s_add_i32 s14, s11, -11
	s_set_gpr_idx_on s13, gpr_idx(SRC0)
	v_mov_b32_e32 v104, v30
	s_set_gpr_idx_off
	ds_read2_b64 v[96:99], v110 offset1:1
	s_add_i32 s15, s11, -12
	s_set_gpr_idx_on s14, gpr_idx(SRC0)
	v_mov_b32_e32 v107, v30
	s_set_gpr_idx_off
	s_add_i32 s16, s11, -9
	s_set_gpr_idx_on s15, gpr_idx(SRC0)
	v_mov_b32_e32 v106, v30
	s_set_gpr_idx_off
	;; [unrolled: 4-line block ×4, first 2 shown]
	ds_read2_b64 v[100:103], v110 offset0:2 offset1:3
	s_add_i32 s19, s11, -8
	s_waitcnt lgkmcnt(1)
	v_fmac_f64_e32 v[90:91], v[104:105], v[96:97]
	s_set_gpr_idx_on s18, gpr_idx(SRC0)
	v_mov_b32_e32 v105, v30
	s_set_gpr_idx_off
	s_add_i32 s20, s11, -5
	v_fmac_f64_e32 v[90:91], v[106:107], v[98:99]
	s_set_gpr_idx_on s19, gpr_idx(SRC0)
	v_mov_b32_e32 v104, v30
	s_set_gpr_idx_off
	s_add_i32 s21, s11, -6
	s_set_gpr_idx_on s20, gpr_idx(SRC0)
	v_mov_b32_e32 v107, v30
	s_set_gpr_idx_off
	s_add_i32 s22, s11, -3
	;; [unrolled: 4-line block ×3, first 2 shown]
	ds_read2_b64 v[96:99], v110 offset0:4 offset1:5
	s_waitcnt lgkmcnt(1)
	v_fmac_f64_e32 v[90:91], v[108:109], v[100:101]
	s_set_gpr_idx_on s22, gpr_idx(SRC0)
	v_mov_b32_e32 v109, v30
	s_set_gpr_idx_off
	s_add_i32 s24, s11, -1
	v_fmac_f64_e32 v[90:91], v[104:105], v[102:103]
	s_set_gpr_idx_on s23, gpr_idx(SRC0)
	v_mov_b32_e32 v108, v30
	s_set_gpr_idx_off
	s_add_i32 s25, s11, -2
	s_set_gpr_idx_on s24, gpr_idx(SRC0)
	v_mov_b32_e32 v105, v30
	s_set_gpr_idx_off
	s_set_gpr_idx_on s25, gpr_idx(SRC0)
	v_mov_b32_e32 v104, v30
	s_set_gpr_idx_off
	ds_read2_b64 v[100:103], v110 offset0:6 offset1:7
	s_add_u32 s4, s4, 8
	s_waitcnt lgkmcnt(1)
	v_fmac_f64_e32 v[90:91], v[106:107], v[96:97]
	s_set_gpr_idx_on s11, gpr_idx(SRC0)
	v_mov_b32_e32 v97, v31
	s_set_gpr_idx_off
	v_add_u32_e32 v92, s4, v94
	v_fmac_f64_e32 v[90:91], v[108:109], v[98:99]
	s_set_gpr_idx_on s11, gpr_idx(SRC0)
	v_mov_b32_e32 v96, v30
	s_set_gpr_idx_off
	s_addc_u32 s5, s5, 0
	s_add_i32 s10, s10, 64
	s_add_i32 s12, s4, -7
	v_cmp_eq_u32_e32 vcc, 12, v92
	s_waitcnt lgkmcnt(0)
	v_fmac_f64_e32 v[90:91], v[104:105], v[100:101]
	v_mov_b32_e32 v92, s12
	s_or_b64 s[8:9], vcc, s[8:9]
	v_fmac_f64_e32 v[90:91], v[96:97], v[102:103]
	s_andn2_b64 exec, exec, s[8:9]
	s_cbranch_execnz .LBB13_121
; %bb.122:
	s_or_b64 exec, exec, s[8:9]
.LBB13_123:
	s_or_b64 exec, exec, s[2:3]
	v_and_b32_e32 v58, 7, v93
	v_cmp_ne_u32_e32 vcc, 0, v58
	s_and_saveexec_b64 s[8:9], vcc
	s_cbranch_execz .LBB13_127
; %bb.124:
	v_mov_b32_e32 v59, 0x70
	v_lshl_add_u32 v59, v92, 3, v59
	v_mov_b32_e32 v93, 0
	s_mov_b64 s[10:11], 0
.LBB13_125:                             ; =>This Inner Loop Header: Depth=1
	v_cmp_eq_u32_e32 vcc, 1, v92
	v_add_u32_e32 v58, -1, v58
	v_cmp_eq_u32_e64 s[2:3], 2, v92
	v_cndmask_b32_e32 v94, v31, v33, vcc
	v_cndmask_b32_e32 v96, v30, v32, vcc
	v_cndmask_b32_e64 v94, v94, v35, s[2:3]
	v_cmp_eq_u32_e32 vcc, 0, v58
	v_cmp_eq_u32_e64 s[4:5], 3, v92
	v_cndmask_b32_e64 v96, v96, v34, s[2:3]
	s_or_b64 s[10:11], vcc, s[10:11]
	v_cndmask_b32_e64 v94, v94, v37, s[4:5]
	v_cmp_eq_u32_e32 vcc, 4, v92
	v_cndmask_b32_e64 v96, v96, v36, s[4:5]
	v_cmp_eq_u32_e64 s[2:3], 5, v92
	v_cndmask_b32_e32 v94, v94, v39, vcc
	v_cndmask_b32_e32 v96, v96, v38, vcc
	v_cndmask_b32_e64 v94, v94, v41, s[2:3]
	v_cmp_eq_u32_e32 vcc, 6, v92
	v_cndmask_b32_e64 v96, v96, v40, s[2:3]
	v_cmp_eq_u32_e64 s[2:3], 7, v92
	v_cndmask_b32_e32 v94, v94, v43, vcc
	v_cndmask_b32_e32 v96, v96, v42, vcc
	;; [unrolled: 6-line block ×3, first 2 shown]
	v_cndmask_b32_e64 v94, v94, v49, s[2:3]
	v_cmp_eq_u32_e32 vcc, 10, v92
	ds_read_b64 v[60:61], v59
	v_cndmask_b32_e64 v96, v96, v48, s[2:3]
	v_cndmask_b32_e32 v94, v94, v51, vcc
	v_cmp_eq_u32_e64 s[2:3], 11, v92
	v_cndmask_b32_e32 v96, v96, v50, vcc
	v_cmp_eq_u32_e32 vcc, 12, v92
	v_cndmask_b32_e64 v94, v94, v53, s[2:3]
	v_cmp_eq_u32_e64 s[4:5], 13, v92
	v_cndmask_b32_e32 v94, v94, v55, vcc
	v_cndmask_b32_e64 v96, v96, v52, s[2:3]
	v_cndmask_b32_e64 v97, v94, v57, s[4:5]
	v_cndmask_b32_e32 v94, v96, v54, vcc
	v_cndmask_b32_e64 v96, v94, v56, s[4:5]
	v_add_u32_e32 v59, 8, v59
	v_lshl_add_u64 v[92:93], v[92:93], 0, 1
	s_waitcnt lgkmcnt(0)
	v_fmac_f64_e32 v[90:91], v[96:97], v[60:61]
	s_andn2_b64 exec, exec, s[10:11]
	s_cbranch_execnz .LBB13_125
; %bb.126:
	s_or_b64 exec, exec, s[10:11]
.LBB13_127:
	s_or_b64 exec, exec, s[8:9]
.LBB13_128:
	s_or_b64 exec, exec, s[6:7]
	v_mov_b32_e32 v38, 0
	ds_read_b64 v[38:39], v38 offset:32
	s_waitcnt lgkmcnt(0)
	v_mul_f64 v[38:39], v[90:91], v[38:39]
.LBB13_129:
	s_or_b64 exec, exec, s[30:31]
	v_cmp_lt_u32_e64 s[2:3], 3, v0
	ds_write_b64 v95, v[36:37]
	s_waitcnt lgkmcnt(0)
	; wave barrier
	s_and_saveexec_b64 s[30:31], s[2:3]
	s_cbranch_execz .LBB13_145
; %bb.130:
	s_andn2_b64 vcc, exec, s[28:29]
	s_cbranch_vccnz .LBB13_132
; %bb.131:
	v_cmp_eq_u32_e32 vcc, 1, v0
	v_cmp_eq_u32_e64 s[4:5], 2, v0
	v_cmp_eq_u32_e64 s[6:7], 3, v0
	v_cndmask_b32_e32 v90, v31, v33, vcc
	v_cndmask_b32_e64 v90, v90, v35, s[4:5]
	v_cndmask_b32_e64 v90, v90, v37, s[6:7]
	v_cmp_eq_u32_e64 s[8:9], 4, v0
	v_cmp_eq_u32_e64 s[10:11], 5, v0
	v_cmp_eq_u32_e64 s[12:13], 6, v0
	v_cndmask_b32_e64 v90, v90, v39, s[8:9]
	v_cndmask_b32_e64 v90, v90, v41, s[10:11]
	v_cndmask_b32_e64 v90, v90, v43, s[12:13]
	v_cmp_eq_u32_e64 s[14:15], 7, v0
	v_cmp_eq_u32_e64 s[16:17], 8, v0
	v_cmp_eq_u32_e64 s[18:19], 9, v0
	v_cndmask_b32_e64 v90, v90, v45, s[14:15]
	;; [unrolled: 6-line block ×3, first 2 shown]
	v_cndmask_b32_e64 v90, v90, v53, s[22:23]
	v_cndmask_b32_e64 v90, v90, v55, s[24:25]
	v_cmp_eq_u32_e64 s[26:27], 13, v0
	ds_read_b64 v[92:93], v95
	s_nop 0
	v_cndmask_b32_e64 v91, v90, v57, s[26:27]
	v_cndmask_b32_e32 v90, v30, v32, vcc
	v_cndmask_b32_e64 v90, v90, v34, s[4:5]
	v_cndmask_b32_e64 v90, v90, v36, s[6:7]
	;; [unrolled: 1-line block ×12, first 2 shown]
	s_waitcnt lgkmcnt(0)
	v_mul_f64 v[90:91], v[90:91], v[92:93]
	s_cbranch_execz .LBB13_133
	s_branch .LBB13_134
.LBB13_132:
                                        ; implicit-def: $vgpr90_vgpr91
.LBB13_133:
	ds_read_b64 v[90:91], v95
.LBB13_134:
	s_and_saveexec_b64 s[6:7], s[0:1]
	s_cbranch_execz .LBB13_144
; %bb.135:
	v_add_u32_e32 v92, -5, v0
	v_add_u32_e32 v93, -4, v0
	v_cmp_lt_u32_e32 vcc, 6, v92
	v_mov_b32_e32 v92, 4
	s_and_saveexec_b64 s[0:1], vcc
	s_cbranch_execz .LBB13_139
; %bb.136:
	v_and_b32_e32 v92, -8, v93
	v_sub_u32_e32 v94, 0, v92
	s_mov_b64 s[4:5], 5
	s_movk_i32 s10, 0x90
	s_mov_b64 s[8:9], 0
.LBB13_137:                             ; =>This Inner Loop Header: Depth=1
	s_lshl_b32 s11, s4, 1
	s_add_i32 s12, s11, -1
	s_add_i32 s13, s11, -2
	s_set_gpr_idx_on s12, gpr_idx(SRC0)
	v_mov_b32_e32 v113, v30
	s_set_gpr_idx_off
	v_mov_b32_e32 v92, s10
	s_set_gpr_idx_on s13, gpr_idx(SRC0)
	v_mov_b32_e32 v112, v30
	s_set_gpr_idx_off
	ds_read_b128 v[96:99], v92
	ds_read_b128 v[100:103], v92 offset:16
	ds_read_b128 v[104:107], v92 offset:32
	ds_read_b128 v[108:111], v92 offset:48
	s_set_gpr_idx_on s11, gpr_idx(SRC0)
	v_mov_b32_e32 v115, v31
	s_add_i32 s14, s11, 3
	v_mov_b32_e32 v114, v30
	s_set_gpr_idx_off
	s_add_i32 s15, s11, 2
	s_set_gpr_idx_on s14, gpr_idx(SRC0)
	v_mov_b32_e32 v117, v30
	s_set_gpr_idx_off
	s_add_i32 s16, s11, 5
	s_set_gpr_idx_on s15, gpr_idx(SRC0)
	v_mov_b32_e32 v116, v30
	s_set_gpr_idx_off
	s_add_i32 s17, s11, 4
	s_waitcnt lgkmcnt(3)
	v_fmac_f64_e32 v[90:91], v[112:113], v[96:97]
	s_set_gpr_idx_on s16, gpr_idx(SRC0)
	v_mov_b32_e32 v97, v30
	s_set_gpr_idx_off
	s_add_i32 s18, s11, 7
	v_fmac_f64_e32 v[90:91], v[114:115], v[98:99]
	s_set_gpr_idx_on s17, gpr_idx(SRC0)
	v_mov_b32_e32 v96, v30
	s_set_gpr_idx_off
	s_add_i32 s19, s11, 6
	s_waitcnt lgkmcnt(2)
	v_fmac_f64_e32 v[90:91], v[116:117], v[100:101]
	s_set_gpr_idx_on s18, gpr_idx(SRC0)
	v_mov_b32_e32 v99, v30
	s_set_gpr_idx_off
	s_add_i32 s20, s11, 9
	v_fmac_f64_e32 v[90:91], v[96:97], v[102:103]
	s_set_gpr_idx_on s19, gpr_idx(SRC0)
	v_mov_b32_e32 v98, v30
	s_set_gpr_idx_off
	s_add_i32 s21, s11, 8
	s_waitcnt lgkmcnt(1)
	v_fmac_f64_e32 v[90:91], v[98:99], v[104:105]
	s_set_gpr_idx_on s20, gpr_idx(SRC0)
	v_mov_b32_e32 v97, v30
	s_set_gpr_idx_off
	s_add_i32 s22, s11, 11
	s_set_gpr_idx_on s21, gpr_idx(SRC0)
	v_mov_b32_e32 v96, v30
	s_set_gpr_idx_off
	s_add_i32 s23, s11, 10
	s_add_i32 s24, s11, 13
	s_add_i32 s25, s11, 12
	v_fmac_f64_e32 v[90:91], v[96:97], v[106:107]
	s_set_gpr_idx_on s22, gpr_idx(SRC0)
	v_mov_b32_e32 v97, v30
	s_set_gpr_idx_off
	s_add_u32 s4, s4, 8
	s_set_gpr_idx_on s23, gpr_idx(SRC0)
	v_mov_b32_e32 v96, v30
	s_set_gpr_idx_off
	v_add_u32_e32 v92, s4, v94
	s_waitcnt lgkmcnt(0)
	v_fmac_f64_e32 v[90:91], v[96:97], v[108:109]
	s_set_gpr_idx_on s24, gpr_idx(SRC0)
	v_mov_b32_e32 v97, v30
	s_set_gpr_idx_off
	s_addc_u32 s5, s5, 0
	s_add_i32 s10, s10, 64
	s_add_i32 s12, s4, -1
	v_cmp_eq_u32_e32 vcc, 5, v92
	s_set_gpr_idx_on s25, gpr_idx(SRC0)
	v_mov_b32_e32 v96, v30
	s_set_gpr_idx_off
	v_mov_b32_e32 v92, s12
	s_or_b64 s[8:9], vcc, s[8:9]
	v_fmac_f64_e32 v[90:91], v[96:97], v[110:111]
	s_andn2_b64 exec, exec, s[8:9]
	s_cbranch_execnz .LBB13_137
; %bb.138:
	s_or_b64 exec, exec, s[8:9]
.LBB13_139:
	s_or_b64 exec, exec, s[0:1]
	v_and_b32_e32 v58, 7, v93
	v_cmp_ne_u32_e32 vcc, 0, v58
	s_and_saveexec_b64 s[8:9], vcc
	s_cbranch_execz .LBB13_143
; %bb.140:
	v_mov_b32_e32 v59, 0x70
	v_lshl_add_u32 v59, v92, 3, v59
	v_mov_b32_e32 v93, 0
	s_mov_b64 s[10:11], 0
.LBB13_141:                             ; =>This Inner Loop Header: Depth=1
	v_cmp_eq_u32_e32 vcc, 1, v92
	v_add_u32_e32 v58, -1, v58
	v_cmp_eq_u32_e64 s[0:1], 2, v92
	v_cndmask_b32_e32 v94, v31, v33, vcc
	v_cndmask_b32_e32 v96, v30, v32, vcc
	v_cndmask_b32_e64 v94, v94, v35, s[0:1]
	v_cmp_eq_u32_e32 vcc, 0, v58
	v_cmp_eq_u32_e64 s[4:5], 3, v92
	v_cndmask_b32_e64 v96, v96, v34, s[0:1]
	s_or_b64 s[10:11], vcc, s[10:11]
	v_cndmask_b32_e64 v94, v94, v37, s[4:5]
	v_cmp_eq_u32_e32 vcc, 4, v92
	v_cndmask_b32_e64 v96, v96, v36, s[4:5]
	v_cmp_eq_u32_e64 s[0:1], 5, v92
	v_cndmask_b32_e32 v94, v94, v39, vcc
	v_cndmask_b32_e32 v96, v96, v38, vcc
	v_cndmask_b32_e64 v94, v94, v41, s[0:1]
	v_cmp_eq_u32_e32 vcc, 6, v92
	v_cndmask_b32_e64 v96, v96, v40, s[0:1]
	v_cmp_eq_u32_e64 s[0:1], 7, v92
	v_cndmask_b32_e32 v94, v94, v43, vcc
	v_cndmask_b32_e32 v96, v96, v42, vcc
	;; [unrolled: 6-line block ×3, first 2 shown]
	v_cndmask_b32_e64 v94, v94, v49, s[0:1]
	v_cmp_eq_u32_e32 vcc, 10, v92
	ds_read_b64 v[60:61], v59
	v_cndmask_b32_e64 v96, v96, v48, s[0:1]
	v_cndmask_b32_e32 v94, v94, v51, vcc
	v_cmp_eq_u32_e64 s[0:1], 11, v92
	v_cndmask_b32_e32 v96, v96, v50, vcc
	v_cmp_eq_u32_e32 vcc, 12, v92
	v_cndmask_b32_e64 v94, v94, v53, s[0:1]
	v_cmp_eq_u32_e64 s[4:5], 13, v92
	v_cndmask_b32_e32 v94, v94, v55, vcc
	v_cndmask_b32_e64 v96, v96, v52, s[0:1]
	v_cndmask_b32_e64 v97, v94, v57, s[4:5]
	v_cndmask_b32_e32 v94, v96, v54, vcc
	v_cndmask_b32_e64 v96, v94, v56, s[4:5]
	v_add_u32_e32 v59, 8, v59
	v_lshl_add_u64 v[92:93], v[92:93], 0, 1
	s_waitcnt lgkmcnt(0)
	v_fmac_f64_e32 v[90:91], v[96:97], v[60:61]
	s_andn2_b64 exec, exec, s[10:11]
	s_cbranch_execnz .LBB13_141
; %bb.142:
	s_or_b64 exec, exec, s[10:11]
.LBB13_143:
	s_or_b64 exec, exec, s[8:9]
.LBB13_144:
	s_or_b64 exec, exec, s[6:7]
	v_mov_b32_e32 v36, 0
	ds_read_b64 v[36:37], v36 offset:24
	s_waitcnt lgkmcnt(0)
	v_mul_f64 v[36:37], v[90:91], v[36:37]
.LBB13_145:
	s_or_b64 exec, exec, s[30:31]
	v_cmp_lt_u32_e64 s[0:1], 2, v0
	ds_write_b64 v95, v[34:35]
	s_waitcnt lgkmcnt(0)
	; wave barrier
	s_and_saveexec_b64 s[30:31], s[0:1]
	s_cbranch_execz .LBB13_161
; %bb.146:
	s_andn2_b64 vcc, exec, s[28:29]
	s_cbranch_vccnz .LBB13_148
; %bb.147:
	v_cmp_eq_u32_e32 vcc, 1, v0
	v_cmp_eq_u32_e64 s[4:5], 2, v0
	v_cmp_eq_u32_e64 s[6:7], 3, v0
	v_cndmask_b32_e32 v90, v31, v33, vcc
	v_cndmask_b32_e64 v90, v90, v35, s[4:5]
	v_cndmask_b32_e64 v90, v90, v37, s[6:7]
	v_cmp_eq_u32_e64 s[8:9], 4, v0
	v_cmp_eq_u32_e64 s[10:11], 5, v0
	v_cmp_eq_u32_e64 s[12:13], 6, v0
	v_cndmask_b32_e64 v90, v90, v39, s[8:9]
	v_cndmask_b32_e64 v90, v90, v41, s[10:11]
	v_cndmask_b32_e64 v90, v90, v43, s[12:13]
	v_cmp_eq_u32_e64 s[14:15], 7, v0
	v_cmp_eq_u32_e64 s[16:17], 8, v0
	v_cmp_eq_u32_e64 s[18:19], 9, v0
	v_cndmask_b32_e64 v90, v90, v45, s[14:15]
	;; [unrolled: 6-line block ×3, first 2 shown]
	v_cndmask_b32_e64 v90, v90, v53, s[22:23]
	v_cndmask_b32_e64 v90, v90, v55, s[24:25]
	v_cmp_eq_u32_e64 s[26:27], 13, v0
	ds_read_b64 v[92:93], v95
	s_nop 0
	v_cndmask_b32_e64 v91, v90, v57, s[26:27]
	v_cndmask_b32_e32 v90, v30, v32, vcc
	v_cndmask_b32_e64 v90, v90, v34, s[4:5]
	v_cndmask_b32_e64 v90, v90, v36, s[6:7]
	v_cndmask_b32_e64 v90, v90, v38, s[8:9]
	v_cndmask_b32_e64 v90, v90, v40, s[10:11]
	v_cndmask_b32_e64 v90, v90, v42, s[12:13]
	v_cndmask_b32_e64 v90, v90, v44, s[14:15]
	v_cndmask_b32_e64 v90, v90, v46, s[16:17]
	v_cndmask_b32_e64 v90, v90, v48, s[18:19]
	v_cndmask_b32_e64 v90, v90, v50, s[20:21]
	v_cndmask_b32_e64 v90, v90, v52, s[22:23]
	v_cndmask_b32_e64 v90, v90, v54, s[24:25]
	v_cndmask_b32_e64 v90, v90, v56, s[26:27]
	s_waitcnt lgkmcnt(0)
	v_mul_f64 v[90:91], v[90:91], v[92:93]
	s_cbranch_execz .LBB13_149
	s_branch .LBB13_150
.LBB13_148:
                                        ; implicit-def: $vgpr90_vgpr91
.LBB13_149:
	ds_read_b64 v[90:91], v95
.LBB13_150:
	s_and_saveexec_b64 s[6:7], s[2:3]
	s_cbranch_execz .LBB13_160
; %bb.151:
	v_add_u32_e32 v92, -4, v0
	v_add_u32_e32 v93, -3, v0
	v_cmp_lt_u32_e32 vcc, 6, v92
	v_mov_b32_e32 v92, 3
	s_and_saveexec_b64 s[2:3], vcc
	s_cbranch_execz .LBB13_155
; %bb.152:
	v_and_b32_e32 v92, -8, v93
	v_sub_u32_e32 v94, 0, v92
	s_mov_b64 s[4:5], 10
	s_movk_i32 s10, 0x88
	s_mov_b64 s[8:9], 0
.LBB13_153:                             ; =>This Inner Loop Header: Depth=1
	s_lshl_b32 s11, s4, 1
	s_add_i32 s12, s11, -13
	v_mov_b32_e32 v110, s10
	s_add_i32 s13, s11, -14
	s_set_gpr_idx_on s12, gpr_idx(SRC0)
	v_mov_b32_e32 v105, v30
	s_set_gpr_idx_off
	s_add_i32 s14, s11, -11
	s_set_gpr_idx_on s13, gpr_idx(SRC0)
	v_mov_b32_e32 v104, v30
	s_set_gpr_idx_off
	ds_read2_b64 v[96:99], v110 offset1:1
	s_add_i32 s15, s11, -12
	s_set_gpr_idx_on s14, gpr_idx(SRC0)
	v_mov_b32_e32 v107, v30
	s_set_gpr_idx_off
	s_add_i32 s16, s11, -9
	s_set_gpr_idx_on s15, gpr_idx(SRC0)
	v_mov_b32_e32 v106, v30
	s_set_gpr_idx_off
	;; [unrolled: 4-line block ×4, first 2 shown]
	ds_read2_b64 v[100:103], v110 offset0:2 offset1:3
	s_add_i32 s19, s11, -8
	s_waitcnt lgkmcnt(1)
	v_fmac_f64_e32 v[90:91], v[104:105], v[96:97]
	s_set_gpr_idx_on s18, gpr_idx(SRC0)
	v_mov_b32_e32 v105, v30
	s_set_gpr_idx_off
	s_add_i32 s20, s11, -5
	v_fmac_f64_e32 v[90:91], v[106:107], v[98:99]
	s_set_gpr_idx_on s19, gpr_idx(SRC0)
	v_mov_b32_e32 v104, v30
	s_set_gpr_idx_off
	s_add_i32 s21, s11, -6
	s_set_gpr_idx_on s20, gpr_idx(SRC0)
	v_mov_b32_e32 v107, v30
	s_set_gpr_idx_off
	s_add_i32 s22, s11, -3
	;; [unrolled: 4-line block ×3, first 2 shown]
	ds_read2_b64 v[96:99], v110 offset0:4 offset1:5
	s_waitcnt lgkmcnt(1)
	v_fmac_f64_e32 v[90:91], v[108:109], v[100:101]
	s_set_gpr_idx_on s22, gpr_idx(SRC0)
	v_mov_b32_e32 v109, v30
	s_set_gpr_idx_off
	s_add_i32 s24, s11, -1
	v_fmac_f64_e32 v[90:91], v[104:105], v[102:103]
	s_set_gpr_idx_on s23, gpr_idx(SRC0)
	v_mov_b32_e32 v108, v30
	s_set_gpr_idx_off
	s_add_i32 s25, s11, -2
	s_set_gpr_idx_on s24, gpr_idx(SRC0)
	v_mov_b32_e32 v105, v30
	s_set_gpr_idx_off
	s_set_gpr_idx_on s25, gpr_idx(SRC0)
	v_mov_b32_e32 v104, v30
	s_set_gpr_idx_off
	ds_read2_b64 v[100:103], v110 offset0:6 offset1:7
	s_add_u32 s4, s4, 8
	s_waitcnt lgkmcnt(1)
	v_fmac_f64_e32 v[90:91], v[106:107], v[96:97]
	s_set_gpr_idx_on s11, gpr_idx(SRC0)
	v_mov_b32_e32 v97, v31
	s_set_gpr_idx_off
	v_add_u32_e32 v92, s4, v94
	v_fmac_f64_e32 v[90:91], v[108:109], v[98:99]
	s_set_gpr_idx_on s11, gpr_idx(SRC0)
	v_mov_b32_e32 v96, v30
	s_set_gpr_idx_off
	s_addc_u32 s5, s5, 0
	s_add_i32 s10, s10, 64
	s_add_i32 s12, s4, -7
	v_cmp_eq_u32_e32 vcc, 10, v92
	s_waitcnt lgkmcnt(0)
	v_fmac_f64_e32 v[90:91], v[104:105], v[100:101]
	v_mov_b32_e32 v92, s12
	s_or_b64 s[8:9], vcc, s[8:9]
	v_fmac_f64_e32 v[90:91], v[96:97], v[102:103]
	s_andn2_b64 exec, exec, s[8:9]
	s_cbranch_execnz .LBB13_153
; %bb.154:
	s_or_b64 exec, exec, s[8:9]
.LBB13_155:
	s_or_b64 exec, exec, s[2:3]
	v_and_b32_e32 v58, 7, v93
	v_cmp_ne_u32_e32 vcc, 0, v58
	s_and_saveexec_b64 s[8:9], vcc
	s_cbranch_execz .LBB13_159
; %bb.156:
	v_mov_b32_e32 v59, 0x70
	v_lshl_add_u32 v59, v92, 3, v59
	v_mov_b32_e32 v93, 0
	s_mov_b64 s[10:11], 0
.LBB13_157:                             ; =>This Inner Loop Header: Depth=1
	v_cmp_eq_u32_e32 vcc, 1, v92
	v_add_u32_e32 v58, -1, v58
	v_cmp_eq_u32_e64 s[2:3], 2, v92
	v_cndmask_b32_e32 v94, v31, v33, vcc
	v_cndmask_b32_e32 v96, v30, v32, vcc
	v_cndmask_b32_e64 v94, v94, v35, s[2:3]
	v_cmp_eq_u32_e32 vcc, 0, v58
	v_cmp_eq_u32_e64 s[4:5], 3, v92
	v_cndmask_b32_e64 v96, v96, v34, s[2:3]
	s_or_b64 s[10:11], vcc, s[10:11]
	v_cndmask_b32_e64 v94, v94, v37, s[4:5]
	v_cmp_eq_u32_e32 vcc, 4, v92
	v_cndmask_b32_e64 v96, v96, v36, s[4:5]
	v_cmp_eq_u32_e64 s[2:3], 5, v92
	v_cndmask_b32_e32 v94, v94, v39, vcc
	v_cndmask_b32_e32 v96, v96, v38, vcc
	v_cndmask_b32_e64 v94, v94, v41, s[2:3]
	v_cmp_eq_u32_e32 vcc, 6, v92
	v_cndmask_b32_e64 v96, v96, v40, s[2:3]
	v_cmp_eq_u32_e64 s[2:3], 7, v92
	v_cndmask_b32_e32 v94, v94, v43, vcc
	v_cndmask_b32_e32 v96, v96, v42, vcc
	;; [unrolled: 6-line block ×3, first 2 shown]
	v_cndmask_b32_e64 v94, v94, v49, s[2:3]
	v_cmp_eq_u32_e32 vcc, 10, v92
	ds_read_b64 v[60:61], v59
	v_cndmask_b32_e64 v96, v96, v48, s[2:3]
	v_cndmask_b32_e32 v94, v94, v51, vcc
	v_cmp_eq_u32_e64 s[2:3], 11, v92
	v_cndmask_b32_e32 v96, v96, v50, vcc
	v_cmp_eq_u32_e32 vcc, 12, v92
	v_cndmask_b32_e64 v94, v94, v53, s[2:3]
	v_cmp_eq_u32_e64 s[4:5], 13, v92
	v_cndmask_b32_e32 v94, v94, v55, vcc
	v_cndmask_b32_e64 v96, v96, v52, s[2:3]
	v_cndmask_b32_e64 v97, v94, v57, s[4:5]
	v_cndmask_b32_e32 v94, v96, v54, vcc
	v_cndmask_b32_e64 v96, v94, v56, s[4:5]
	v_add_u32_e32 v59, 8, v59
	v_lshl_add_u64 v[92:93], v[92:93], 0, 1
	s_waitcnt lgkmcnt(0)
	v_fmac_f64_e32 v[90:91], v[96:97], v[60:61]
	s_andn2_b64 exec, exec, s[10:11]
	s_cbranch_execnz .LBB13_157
; %bb.158:
	s_or_b64 exec, exec, s[10:11]
.LBB13_159:
	s_or_b64 exec, exec, s[8:9]
.LBB13_160:
	s_or_b64 exec, exec, s[6:7]
	v_mov_b32_e32 v34, 0
	ds_read_b64 v[34:35], v34 offset:16
	s_waitcnt lgkmcnt(0)
	v_mul_f64 v[34:35], v[90:91], v[34:35]
.LBB13_161:
	s_or_b64 exec, exec, s[30:31]
	v_cmp_lt_u32_e64 s[2:3], 1, v0
	ds_write_b64 v95, v[32:33]
	s_waitcnt lgkmcnt(0)
	; wave barrier
	s_and_saveexec_b64 s[30:31], s[2:3]
	s_cbranch_execz .LBB13_177
; %bb.162:
	s_andn2_b64 vcc, exec, s[28:29]
	s_cbranch_vccnz .LBB13_164
; %bb.163:
	v_cmp_eq_u32_e32 vcc, 1, v0
	v_cmp_eq_u32_e64 s[4:5], 2, v0
	v_cmp_eq_u32_e64 s[6:7], 3, v0
	v_cndmask_b32_e32 v90, v31, v33, vcc
	v_cndmask_b32_e64 v90, v90, v35, s[4:5]
	v_cndmask_b32_e64 v90, v90, v37, s[6:7]
	v_cmp_eq_u32_e64 s[8:9], 4, v0
	v_cmp_eq_u32_e64 s[10:11], 5, v0
	v_cmp_eq_u32_e64 s[12:13], 6, v0
	v_cndmask_b32_e64 v90, v90, v39, s[8:9]
	v_cndmask_b32_e64 v90, v90, v41, s[10:11]
	v_cndmask_b32_e64 v90, v90, v43, s[12:13]
	v_cmp_eq_u32_e64 s[14:15], 7, v0
	v_cmp_eq_u32_e64 s[16:17], 8, v0
	v_cmp_eq_u32_e64 s[18:19], 9, v0
	v_cndmask_b32_e64 v90, v90, v45, s[14:15]
	;; [unrolled: 6-line block ×3, first 2 shown]
	v_cndmask_b32_e64 v90, v90, v53, s[22:23]
	v_cndmask_b32_e64 v90, v90, v55, s[24:25]
	v_cmp_eq_u32_e64 s[26:27], 13, v0
	ds_read_b64 v[92:93], v95
	s_nop 0
	v_cndmask_b32_e64 v91, v90, v57, s[26:27]
	v_cndmask_b32_e32 v90, v30, v32, vcc
	v_cndmask_b32_e64 v90, v90, v34, s[4:5]
	v_cndmask_b32_e64 v90, v90, v36, s[6:7]
	;; [unrolled: 1-line block ×12, first 2 shown]
	s_waitcnt lgkmcnt(0)
	v_mul_f64 v[90:91], v[90:91], v[92:93]
	s_cbranch_execz .LBB13_165
	s_branch .LBB13_166
.LBB13_164:
                                        ; implicit-def: $vgpr90_vgpr91
.LBB13_165:
	ds_read_b64 v[90:91], v95
.LBB13_166:
	s_and_saveexec_b64 s[6:7], s[0:1]
	s_cbranch_execz .LBB13_176
; %bb.167:
	v_add_u32_e32 v92, -3, v0
	v_add_u32_e32 v93, -2, v0
	v_cmp_lt_u32_e32 vcc, 6, v92
	v_mov_b32_e32 v92, 2
	s_and_saveexec_b64 s[0:1], vcc
	s_cbranch_execz .LBB13_171
; %bb.168:
	v_and_b32_e32 v92, -8, v93
	v_sub_u32_e32 v94, 0, v92
	s_mov_b64 s[4:5], 9
	s_movk_i32 s10, 0x80
	s_mov_b64 s[8:9], 0
.LBB13_169:                             ; =>This Inner Loop Header: Depth=1
	s_lshl_b32 s11, s4, 1
	s_add_i32 s12, s11, -13
	s_add_i32 s13, s11, -14
	s_set_gpr_idx_on s12, gpr_idx(SRC0)
	v_mov_b32_e32 v113, v30
	s_set_gpr_idx_off
	v_mov_b32_e32 v92, s10
	s_add_i32 s14, s11, -11
	s_set_gpr_idx_on s13, gpr_idx(SRC0)
	v_mov_b32_e32 v112, v30
	s_set_gpr_idx_off
	s_add_i32 s15, s11, -12
	ds_read_b128 v[96:99], v92
	ds_read_b128 v[100:103], v92 offset:16
	ds_read_b128 v[104:107], v92 offset:32
	ds_read_b128 v[108:111], v92 offset:48
	s_set_gpr_idx_on s14, gpr_idx(SRC0)
	v_mov_b32_e32 v115, v30
	s_set_gpr_idx_off
	s_add_i32 s16, s11, -9
	s_set_gpr_idx_on s15, gpr_idx(SRC0)
	v_mov_b32_e32 v114, v30
	s_set_gpr_idx_off
	s_add_i32 s17, s11, -10
	;; [unrolled: 4-line block ×4, first 2 shown]
	s_waitcnt lgkmcnt(3)
	v_fmac_f64_e32 v[90:91], v[112:113], v[96:97]
	s_set_gpr_idx_on s18, gpr_idx(SRC0)
	v_mov_b32_e32 v97, v30
	s_set_gpr_idx_off
	s_add_i32 s20, s11, -5
	v_fmac_f64_e32 v[90:91], v[114:115], v[98:99]
	s_set_gpr_idx_on s19, gpr_idx(SRC0)
	v_mov_b32_e32 v96, v30
	s_set_gpr_idx_off
	s_add_i32 s21, s11, -6
	s_waitcnt lgkmcnt(2)
	v_fmac_f64_e32 v[90:91], v[116:117], v[100:101]
	s_set_gpr_idx_on s20, gpr_idx(SRC0)
	v_mov_b32_e32 v99, v30
	s_set_gpr_idx_off
	s_add_i32 s22, s11, -3
	v_fmac_f64_e32 v[90:91], v[96:97], v[102:103]
	s_set_gpr_idx_on s21, gpr_idx(SRC0)
	v_mov_b32_e32 v98, v30
	s_set_gpr_idx_off
	s_add_i32 s23, s11, -4
	s_waitcnt lgkmcnt(1)
	v_fmac_f64_e32 v[90:91], v[98:99], v[104:105]
	s_set_gpr_idx_on s22, gpr_idx(SRC0)
	v_mov_b32_e32 v97, v30
	s_set_gpr_idx_off
	s_add_i32 s24, s11, -1
	s_set_gpr_idx_on s23, gpr_idx(SRC0)
	v_mov_b32_e32 v96, v30
	s_set_gpr_idx_off
	s_add_i32 s25, s11, -2
	v_fmac_f64_e32 v[90:91], v[96:97], v[106:107]
	s_set_gpr_idx_on s24, gpr_idx(SRC0)
	v_mov_b32_e32 v97, v30
	s_set_gpr_idx_off
	s_add_u32 s4, s4, 8
	s_set_gpr_idx_on s25, gpr_idx(SRC0)
	v_mov_b32_e32 v96, v30
	s_set_gpr_idx_off
	v_add_u32_e32 v92, s4, v94
	s_waitcnt lgkmcnt(0)
	v_fmac_f64_e32 v[90:91], v[96:97], v[108:109]
	s_set_gpr_idx_on s11, gpr_idx(SRC0)
	v_mov_b32_e32 v97, v31
	s_set_gpr_idx_off
	s_addc_u32 s5, s5, 0
	s_add_i32 s10, s10, 64
	s_add_i32 s12, s4, -7
	v_cmp_eq_u32_e32 vcc, 9, v92
	s_set_gpr_idx_on s11, gpr_idx(SRC0)
	v_mov_b32_e32 v96, v30
	s_set_gpr_idx_off
	v_mov_b32_e32 v92, s12
	s_or_b64 s[8:9], vcc, s[8:9]
	v_fmac_f64_e32 v[90:91], v[96:97], v[110:111]
	s_andn2_b64 exec, exec, s[8:9]
	s_cbranch_execnz .LBB13_169
; %bb.170:
	s_or_b64 exec, exec, s[8:9]
.LBB13_171:
	s_or_b64 exec, exec, s[0:1]
	v_and_b32_e32 v58, 7, v93
	v_cmp_ne_u32_e32 vcc, 0, v58
	s_and_saveexec_b64 s[8:9], vcc
	s_cbranch_execz .LBB13_175
; %bb.172:
	v_mov_b32_e32 v59, 0x70
	v_lshl_add_u32 v59, v92, 3, v59
	v_mov_b32_e32 v93, 0
	s_mov_b64 s[10:11], 0
.LBB13_173:                             ; =>This Inner Loop Header: Depth=1
	v_cmp_eq_u32_e32 vcc, 1, v92
	v_add_u32_e32 v58, -1, v58
	v_cmp_eq_u32_e64 s[0:1], 2, v92
	v_cndmask_b32_e32 v94, v31, v33, vcc
	v_cndmask_b32_e32 v96, v30, v32, vcc
	v_cndmask_b32_e64 v94, v94, v35, s[0:1]
	v_cmp_eq_u32_e32 vcc, 0, v58
	v_cmp_eq_u32_e64 s[4:5], 3, v92
	v_cndmask_b32_e64 v96, v96, v34, s[0:1]
	s_or_b64 s[10:11], vcc, s[10:11]
	v_cndmask_b32_e64 v94, v94, v37, s[4:5]
	v_cmp_eq_u32_e32 vcc, 4, v92
	v_cndmask_b32_e64 v96, v96, v36, s[4:5]
	v_cmp_eq_u32_e64 s[0:1], 5, v92
	v_cndmask_b32_e32 v94, v94, v39, vcc
	v_cndmask_b32_e32 v96, v96, v38, vcc
	v_cndmask_b32_e64 v94, v94, v41, s[0:1]
	v_cmp_eq_u32_e32 vcc, 6, v92
	v_cndmask_b32_e64 v96, v96, v40, s[0:1]
	v_cmp_eq_u32_e64 s[0:1], 7, v92
	v_cndmask_b32_e32 v94, v94, v43, vcc
	v_cndmask_b32_e32 v96, v96, v42, vcc
	;; [unrolled: 6-line block ×3, first 2 shown]
	v_cndmask_b32_e64 v94, v94, v49, s[0:1]
	v_cmp_eq_u32_e32 vcc, 10, v92
	ds_read_b64 v[60:61], v59
	v_cndmask_b32_e64 v96, v96, v48, s[0:1]
	v_cndmask_b32_e32 v94, v94, v51, vcc
	v_cmp_eq_u32_e64 s[0:1], 11, v92
	v_cndmask_b32_e32 v96, v96, v50, vcc
	v_cmp_eq_u32_e32 vcc, 12, v92
	v_cndmask_b32_e64 v94, v94, v53, s[0:1]
	v_cmp_eq_u32_e64 s[4:5], 13, v92
	v_cndmask_b32_e32 v94, v94, v55, vcc
	v_cndmask_b32_e64 v96, v96, v52, s[0:1]
	v_cndmask_b32_e64 v97, v94, v57, s[4:5]
	v_cndmask_b32_e32 v94, v96, v54, vcc
	v_cndmask_b32_e64 v96, v94, v56, s[4:5]
	v_add_u32_e32 v59, 8, v59
	v_lshl_add_u64 v[92:93], v[92:93], 0, 1
	s_waitcnt lgkmcnt(0)
	v_fmac_f64_e32 v[90:91], v[96:97], v[60:61]
	s_andn2_b64 exec, exec, s[10:11]
	s_cbranch_execnz .LBB13_173
; %bb.174:
	s_or_b64 exec, exec, s[10:11]
.LBB13_175:
	s_or_b64 exec, exec, s[8:9]
.LBB13_176:
	s_or_b64 exec, exec, s[6:7]
	v_mov_b32_e32 v32, 0
	ds_read_b64 v[32:33], v32 offset:8
	s_waitcnt lgkmcnt(0)
	v_mul_f64 v[32:33], v[90:91], v[32:33]
.LBB13_177:
	s_or_b64 exec, exec, s[30:31]
	v_cmp_ne_u32_e32 vcc, 0, v0
	ds_write_b64 v95, v[30:31]
	s_waitcnt lgkmcnt(0)
	; wave barrier
	s_and_saveexec_b64 s[26:27], vcc
	s_cbranch_execz .LBB13_193
; %bb.178:
	s_andn2_b64 vcc, exec, s[28:29]
	s_cbranch_vccnz .LBB13_180
; %bb.179:
	v_cmp_eq_u32_e32 vcc, 1, v0
	v_cmp_eq_u32_e64 s[0:1], 2, v0
	v_cmp_eq_u32_e64 s[4:5], 3, v0
	v_cndmask_b32_e32 v90, v31, v33, vcc
	v_cndmask_b32_e64 v90, v90, v35, s[0:1]
	v_cndmask_b32_e64 v90, v90, v37, s[4:5]
	v_cmp_eq_u32_e64 s[6:7], 4, v0
	v_cmp_eq_u32_e64 s[8:9], 5, v0
	v_cmp_eq_u32_e64 s[10:11], 6, v0
	v_cndmask_b32_e64 v90, v90, v39, s[6:7]
	v_cndmask_b32_e64 v90, v90, v41, s[8:9]
	v_cndmask_b32_e64 v90, v90, v43, s[10:11]
	v_cmp_eq_u32_e64 s[12:13], 7, v0
	v_cmp_eq_u32_e64 s[14:15], 8, v0
	v_cmp_eq_u32_e64 s[16:17], 9, v0
	v_cndmask_b32_e64 v90, v90, v45, s[12:13]
	;; [unrolled: 6-line block ×3, first 2 shown]
	v_cndmask_b32_e64 v90, v90, v53, s[20:21]
	v_cndmask_b32_e64 v90, v90, v55, s[22:23]
	v_cmp_eq_u32_e64 s[24:25], 13, v0
	ds_read_b64 v[92:93], v95
	s_nop 0
	v_cndmask_b32_e64 v91, v90, v57, s[24:25]
	v_cndmask_b32_e32 v90, v30, v32, vcc
	v_cndmask_b32_e64 v90, v90, v34, s[0:1]
	v_cndmask_b32_e64 v90, v90, v36, s[4:5]
	;; [unrolled: 1-line block ×12, first 2 shown]
	s_waitcnt lgkmcnt(0)
	v_mul_f64 v[90:91], v[90:91], v[92:93]
	s_cbranch_execz .LBB13_181
	s_branch .LBB13_182
.LBB13_180:
                                        ; implicit-def: $vgpr90_vgpr91
.LBB13_181:
	ds_read_b64 v[90:91], v95
.LBB13_182:
	s_and_saveexec_b64 s[4:5], s[2:3]
	s_cbranch_execz .LBB13_192
; %bb.183:
	v_add_u32_e32 v92, -2, v0
	v_add_u32_e32 v93, -1, v0
	v_cmp_lt_u32_e32 vcc, 6, v92
	v_mov_b32_e32 v92, 1
	s_and_saveexec_b64 s[0:1], vcc
	s_cbranch_execz .LBB13_187
; %bb.184:
	v_and_b32_e32 v92, -8, v93
	v_sub_u32_e32 v94, 0, v92
	s_mov_b64 s[2:3], 8
	s_movk_i32 s8, 0x78
	s_mov_b64 s[6:7], 0
.LBB13_185:                             ; =>This Inner Loop Header: Depth=1
	s_lshl_b32 s9, s2, 1
	s_add_i32 s10, s9, -13
	v_mov_b32_e32 v110, s8
	s_add_i32 s11, s9, -14
	s_set_gpr_idx_on s10, gpr_idx(SRC0)
	v_mov_b32_e32 v105, v30
	s_set_gpr_idx_off
	s_add_i32 s12, s9, -11
	s_set_gpr_idx_on s11, gpr_idx(SRC0)
	v_mov_b32_e32 v104, v30
	s_set_gpr_idx_off
	ds_read2_b64 v[96:99], v110 offset1:1
	s_add_i32 s13, s9, -12
	s_set_gpr_idx_on s12, gpr_idx(SRC0)
	v_mov_b32_e32 v107, v30
	s_set_gpr_idx_off
	s_add_i32 s14, s9, -9
	s_set_gpr_idx_on s13, gpr_idx(SRC0)
	v_mov_b32_e32 v106, v30
	s_set_gpr_idx_off
	s_add_i32 s15, s9, -10
	s_set_gpr_idx_on s14, gpr_idx(SRC0)
	v_mov_b32_e32 v109, v30
	s_set_gpr_idx_off
	s_add_i32 s16, s9, -7
	s_set_gpr_idx_on s15, gpr_idx(SRC0)
	v_mov_b32_e32 v108, v30
	s_set_gpr_idx_off
	ds_read2_b64 v[100:103], v110 offset0:2 offset1:3
	s_add_i32 s17, s9, -8
	s_waitcnt lgkmcnt(1)
	v_fmac_f64_e32 v[90:91], v[104:105], v[96:97]
	s_set_gpr_idx_on s16, gpr_idx(SRC0)
	v_mov_b32_e32 v105, v30
	s_set_gpr_idx_off
	s_add_i32 s18, s9, -5
	v_fmac_f64_e32 v[90:91], v[106:107], v[98:99]
	s_set_gpr_idx_on s17, gpr_idx(SRC0)
	v_mov_b32_e32 v104, v30
	s_set_gpr_idx_off
	s_add_i32 s19, s9, -6
	s_set_gpr_idx_on s18, gpr_idx(SRC0)
	v_mov_b32_e32 v107, v30
	s_set_gpr_idx_off
	s_add_i32 s20, s9, -3
	s_set_gpr_idx_on s19, gpr_idx(SRC0)
	v_mov_b32_e32 v106, v30
	s_set_gpr_idx_off
	s_add_i32 s21, s9, -4
	ds_read2_b64 v[96:99], v110 offset0:4 offset1:5
	s_waitcnt lgkmcnt(1)
	v_fmac_f64_e32 v[90:91], v[108:109], v[100:101]
	s_set_gpr_idx_on s20, gpr_idx(SRC0)
	v_mov_b32_e32 v109, v30
	s_set_gpr_idx_off
	s_add_i32 s22, s9, -1
	v_fmac_f64_e32 v[90:91], v[104:105], v[102:103]
	s_set_gpr_idx_on s21, gpr_idx(SRC0)
	v_mov_b32_e32 v108, v30
	s_set_gpr_idx_off
	s_add_i32 s23, s9, -2
	s_set_gpr_idx_on s22, gpr_idx(SRC0)
	v_mov_b32_e32 v105, v30
	s_set_gpr_idx_off
	s_set_gpr_idx_on s23, gpr_idx(SRC0)
	v_mov_b32_e32 v104, v30
	s_set_gpr_idx_off
	ds_read2_b64 v[100:103], v110 offset0:6 offset1:7
	s_add_u32 s2, s2, 8
	s_waitcnt lgkmcnt(1)
	v_fmac_f64_e32 v[90:91], v[106:107], v[96:97]
	s_set_gpr_idx_on s9, gpr_idx(SRC0)
	v_mov_b32_e32 v97, v31
	s_set_gpr_idx_off
	v_add_u32_e32 v92, s2, v94
	v_fmac_f64_e32 v[90:91], v[108:109], v[98:99]
	s_set_gpr_idx_on s9, gpr_idx(SRC0)
	v_mov_b32_e32 v96, v30
	s_set_gpr_idx_off
	s_addc_u32 s3, s3, 0
	s_add_i32 s8, s8, 64
	s_add_i32 s10, s2, -7
	v_cmp_eq_u32_e32 vcc, 8, v92
	s_waitcnt lgkmcnt(0)
	v_fmac_f64_e32 v[90:91], v[104:105], v[100:101]
	v_mov_b32_e32 v92, s10
	s_or_b64 s[6:7], vcc, s[6:7]
	v_fmac_f64_e32 v[90:91], v[96:97], v[102:103]
	s_andn2_b64 exec, exec, s[6:7]
	s_cbranch_execnz .LBB13_185
; %bb.186:
	s_or_b64 exec, exec, s[6:7]
.LBB13_187:
	s_or_b64 exec, exec, s[0:1]
	v_and_b32_e32 v58, 7, v93
	v_cmp_ne_u32_e32 vcc, 0, v58
	s_and_saveexec_b64 s[6:7], vcc
	s_cbranch_execz .LBB13_191
; %bb.188:
	v_mov_b32_e32 v59, 0x70
	v_lshl_add_u32 v59, v92, 3, v59
	v_mov_b32_e32 v93, 0
	s_mov_b64 s[8:9], 0
.LBB13_189:                             ; =>This Inner Loop Header: Depth=1
	v_cmp_eq_u32_e32 vcc, 1, v92
	v_add_u32_e32 v58, -1, v58
	v_cmp_eq_u32_e64 s[0:1], 2, v92
	v_cndmask_b32_e32 v94, v31, v33, vcc
	v_cndmask_b32_e32 v96, v30, v32, vcc
	v_cndmask_b32_e64 v94, v94, v35, s[0:1]
	v_cmp_eq_u32_e32 vcc, 0, v58
	v_cmp_eq_u32_e64 s[2:3], 3, v92
	v_cndmask_b32_e64 v96, v96, v34, s[0:1]
	s_or_b64 s[8:9], vcc, s[8:9]
	v_cndmask_b32_e64 v94, v94, v37, s[2:3]
	v_cmp_eq_u32_e32 vcc, 4, v92
	v_cndmask_b32_e64 v96, v96, v36, s[2:3]
	v_cmp_eq_u32_e64 s[0:1], 5, v92
	v_cndmask_b32_e32 v94, v94, v39, vcc
	v_cndmask_b32_e32 v96, v96, v38, vcc
	v_cndmask_b32_e64 v94, v94, v41, s[0:1]
	v_cmp_eq_u32_e32 vcc, 6, v92
	v_cndmask_b32_e64 v96, v96, v40, s[0:1]
	v_cmp_eq_u32_e64 s[0:1], 7, v92
	v_cndmask_b32_e32 v94, v94, v43, vcc
	v_cndmask_b32_e32 v96, v96, v42, vcc
	;; [unrolled: 6-line block ×3, first 2 shown]
	v_cndmask_b32_e64 v94, v94, v49, s[0:1]
	v_cmp_eq_u32_e32 vcc, 10, v92
	ds_read_b64 v[60:61], v59
	v_cndmask_b32_e64 v96, v96, v48, s[0:1]
	v_cndmask_b32_e32 v94, v94, v51, vcc
	v_cmp_eq_u32_e64 s[0:1], 11, v92
	v_cndmask_b32_e32 v96, v96, v50, vcc
	v_cmp_eq_u32_e32 vcc, 12, v92
	v_cndmask_b32_e64 v94, v94, v53, s[0:1]
	v_cmp_eq_u32_e64 s[2:3], 13, v92
	v_cndmask_b32_e32 v94, v94, v55, vcc
	v_cndmask_b32_e64 v96, v96, v52, s[0:1]
	v_cndmask_b32_e64 v97, v94, v57, s[2:3]
	v_cndmask_b32_e32 v94, v96, v54, vcc
	v_cndmask_b32_e64 v96, v94, v56, s[2:3]
	v_add_u32_e32 v59, 8, v59
	v_lshl_add_u64 v[92:93], v[92:93], 0, 1
	s_waitcnt lgkmcnt(0)
	v_fmac_f64_e32 v[90:91], v[96:97], v[60:61]
	s_andn2_b64 exec, exec, s[8:9]
	s_cbranch_execnz .LBB13_189
; %bb.190:
	s_or_b64 exec, exec, s[8:9]
.LBB13_191:
	s_or_b64 exec, exec, s[6:7]
.LBB13_192:
	s_or_b64 exec, exec, s[4:5]
	v_mov_b32_e32 v30, 0
	ds_read_b64 v[30:31], v30
	s_waitcnt lgkmcnt(0)
	v_mul_f64 v[30:31], v[90:91], v[30:31]
.LBB13_193:
	s_or_b64 exec, exec, s[26:27]
	s_branch .LBB13_327
.LBB13_194:
	v_cmp_eq_u32_e64 s[2:3], 0, v0
	s_waitcnt vmcnt(13)
	ds_write_b64 v95, v[4:5]
	s_waitcnt lgkmcnt(0)
	; wave barrier
	s_and_saveexec_b64 s[26:27], s[2:3]
	s_cbranch_execz .LBB13_200
; %bb.195:
	s_and_b64 vcc, exec, s[28:29]
	s_cbranch_vccz .LBB13_197
; %bb.196:
	v_cmp_eq_u32_e32 vcc, 1, v0
	v_cmp_eq_u32_e64 s[0:1], 2, v0
	v_cmp_eq_u32_e64 s[4:5], 3, v0
	s_waitcnt vmcnt(1)
	v_cndmask_b32_e32 v5, v3, v5, vcc
	v_cndmask_b32_e32 v4, v2, v4, vcc
	v_cndmask_b32_e64 v5, v5, v7, s[0:1]
	v_cndmask_b32_e64 v4, v4, v6, s[0:1]
	v_cndmask_b32_e64 v5, v5, v9, s[4:5]
	v_cmp_eq_u32_e64 s[6:7], 4, v0
	v_cndmask_b32_e64 v4, v4, v8, s[4:5]
	v_cmp_eq_u32_e64 s[8:9], 5, v0
	v_cndmask_b32_e64 v5, v5, v11, s[6:7]
	v_cndmask_b32_e64 v4, v4, v10, s[6:7]
	v_cndmask_b32_e64 v5, v5, v13, s[8:9]
	v_cmp_eq_u32_e64 s[10:11], 6, v0
	v_cndmask_b32_e64 v4, v4, v12, s[8:9]
	v_cmp_eq_u32_e64 s[12:13], 7, v0
	;; [unrolled: 6-line block ×3, first 2 shown]
	v_cndmask_b32_e64 v5, v5, v19, s[14:15]
	v_cndmask_b32_e64 v4, v4, v18, s[14:15]
	;; [unrolled: 1-line block ×3, first 2 shown]
	v_cmp_eq_u32_e64 s[18:19], 10, v0
	v_cndmask_b32_e64 v4, v4, v20, s[16:17]
	ds_read_b64 v[30:31], v95
	v_cndmask_b32_e64 v5, v5, v23, s[18:19]
	v_cmp_eq_u32_e64 s[20:21], 11, v0
	v_cndmask_b32_e64 v4, v4, v22, s[18:19]
	v_cmp_eq_u32_e64 s[22:23], 12, v0
	v_cndmask_b32_e64 v5, v5, v25, s[20:21]
	v_cndmask_b32_e64 v4, v4, v24, s[20:21]
	;; [unrolled: 1-line block ×3, first 2 shown]
	v_cmp_eq_u32_e64 s[24:25], 13, v0
	v_cndmask_b32_e64 v4, v4, v26, s[22:23]
	s_waitcnt vmcnt(0)
	v_cndmask_b32_e64 v5, v5, v29, s[24:25]
	v_cndmask_b32_e64 v4, v4, v28, s[24:25]
	s_waitcnt lgkmcnt(0)
	v_mul_f64 v[4:5], v[4:5], v[30:31]
	s_cbranch_execz .LBB13_198
	s_branch .LBB13_199
.LBB13_197:
                                        ; implicit-def: $vgpr4_vgpr5
.LBB13_198:
	ds_read_b64 v[4:5], v95
.LBB13_199:
	v_mov_b32_e32 v30, 0
	ds_read_b64 v[30:31], v30 offset:8
	s_waitcnt lgkmcnt(0)
	v_mul_f64 v[4:5], v[4:5], v[30:31]
.LBB13_200:
	s_or_b64 exec, exec, s[26:27]
	v_cndmask_b32_e64 v30, 0, 1, s[28:29]
	v_cmp_gt_u32_e32 vcc, 2, v0
	v_cmp_ne_u32_e64 s[0:1], 1, v30
	s_waitcnt vmcnt(12)
	ds_write_b64 v95, v[6:7]
	s_waitcnt lgkmcnt(0)
	; wave barrier
	s_and_saveexec_b64 s[28:29], vcc
	s_cbranch_execz .LBB13_206
; %bb.201:
	s_and_b64 vcc, exec, s[0:1]
	s_cbranch_vccnz .LBB13_203
; %bb.202:
	v_cmp_eq_u32_e32 vcc, 1, v0
	v_cmp_eq_u32_e64 s[4:5], 2, v0
	v_cmp_eq_u32_e64 s[6:7], 3, v0
	s_waitcnt vmcnt(1)
	v_cndmask_b32_e32 v30, v3, v5, vcc
	v_cndmask_b32_e64 v7, v30, v7, s[4:5]
	v_cndmask_b32_e32 v30, v2, v4, vcc
	v_cndmask_b32_e64 v6, v30, v6, s[4:5]
	v_cndmask_b32_e64 v7, v7, v9, s[6:7]
	v_cmp_eq_u32_e64 s[8:9], 4, v0
	v_cndmask_b32_e64 v6, v6, v8, s[6:7]
	v_cmp_eq_u32_e64 s[10:11], 5, v0
	v_cndmask_b32_e64 v7, v7, v11, s[8:9]
	v_cndmask_b32_e64 v6, v6, v10, s[8:9]
	v_cndmask_b32_e64 v7, v7, v13, s[10:11]
	v_cmp_eq_u32_e64 s[12:13], 6, v0
	v_cndmask_b32_e64 v6, v6, v12, s[10:11]
	v_cmp_eq_u32_e64 s[14:15], 7, v0
	v_cndmask_b32_e64 v7, v7, v15, s[12:13]
	;; [unrolled: 6-line block ×3, first 2 shown]
	v_cndmask_b32_e64 v6, v6, v18, s[16:17]
	v_cndmask_b32_e64 v7, v7, v21, s[18:19]
	v_cmp_eq_u32_e64 s[20:21], 10, v0
	v_cndmask_b32_e64 v6, v6, v20, s[18:19]
	ds_read_b64 v[30:31], v95
	v_cndmask_b32_e64 v7, v7, v23, s[20:21]
	v_cmp_eq_u32_e64 s[22:23], 11, v0
	v_cndmask_b32_e64 v6, v6, v22, s[20:21]
	v_cmp_eq_u32_e64 s[24:25], 12, v0
	v_cndmask_b32_e64 v7, v7, v25, s[22:23]
	v_cndmask_b32_e64 v6, v6, v24, s[22:23]
	;; [unrolled: 1-line block ×3, first 2 shown]
	v_cmp_eq_u32_e64 s[26:27], 13, v0
	v_cndmask_b32_e64 v6, v6, v26, s[24:25]
	s_waitcnt vmcnt(0)
	v_cndmask_b32_e64 v7, v7, v29, s[26:27]
	v_cndmask_b32_e64 v6, v6, v28, s[26:27]
	s_waitcnt lgkmcnt(0)
	v_mul_f64 v[6:7], v[6:7], v[30:31]
	s_cbranch_execz .LBB13_204
	s_branch .LBB13_205
.LBB13_203:
                                        ; implicit-def: $vgpr6_vgpr7
.LBB13_204:
	ds_read_b64 v[6:7], v95
.LBB13_205:
	v_mov_b32_e32 v30, 0
	ds_read2_b64 v[30:33], v30 offset0:2 offset1:15
	s_waitcnt lgkmcnt(0)
	v_fma_f64 v[32:33], v[4:5], v[32:33], v[6:7]
	v_cndmask_b32_e64 v7, v7, v33, s[2:3]
	v_cndmask_b32_e64 v6, v6, v32, s[2:3]
	v_mul_f64 v[6:7], v[6:7], v[30:31]
.LBB13_206:
	s_or_b64 exec, exec, s[28:29]
	v_add_u32_e32 v34, 1, v0
	v_cmp_gt_u32_e64 s[4:5], 3, v0
	s_waitcnt vmcnt(11)
	ds_write_b64 v95, v[8:9]
	s_waitcnt lgkmcnt(0)
	; wave barrier
	s_and_saveexec_b64 s[30:31], s[4:5]
	s_cbranch_execz .LBB13_214
; %bb.207:
	s_and_b64 vcc, exec, s[0:1]
	s_cbranch_vccnz .LBB13_209
; %bb.208:
	v_cmp_eq_u32_e32 vcc, 1, v0
	v_cmp_eq_u32_e64 s[6:7], 2, v0
	v_cmp_eq_u32_e64 s[8:9], 3, v0
	s_waitcnt vmcnt(1)
	v_cndmask_b32_e32 v30, v3, v5, vcc
	v_cndmask_b32_e64 v30, v30, v7, s[6:7]
	v_cndmask_b32_e64 v30, v30, v9, s[8:9]
	v_cmp_eq_u32_e64 s[10:11], 4, v0
	v_cmp_eq_u32_e64 s[12:13], 5, v0
	v_cmp_eq_u32_e64 s[14:15], 6, v0
	v_cndmask_b32_e64 v30, v30, v11, s[10:11]
	v_cndmask_b32_e64 v30, v30, v13, s[12:13]
	v_cndmask_b32_e64 v30, v30, v15, s[14:15]
	v_cmp_eq_u32_e64 s[16:17], 7, v0
	v_cmp_eq_u32_e64 s[18:19], 8, v0
	v_cmp_eq_u32_e64 s[20:21], 9, v0
	v_cndmask_b32_e64 v30, v30, v17, s[16:17]
	;; [unrolled: 6-line block ×3, first 2 shown]
	v_cndmask_b32_e64 v30, v30, v25, s[24:25]
	v_cndmask_b32_e64 v30, v30, v27, s[26:27]
	v_cmp_eq_u32_e64 s[28:29], 13, v0
	ds_read_b64 v[32:33], v95
	s_waitcnt vmcnt(0)
	v_cndmask_b32_e64 v31, v30, v29, s[28:29]
	v_cndmask_b32_e32 v30, v2, v4, vcc
	v_cndmask_b32_e64 v30, v30, v6, s[6:7]
	v_cndmask_b32_e64 v30, v30, v8, s[8:9]
	v_cndmask_b32_e64 v30, v30, v10, s[10:11]
	v_cndmask_b32_e64 v30, v30, v12, s[12:13]
	v_cndmask_b32_e64 v30, v30, v14, s[14:15]
	v_cndmask_b32_e64 v30, v30, v16, s[16:17]
	v_cndmask_b32_e64 v30, v30, v18, s[18:19]
	v_cndmask_b32_e64 v30, v30, v20, s[20:21]
	v_cndmask_b32_e64 v30, v30, v22, s[22:23]
	v_cndmask_b32_e64 v30, v30, v24, s[24:25]
	v_cndmask_b32_e64 v30, v30, v26, s[26:27]
	v_cndmask_b32_e64 v30, v30, v28, s[28:29]
	s_waitcnt lgkmcnt(0)
	v_mul_f64 v[30:31], v[30:31], v[32:33]
	s_cbranch_execz .LBB13_210
	s_branch .LBB13_211
.LBB13_209:
                                        ; implicit-def: $vgpr30_vgpr31
.LBB13_210:
	ds_read_b64 v[30:31], v95
.LBB13_211:
	v_cmp_ne_u32_e32 vcc, 2, v0
	s_and_saveexec_b64 s[34:35], vcc
	s_cbranch_execz .LBB13_213
; %bb.212:
	v_cmp_eq_u32_e32 vcc, 1, v34
	v_cmp_eq_u32_e64 s[6:7], 2, v34
	v_cmp_eq_u32_e64 s[8:9], 3, v34
	s_waitcnt vmcnt(1)
	v_cndmask_b32_e32 v32, v3, v5, vcc
	v_cndmask_b32_e64 v32, v32, v7, s[6:7]
	v_cndmask_b32_e64 v9, v32, v9, s[8:9]
	v_cndmask_b32_e32 v32, v2, v4, vcc
	v_cndmask_b32_e64 v32, v32, v6, s[6:7]
	v_cmp_eq_u32_e64 s[10:11], 4, v34
	v_cndmask_b32_e64 v8, v32, v8, s[8:9]
	v_cmp_eq_u32_e64 s[12:13], 5, v34
	v_cndmask_b32_e64 v9, v9, v11, s[10:11]
	v_cndmask_b32_e64 v8, v8, v10, s[10:11]
	v_cndmask_b32_e64 v9, v9, v13, s[12:13]
	v_cmp_eq_u32_e64 s[14:15], 6, v34
	v_cndmask_b32_e64 v8, v8, v12, s[12:13]
	v_cmp_eq_u32_e64 s[16:17], 7, v34
	v_cndmask_b32_e64 v9, v9, v15, s[14:15]
	v_cndmask_b32_e64 v8, v8, v14, s[14:15]
	;; [unrolled: 6-line block ×4, first 2 shown]
	v_mov_b32_e32 v35, 0
	ds_read_b64 v[32:33], v95 offset:8
	ds_read_b64 v[36:37], v35 offset:128
	v_cndmask_b32_e64 v9, v9, v25, s[24:25]
	v_cmp_eq_u32_e64 s[26:27], 12, v34
	v_cndmask_b32_e64 v8, v8, v24, s[24:25]
	v_cmp_eq_u32_e64 s[28:29], 13, v34
	v_cndmask_b32_e64 v9, v9, v27, s[26:27]
	v_cndmask_b32_e64 v8, v8, v26, s[26:27]
	s_waitcnt vmcnt(0)
	v_cndmask_b32_e64 v9, v9, v29, s[28:29]
	v_cndmask_b32_e64 v8, v8, v28, s[28:29]
	s_waitcnt lgkmcnt(1)
	v_fmac_f64_e32 v[30:31], v[8:9], v[32:33]
	s_waitcnt lgkmcnt(0)
	v_fma_f64 v[8:9], v[6:7], v[36:37], v[30:31]
	v_cndmask_b32_e64 v31, v31, v9, s[2:3]
	v_cndmask_b32_e64 v30, v30, v8, s[2:3]
.LBB13_213:
	s_or_b64 exec, exec, s[34:35]
	v_mov_b32_e32 v8, 0
	ds_read_b64 v[8:9], v8 offset:24
	s_waitcnt lgkmcnt(0)
	v_mul_f64 v[8:9], v[30:31], v[8:9]
.LBB13_214:
	s_or_b64 exec, exec, s[30:31]
	v_cmp_gt_u32_e32 vcc, 4, v0
	s_waitcnt vmcnt(10)
	ds_write_b64 v95, v[10:11]
	s_waitcnt lgkmcnt(0)
	; wave barrier
	s_and_saveexec_b64 s[30:31], vcc
	s_cbranch_execz .LBB13_224
; %bb.215:
	s_and_b64 vcc, exec, s[0:1]
	s_cbranch_vccnz .LBB13_217
; %bb.216:
	v_cmp_eq_u32_e32 vcc, 1, v0
	v_cmp_eq_u32_e64 s[6:7], 2, v0
	v_cmp_eq_u32_e64 s[8:9], 3, v0
	s_waitcnt vmcnt(1)
	v_cndmask_b32_e32 v30, v3, v5, vcc
	v_cndmask_b32_e64 v30, v30, v7, s[6:7]
	v_cndmask_b32_e64 v30, v30, v9, s[8:9]
	v_cmp_eq_u32_e64 s[10:11], 4, v0
	v_cmp_eq_u32_e64 s[12:13], 5, v0
	v_cmp_eq_u32_e64 s[14:15], 6, v0
	v_cndmask_b32_e64 v30, v30, v11, s[10:11]
	v_cndmask_b32_e64 v30, v30, v13, s[12:13]
	v_cndmask_b32_e64 v30, v30, v15, s[14:15]
	v_cmp_eq_u32_e64 s[16:17], 7, v0
	v_cmp_eq_u32_e64 s[18:19], 8, v0
	v_cmp_eq_u32_e64 s[20:21], 9, v0
	v_cndmask_b32_e64 v30, v30, v17, s[16:17]
	;; [unrolled: 6-line block ×3, first 2 shown]
	v_cndmask_b32_e64 v30, v30, v25, s[24:25]
	v_cndmask_b32_e64 v30, v30, v27, s[26:27]
	v_cmp_eq_u32_e64 s[28:29], 13, v0
	ds_read_b64 v[32:33], v95
	s_waitcnt vmcnt(0)
	v_cndmask_b32_e64 v31, v30, v29, s[28:29]
	v_cndmask_b32_e32 v30, v2, v4, vcc
	v_cndmask_b32_e64 v30, v30, v6, s[6:7]
	v_cndmask_b32_e64 v30, v30, v8, s[8:9]
	;; [unrolled: 1-line block ×12, first 2 shown]
	s_waitcnt lgkmcnt(0)
	v_mul_f64 v[30:31], v[30:31], v[32:33]
	s_cbranch_execz .LBB13_218
	s_branch .LBB13_219
.LBB13_217:
                                        ; implicit-def: $vgpr30_vgpr31
.LBB13_218:
	ds_read_b64 v[30:31], v95
.LBB13_219:
	v_cmp_ne_u32_e32 vcc, 3, v0
	s_and_saveexec_b64 s[10:11], vcc
	s_cbranch_execz .LBB13_223
; %bb.220:
	v_mov_b32_e32 v32, 0x78
	v_lshl_add_u32 v35, v0, 3, v32
	s_mov_b64 s[12:13], 0
	v_mov_b64_e32 v[32:33], v[0:1]
.LBB13_221:                             ; =>This Inner Loop Header: Depth=1
	v_lshl_add_u64 v[32:33], v[32:33], 0, 1
	v_cmp_eq_u32_e32 vcc, 1, v32
	v_cmp_eq_u32_e64 s[8:9], 2, v32
	v_cmp_lt_u32_e64 s[6:7], 2, v32
	s_waitcnt vmcnt(1)
	v_cndmask_b32_e32 v38, v3, v5, vcc
	v_cndmask_b32_e64 v38, v38, v7, s[8:9]
	v_cndmask_b32_e32 v39, v2, v4, vcc
	v_cmp_eq_u32_e32 vcc, 3, v32
	s_or_b64 s[12:13], s[6:7], s[12:13]
	v_cndmask_b32_e64 v39, v39, v6, s[8:9]
	v_cndmask_b32_e32 v38, v38, v9, vcc
	v_cmp_eq_u32_e64 s[6:7], 4, v32
	v_cndmask_b32_e32 v39, v39, v8, vcc
	v_cmp_eq_u32_e32 vcc, 5, v32
	v_cndmask_b32_e64 v38, v38, v11, s[6:7]
	v_cndmask_b32_e64 v39, v39, v10, s[6:7]
	v_cndmask_b32_e32 v38, v38, v13, vcc
	v_cmp_eq_u32_e64 s[6:7], 6, v32
	v_cndmask_b32_e32 v39, v39, v12, vcc
	v_cmp_eq_u32_e32 vcc, 7, v32
	v_cndmask_b32_e64 v38, v38, v15, s[6:7]
	v_cndmask_b32_e64 v39, v39, v14, s[6:7]
	v_cndmask_b32_e32 v38, v38, v17, vcc
	v_cmp_eq_u32_e64 s[6:7], 8, v32
	v_cndmask_b32_e32 v39, v39, v16, vcc
	v_cmp_eq_u32_e32 vcc, 9, v32
	v_cndmask_b32_e64 v38, v38, v19, s[6:7]
	v_cndmask_b32_e64 v39, v39, v18, s[6:7]
	v_cndmask_b32_e32 v38, v38, v21, vcc
	v_cmp_eq_u32_e64 s[6:7], 10, v32
	ds_read_b64 v[36:37], v35
	v_cndmask_b32_e32 v39, v39, v20, vcc
	v_cndmask_b32_e64 v38, v38, v23, s[6:7]
	v_cmp_eq_u32_e32 vcc, 11, v32
	v_cndmask_b32_e64 v39, v39, v22, s[6:7]
	v_cmp_eq_u32_e64 s[6:7], 12, v32
	v_cndmask_b32_e32 v38, v38, v25, vcc
	v_cndmask_b32_e32 v40, v39, v24, vcc
	v_cndmask_b32_e64 v38, v38, v27, s[6:7]
	v_cmp_eq_u32_e32 vcc, 13, v32
	v_add_u32_e32 v35, 8, v35
	s_waitcnt vmcnt(0)
	v_cndmask_b32_e32 v39, v38, v29, vcc
	v_cndmask_b32_e64 v38, v40, v26, s[6:7]
	v_cndmask_b32_e32 v38, v38, v28, vcc
	s_waitcnt lgkmcnt(0)
	v_fmac_f64_e32 v[30:31], v[38:39], v[36:37]
	s_andn2_b64 exec, exec, s[12:13]
	s_cbranch_execnz .LBB13_221
; %bb.222:
	s_or_b64 exec, exec, s[12:13]
.LBB13_223:
	s_or_b64 exec, exec, s[10:11]
	v_mov_b32_e32 v10, 0
	ds_read_b64 v[10:11], v10 offset:32
	s_waitcnt lgkmcnt(0)
	v_mul_f64 v[10:11], v[30:31], v[10:11]
.LBB13_224:
	s_or_b64 exec, exec, s[30:31]
	v_cmp_gt_u32_e64 s[6:7], 5, v0
	s_waitcnt vmcnt(9)
	ds_write_b64 v95, v[12:13]
	s_waitcnt lgkmcnt(0)
	; wave barrier
	s_and_saveexec_b64 s[34:35], s[6:7]
	s_cbranch_execz .LBB13_234
; %bb.225:
	s_and_b64 vcc, exec, s[0:1]
	s_cbranch_vccnz .LBB13_227
; %bb.226:
	v_cmp_eq_u32_e32 vcc, 1, v0
	v_cmp_eq_u32_e64 s[8:9], 2, v0
	v_cmp_eq_u32_e64 s[10:11], 3, v0
	s_waitcnt vmcnt(1)
	v_cndmask_b32_e32 v30, v3, v5, vcc
	v_cndmask_b32_e64 v30, v30, v7, s[8:9]
	v_cndmask_b32_e64 v30, v30, v9, s[10:11]
	v_cmp_eq_u32_e64 s[12:13], 4, v0
	v_cmp_eq_u32_e64 s[14:15], 5, v0
	v_cmp_eq_u32_e64 s[16:17], 6, v0
	v_cndmask_b32_e64 v30, v30, v11, s[12:13]
	v_cndmask_b32_e64 v30, v30, v13, s[14:15]
	v_cndmask_b32_e64 v30, v30, v15, s[16:17]
	v_cmp_eq_u32_e64 s[18:19], 7, v0
	v_cmp_eq_u32_e64 s[20:21], 8, v0
	v_cmp_eq_u32_e64 s[22:23], 9, v0
	v_cndmask_b32_e64 v30, v30, v17, s[18:19]
	;; [unrolled: 6-line block ×3, first 2 shown]
	v_cndmask_b32_e64 v30, v30, v25, s[26:27]
	v_cndmask_b32_e64 v30, v30, v27, s[28:29]
	v_cmp_eq_u32_e64 s[30:31], 13, v0
	ds_read_b64 v[32:33], v95
	s_waitcnt vmcnt(0)
	v_cndmask_b32_e64 v31, v30, v29, s[30:31]
	v_cndmask_b32_e32 v30, v2, v4, vcc
	v_cndmask_b32_e64 v30, v30, v6, s[8:9]
	v_cndmask_b32_e64 v30, v30, v8, s[10:11]
	;; [unrolled: 1-line block ×12, first 2 shown]
	s_waitcnt lgkmcnt(0)
	v_mul_f64 v[30:31], v[30:31], v[32:33]
	s_cbranch_execz .LBB13_228
	s_branch .LBB13_229
.LBB13_227:
                                        ; implicit-def: $vgpr30_vgpr31
.LBB13_228:
	ds_read_b64 v[30:31], v95
.LBB13_229:
	v_cmp_ne_u32_e32 vcc, 4, v0
	s_and_saveexec_b64 s[12:13], vcc
	s_cbranch_execz .LBB13_233
; %bb.230:
	v_mov_b32_e32 v32, 0x78
	v_lshl_add_u32 v35, v0, 3, v32
	s_mov_b64 s[14:15], 0
	v_mov_b64_e32 v[32:33], v[0:1]
.LBB13_231:                             ; =>This Inner Loop Header: Depth=1
	v_lshl_add_u64 v[32:33], v[32:33], 0, 1
	v_cmp_eq_u32_e32 vcc, 1, v32
	v_cmp_eq_u32_e64 s[10:11], 2, v32
	v_cmp_lt_u32_e64 s[8:9], 3, v32
	s_waitcnt vmcnt(1)
	v_cndmask_b32_e32 v38, v3, v5, vcc
	v_cndmask_b32_e64 v38, v38, v7, s[10:11]
	v_cndmask_b32_e32 v39, v2, v4, vcc
	v_cmp_eq_u32_e32 vcc, 3, v32
	s_or_b64 s[14:15], s[8:9], s[14:15]
	v_cndmask_b32_e64 v39, v39, v6, s[10:11]
	v_cndmask_b32_e32 v38, v38, v9, vcc
	v_cmp_eq_u32_e64 s[8:9], 4, v32
	v_cndmask_b32_e32 v39, v39, v8, vcc
	v_cmp_eq_u32_e32 vcc, 5, v32
	v_cndmask_b32_e64 v38, v38, v11, s[8:9]
	v_cndmask_b32_e64 v39, v39, v10, s[8:9]
	v_cndmask_b32_e32 v38, v38, v13, vcc
	v_cmp_eq_u32_e64 s[8:9], 6, v32
	v_cndmask_b32_e32 v39, v39, v12, vcc
	v_cmp_eq_u32_e32 vcc, 7, v32
	v_cndmask_b32_e64 v38, v38, v15, s[8:9]
	;; [unrolled: 6-line block ×3, first 2 shown]
	v_cndmask_b32_e64 v39, v39, v18, s[8:9]
	v_cndmask_b32_e32 v38, v38, v21, vcc
	v_cmp_eq_u32_e64 s[8:9], 10, v32
	ds_read_b64 v[36:37], v35
	v_cndmask_b32_e32 v39, v39, v20, vcc
	v_cndmask_b32_e64 v38, v38, v23, s[8:9]
	v_cmp_eq_u32_e32 vcc, 11, v32
	v_cndmask_b32_e64 v39, v39, v22, s[8:9]
	v_cmp_eq_u32_e64 s[8:9], 12, v32
	v_cndmask_b32_e32 v38, v38, v25, vcc
	v_cndmask_b32_e32 v40, v39, v24, vcc
	v_cndmask_b32_e64 v38, v38, v27, s[8:9]
	v_cmp_eq_u32_e32 vcc, 13, v32
	v_add_u32_e32 v35, 8, v35
	s_waitcnt vmcnt(0)
	v_cndmask_b32_e32 v39, v38, v29, vcc
	v_cndmask_b32_e64 v38, v40, v26, s[8:9]
	v_cndmask_b32_e32 v38, v38, v28, vcc
	s_waitcnt lgkmcnt(0)
	v_fmac_f64_e32 v[30:31], v[38:39], v[36:37]
	s_andn2_b64 exec, exec, s[14:15]
	s_cbranch_execnz .LBB13_231
; %bb.232:
	s_or_b64 exec, exec, s[14:15]
.LBB13_233:
	s_or_b64 exec, exec, s[12:13]
	v_mov_b32_e32 v12, 0
	ds_read_b64 v[12:13], v12 offset:40
	s_waitcnt lgkmcnt(0)
	v_mul_f64 v[12:13], v[30:31], v[12:13]
.LBB13_234:
	s_or_b64 exec, exec, s[34:35]
	v_cmp_gt_u32_e32 vcc, 6, v0
	s_waitcnt vmcnt(8)
	ds_write_b64 v95, v[14:15]
	s_waitcnt lgkmcnt(0)
	; wave barrier
	s_and_saveexec_b64 s[34:35], vcc
	s_cbranch_execz .LBB13_244
; %bb.235:
	s_and_b64 vcc, exec, s[0:1]
	s_cbranch_vccnz .LBB13_237
; %bb.236:
	v_cmp_eq_u32_e32 vcc, 1, v0
	v_cmp_eq_u32_e64 s[8:9], 2, v0
	v_cmp_eq_u32_e64 s[10:11], 3, v0
	s_waitcnt vmcnt(1)
	v_cndmask_b32_e32 v30, v3, v5, vcc
	v_cndmask_b32_e64 v30, v30, v7, s[8:9]
	v_cndmask_b32_e64 v30, v30, v9, s[10:11]
	v_cmp_eq_u32_e64 s[12:13], 4, v0
	v_cmp_eq_u32_e64 s[14:15], 5, v0
	v_cmp_eq_u32_e64 s[16:17], 6, v0
	v_cndmask_b32_e64 v30, v30, v11, s[12:13]
	v_cndmask_b32_e64 v30, v30, v13, s[14:15]
	v_cndmask_b32_e64 v30, v30, v15, s[16:17]
	v_cmp_eq_u32_e64 s[18:19], 7, v0
	v_cmp_eq_u32_e64 s[20:21], 8, v0
	v_cmp_eq_u32_e64 s[22:23], 9, v0
	v_cndmask_b32_e64 v30, v30, v17, s[18:19]
	;; [unrolled: 6-line block ×3, first 2 shown]
	v_cndmask_b32_e64 v30, v30, v25, s[26:27]
	v_cndmask_b32_e64 v30, v30, v27, s[28:29]
	v_cmp_eq_u32_e64 s[30:31], 13, v0
	ds_read_b64 v[32:33], v95
	s_waitcnt vmcnt(0)
	v_cndmask_b32_e64 v31, v30, v29, s[30:31]
	v_cndmask_b32_e32 v30, v2, v4, vcc
	v_cndmask_b32_e64 v30, v30, v6, s[8:9]
	v_cndmask_b32_e64 v30, v30, v8, s[10:11]
	;; [unrolled: 1-line block ×12, first 2 shown]
	s_waitcnt lgkmcnt(0)
	v_mul_f64 v[30:31], v[30:31], v[32:33]
	s_cbranch_execz .LBB13_238
	s_branch .LBB13_239
.LBB13_237:
                                        ; implicit-def: $vgpr30_vgpr31
.LBB13_238:
	ds_read_b64 v[30:31], v95
.LBB13_239:
	v_cmp_ne_u32_e32 vcc, 5, v0
	s_and_saveexec_b64 s[12:13], vcc
	s_cbranch_execz .LBB13_243
; %bb.240:
	v_mov_b32_e32 v32, 0x78
	v_lshl_add_u32 v35, v0, 3, v32
	s_mov_b64 s[14:15], 0
	v_mov_b64_e32 v[32:33], v[0:1]
.LBB13_241:                             ; =>This Inner Loop Header: Depth=1
	v_lshl_add_u64 v[32:33], v[32:33], 0, 1
	v_cmp_eq_u32_e32 vcc, 1, v32
	v_cmp_eq_u32_e64 s[10:11], 2, v32
	v_cmp_lt_u32_e64 s[8:9], 4, v32
	s_waitcnt vmcnt(1)
	v_cndmask_b32_e32 v38, v3, v5, vcc
	v_cndmask_b32_e64 v38, v38, v7, s[10:11]
	v_cndmask_b32_e32 v39, v2, v4, vcc
	v_cmp_eq_u32_e32 vcc, 3, v32
	s_or_b64 s[14:15], s[8:9], s[14:15]
	v_cndmask_b32_e64 v39, v39, v6, s[10:11]
	v_cndmask_b32_e32 v38, v38, v9, vcc
	v_cmp_eq_u32_e64 s[8:9], 4, v32
	v_cndmask_b32_e32 v39, v39, v8, vcc
	v_cmp_eq_u32_e32 vcc, 5, v32
	v_cndmask_b32_e64 v38, v38, v11, s[8:9]
	v_cndmask_b32_e64 v39, v39, v10, s[8:9]
	v_cndmask_b32_e32 v38, v38, v13, vcc
	v_cmp_eq_u32_e64 s[8:9], 6, v32
	v_cndmask_b32_e32 v39, v39, v12, vcc
	v_cmp_eq_u32_e32 vcc, 7, v32
	v_cndmask_b32_e64 v38, v38, v15, s[8:9]
	;; [unrolled: 6-line block ×3, first 2 shown]
	v_cndmask_b32_e64 v39, v39, v18, s[8:9]
	v_cndmask_b32_e32 v38, v38, v21, vcc
	v_cmp_eq_u32_e64 s[8:9], 10, v32
	ds_read_b64 v[36:37], v35
	v_cndmask_b32_e32 v39, v39, v20, vcc
	v_cndmask_b32_e64 v38, v38, v23, s[8:9]
	v_cmp_eq_u32_e32 vcc, 11, v32
	v_cndmask_b32_e64 v39, v39, v22, s[8:9]
	v_cmp_eq_u32_e64 s[8:9], 12, v32
	v_cndmask_b32_e32 v38, v38, v25, vcc
	v_cndmask_b32_e32 v40, v39, v24, vcc
	v_cndmask_b32_e64 v38, v38, v27, s[8:9]
	v_cmp_eq_u32_e32 vcc, 13, v32
	v_add_u32_e32 v35, 8, v35
	s_waitcnt vmcnt(0)
	v_cndmask_b32_e32 v39, v38, v29, vcc
	v_cndmask_b32_e64 v38, v40, v26, s[8:9]
	v_cndmask_b32_e32 v38, v38, v28, vcc
	s_waitcnt lgkmcnt(0)
	v_fmac_f64_e32 v[30:31], v[38:39], v[36:37]
	s_andn2_b64 exec, exec, s[14:15]
	s_cbranch_execnz .LBB13_241
; %bb.242:
	s_or_b64 exec, exec, s[14:15]
.LBB13_243:
	s_or_b64 exec, exec, s[12:13]
	v_mov_b32_e32 v14, 0
	ds_read_b64 v[14:15], v14 offset:48
	s_waitcnt lgkmcnt(0)
	v_mul_f64 v[14:15], v[30:31], v[14:15]
.LBB13_244:
	s_or_b64 exec, exec, s[34:35]
	v_cmp_gt_u32_e64 s[8:9], 7, v0
	s_waitcnt vmcnt(7)
	ds_write_b64 v95, v[16:17]
	s_waitcnt lgkmcnt(0)
	; wave barrier
	s_and_saveexec_b64 s[36:37], s[8:9]
	s_cbranch_execz .LBB13_254
; %bb.245:
	s_and_b64 vcc, exec, s[0:1]
	s_cbranch_vccnz .LBB13_247
; %bb.246:
	v_cmp_eq_u32_e32 vcc, 1, v0
	v_cmp_eq_u32_e64 s[10:11], 2, v0
	v_cmp_eq_u32_e64 s[12:13], 3, v0
	s_waitcnt vmcnt(1)
	v_cndmask_b32_e32 v30, v3, v5, vcc
	v_cndmask_b32_e64 v30, v30, v7, s[10:11]
	v_cndmask_b32_e64 v30, v30, v9, s[12:13]
	v_cmp_eq_u32_e64 s[14:15], 4, v0
	v_cmp_eq_u32_e64 s[16:17], 5, v0
	v_cmp_eq_u32_e64 s[18:19], 6, v0
	v_cndmask_b32_e64 v30, v30, v11, s[14:15]
	v_cndmask_b32_e64 v30, v30, v13, s[16:17]
	v_cndmask_b32_e64 v30, v30, v15, s[18:19]
	v_cmp_eq_u32_e64 s[20:21], 7, v0
	v_cmp_eq_u32_e64 s[22:23], 8, v0
	v_cmp_eq_u32_e64 s[24:25], 9, v0
	v_cndmask_b32_e64 v30, v30, v17, s[20:21]
	;; [unrolled: 6-line block ×3, first 2 shown]
	v_cndmask_b32_e64 v30, v30, v25, s[28:29]
	v_cndmask_b32_e64 v30, v30, v27, s[30:31]
	v_cmp_eq_u32_e64 s[34:35], 13, v0
	ds_read_b64 v[32:33], v95
	s_waitcnt vmcnt(0)
	v_cndmask_b32_e64 v31, v30, v29, s[34:35]
	v_cndmask_b32_e32 v30, v2, v4, vcc
	v_cndmask_b32_e64 v30, v30, v6, s[10:11]
	v_cndmask_b32_e64 v30, v30, v8, s[12:13]
	;; [unrolled: 1-line block ×12, first 2 shown]
	s_waitcnt lgkmcnt(0)
	v_mul_f64 v[30:31], v[30:31], v[32:33]
	s_cbranch_execz .LBB13_248
	s_branch .LBB13_249
.LBB13_247:
                                        ; implicit-def: $vgpr30_vgpr31
.LBB13_248:
	ds_read_b64 v[30:31], v95
.LBB13_249:
	v_cmp_ne_u32_e32 vcc, 6, v0
	s_and_saveexec_b64 s[14:15], vcc
	s_cbranch_execz .LBB13_253
; %bb.250:
	v_mov_b32_e32 v32, 0x78
	v_lshl_add_u32 v35, v0, 3, v32
	s_mov_b64 s[16:17], 0
	v_mov_b64_e32 v[32:33], v[0:1]
.LBB13_251:                             ; =>This Inner Loop Header: Depth=1
	v_lshl_add_u64 v[32:33], v[32:33], 0, 1
	v_cmp_eq_u32_e32 vcc, 1, v32
	v_cmp_eq_u32_e64 s[12:13], 2, v32
	v_cmp_lt_u32_e64 s[10:11], 5, v32
	s_waitcnt vmcnt(1)
	v_cndmask_b32_e32 v38, v3, v5, vcc
	v_cndmask_b32_e64 v38, v38, v7, s[12:13]
	v_cndmask_b32_e32 v39, v2, v4, vcc
	v_cmp_eq_u32_e32 vcc, 3, v32
	s_or_b64 s[16:17], s[10:11], s[16:17]
	v_cndmask_b32_e64 v39, v39, v6, s[12:13]
	v_cndmask_b32_e32 v38, v38, v9, vcc
	v_cmp_eq_u32_e64 s[10:11], 4, v32
	v_cndmask_b32_e32 v39, v39, v8, vcc
	v_cmp_eq_u32_e32 vcc, 5, v32
	v_cndmask_b32_e64 v38, v38, v11, s[10:11]
	v_cndmask_b32_e64 v39, v39, v10, s[10:11]
	v_cndmask_b32_e32 v38, v38, v13, vcc
	v_cmp_eq_u32_e64 s[10:11], 6, v32
	v_cndmask_b32_e32 v39, v39, v12, vcc
	v_cmp_eq_u32_e32 vcc, 7, v32
	v_cndmask_b32_e64 v38, v38, v15, s[10:11]
	;; [unrolled: 6-line block ×3, first 2 shown]
	v_cndmask_b32_e64 v39, v39, v18, s[10:11]
	v_cndmask_b32_e32 v38, v38, v21, vcc
	v_cmp_eq_u32_e64 s[10:11], 10, v32
	ds_read_b64 v[36:37], v35
	v_cndmask_b32_e32 v39, v39, v20, vcc
	v_cndmask_b32_e64 v38, v38, v23, s[10:11]
	v_cmp_eq_u32_e32 vcc, 11, v32
	v_cndmask_b32_e64 v39, v39, v22, s[10:11]
	v_cmp_eq_u32_e64 s[10:11], 12, v32
	v_cndmask_b32_e32 v38, v38, v25, vcc
	v_cndmask_b32_e32 v40, v39, v24, vcc
	v_cndmask_b32_e64 v38, v38, v27, s[10:11]
	v_cmp_eq_u32_e32 vcc, 13, v32
	v_add_u32_e32 v35, 8, v35
	s_waitcnt vmcnt(0)
	v_cndmask_b32_e32 v39, v38, v29, vcc
	v_cndmask_b32_e64 v38, v40, v26, s[10:11]
	v_cndmask_b32_e32 v38, v38, v28, vcc
	s_waitcnt lgkmcnt(0)
	v_fmac_f64_e32 v[30:31], v[38:39], v[36:37]
	s_andn2_b64 exec, exec, s[16:17]
	s_cbranch_execnz .LBB13_251
; %bb.252:
	s_or_b64 exec, exec, s[16:17]
.LBB13_253:
	s_or_b64 exec, exec, s[14:15]
	v_mov_b32_e32 v16, 0
	ds_read_b64 v[16:17], v16 offset:56
	s_waitcnt lgkmcnt(0)
	v_mul_f64 v[16:17], v[30:31], v[16:17]
.LBB13_254:
	s_or_b64 exec, exec, s[36:37]
	v_cmp_gt_u32_e32 vcc, 8, v0
	s_waitcnt vmcnt(6)
	ds_write_b64 v95, v[18:19]
	s_waitcnt lgkmcnt(0)
	; wave barrier
	s_and_saveexec_b64 s[36:37], vcc
	s_cbranch_execz .LBB13_264
; %bb.255:
	s_and_b64 vcc, exec, s[0:1]
	s_cbranch_vccnz .LBB13_257
; %bb.256:
	v_cmp_eq_u32_e32 vcc, 1, v0
	v_cmp_eq_u32_e64 s[10:11], 2, v0
	v_cmp_eq_u32_e64 s[12:13], 3, v0
	s_waitcnt vmcnt(1)
	v_cndmask_b32_e32 v30, v3, v5, vcc
	v_cndmask_b32_e64 v30, v30, v7, s[10:11]
	v_cndmask_b32_e64 v30, v30, v9, s[12:13]
	v_cmp_eq_u32_e64 s[14:15], 4, v0
	v_cmp_eq_u32_e64 s[16:17], 5, v0
	v_cmp_eq_u32_e64 s[18:19], 6, v0
	v_cndmask_b32_e64 v30, v30, v11, s[14:15]
	v_cndmask_b32_e64 v30, v30, v13, s[16:17]
	v_cndmask_b32_e64 v30, v30, v15, s[18:19]
	v_cmp_eq_u32_e64 s[20:21], 7, v0
	v_cmp_eq_u32_e64 s[22:23], 8, v0
	v_cmp_eq_u32_e64 s[24:25], 9, v0
	v_cndmask_b32_e64 v30, v30, v17, s[20:21]
	;; [unrolled: 6-line block ×3, first 2 shown]
	v_cndmask_b32_e64 v30, v30, v25, s[28:29]
	v_cndmask_b32_e64 v30, v30, v27, s[30:31]
	v_cmp_eq_u32_e64 s[34:35], 13, v0
	ds_read_b64 v[32:33], v95
	s_waitcnt vmcnt(0)
	v_cndmask_b32_e64 v31, v30, v29, s[34:35]
	v_cndmask_b32_e32 v30, v2, v4, vcc
	v_cndmask_b32_e64 v30, v30, v6, s[10:11]
	v_cndmask_b32_e64 v30, v30, v8, s[12:13]
	v_cndmask_b32_e64 v30, v30, v10, s[14:15]
	v_cndmask_b32_e64 v30, v30, v12, s[16:17]
	v_cndmask_b32_e64 v30, v30, v14, s[18:19]
	v_cndmask_b32_e64 v30, v30, v16, s[20:21]
	v_cndmask_b32_e64 v30, v30, v18, s[22:23]
	v_cndmask_b32_e64 v30, v30, v20, s[24:25]
	v_cndmask_b32_e64 v30, v30, v22, s[26:27]
	v_cndmask_b32_e64 v30, v30, v24, s[28:29]
	v_cndmask_b32_e64 v30, v30, v26, s[30:31]
	v_cndmask_b32_e64 v30, v30, v28, s[34:35]
	s_waitcnt lgkmcnt(0)
	v_mul_f64 v[30:31], v[30:31], v[32:33]
	s_cbranch_execz .LBB13_258
	s_branch .LBB13_259
.LBB13_257:
                                        ; implicit-def: $vgpr30_vgpr31
.LBB13_258:
	ds_read_b64 v[30:31], v95
.LBB13_259:
	v_cmp_ne_u32_e32 vcc, 7, v0
	s_and_saveexec_b64 s[14:15], vcc
	s_cbranch_execz .LBB13_263
; %bb.260:
	v_mov_b32_e32 v32, 0x78
	v_lshl_add_u32 v35, v0, 3, v32
	s_mov_b64 s[16:17], 0
	v_mov_b64_e32 v[32:33], v[0:1]
.LBB13_261:                             ; =>This Inner Loop Header: Depth=1
	v_lshl_add_u64 v[32:33], v[32:33], 0, 1
	v_cmp_eq_u32_e32 vcc, 1, v32
	v_cmp_eq_u32_e64 s[12:13], 2, v32
	v_cmp_lt_u32_e64 s[10:11], 6, v32
	s_waitcnt vmcnt(1)
	v_cndmask_b32_e32 v38, v3, v5, vcc
	v_cndmask_b32_e64 v38, v38, v7, s[12:13]
	v_cndmask_b32_e32 v39, v2, v4, vcc
	v_cmp_eq_u32_e32 vcc, 3, v32
	s_or_b64 s[16:17], s[10:11], s[16:17]
	v_cndmask_b32_e64 v39, v39, v6, s[12:13]
	v_cndmask_b32_e32 v38, v38, v9, vcc
	v_cmp_eq_u32_e64 s[10:11], 4, v32
	v_cndmask_b32_e32 v39, v39, v8, vcc
	v_cmp_eq_u32_e32 vcc, 5, v32
	v_cndmask_b32_e64 v38, v38, v11, s[10:11]
	v_cndmask_b32_e64 v39, v39, v10, s[10:11]
	v_cndmask_b32_e32 v38, v38, v13, vcc
	v_cmp_eq_u32_e64 s[10:11], 6, v32
	v_cndmask_b32_e32 v39, v39, v12, vcc
	v_cmp_eq_u32_e32 vcc, 7, v32
	v_cndmask_b32_e64 v38, v38, v15, s[10:11]
	;; [unrolled: 6-line block ×3, first 2 shown]
	v_cndmask_b32_e64 v39, v39, v18, s[10:11]
	v_cndmask_b32_e32 v38, v38, v21, vcc
	v_cmp_eq_u32_e64 s[10:11], 10, v32
	ds_read_b64 v[36:37], v35
	v_cndmask_b32_e32 v39, v39, v20, vcc
	v_cndmask_b32_e64 v38, v38, v23, s[10:11]
	v_cmp_eq_u32_e32 vcc, 11, v32
	v_cndmask_b32_e64 v39, v39, v22, s[10:11]
	v_cmp_eq_u32_e64 s[10:11], 12, v32
	v_cndmask_b32_e32 v38, v38, v25, vcc
	v_cndmask_b32_e32 v40, v39, v24, vcc
	v_cndmask_b32_e64 v38, v38, v27, s[10:11]
	v_cmp_eq_u32_e32 vcc, 13, v32
	v_add_u32_e32 v35, 8, v35
	s_waitcnt vmcnt(0)
	v_cndmask_b32_e32 v39, v38, v29, vcc
	v_cndmask_b32_e64 v38, v40, v26, s[10:11]
	v_cndmask_b32_e32 v38, v38, v28, vcc
	s_waitcnt lgkmcnt(0)
	v_fmac_f64_e32 v[30:31], v[38:39], v[36:37]
	s_andn2_b64 exec, exec, s[16:17]
	s_cbranch_execnz .LBB13_261
; %bb.262:
	s_or_b64 exec, exec, s[16:17]
.LBB13_263:
	s_or_b64 exec, exec, s[14:15]
	v_mov_b32_e32 v18, 0
	ds_read_b64 v[18:19], v18 offset:64
	s_waitcnt lgkmcnt(0)
	v_mul_f64 v[18:19], v[30:31], v[18:19]
.LBB13_264:
	s_or_b64 exec, exec, s[36:37]
	v_cmp_gt_u32_e32 vcc, 9, v0
	s_waitcnt vmcnt(5)
	ds_write_b64 v95, v[20:21]
	s_waitcnt lgkmcnt(0)
	; wave barrier
	s_and_saveexec_b64 s[36:37], vcc
	s_cbranch_execz .LBB13_286
; %bb.265:
	s_and_b64 vcc, exec, s[0:1]
	s_cbranch_vccnz .LBB13_267
; %bb.266:
	v_cmp_eq_u32_e32 vcc, 1, v0
	v_cmp_eq_u32_e64 s[10:11], 2, v0
	v_cmp_eq_u32_e64 s[12:13], 3, v0
	s_waitcnt vmcnt(1)
	v_cndmask_b32_e32 v30, v3, v5, vcc
	v_cndmask_b32_e64 v30, v30, v7, s[10:11]
	v_cndmask_b32_e64 v30, v30, v9, s[12:13]
	v_cmp_eq_u32_e64 s[14:15], 4, v0
	v_cmp_eq_u32_e64 s[16:17], 5, v0
	v_cmp_eq_u32_e64 s[18:19], 6, v0
	v_cndmask_b32_e64 v30, v30, v11, s[14:15]
	v_cndmask_b32_e64 v30, v30, v13, s[16:17]
	v_cndmask_b32_e64 v30, v30, v15, s[18:19]
	v_cmp_eq_u32_e64 s[20:21], 7, v0
	v_cmp_eq_u32_e64 s[22:23], 8, v0
	v_cmp_eq_u32_e64 s[24:25], 9, v0
	v_cndmask_b32_e64 v30, v30, v17, s[20:21]
	;; [unrolled: 6-line block ×3, first 2 shown]
	v_cndmask_b32_e64 v30, v30, v25, s[28:29]
	v_cndmask_b32_e64 v30, v30, v27, s[30:31]
	v_cmp_eq_u32_e64 s[34:35], 13, v0
	ds_read_b64 v[32:33], v95
	s_waitcnt vmcnt(0)
	v_cndmask_b32_e64 v31, v30, v29, s[34:35]
	v_cndmask_b32_e32 v30, v2, v4, vcc
	v_cndmask_b32_e64 v30, v30, v6, s[10:11]
	v_cndmask_b32_e64 v30, v30, v8, s[12:13]
	;; [unrolled: 1-line block ×12, first 2 shown]
	s_waitcnt lgkmcnt(0)
	v_mul_f64 v[30:31], v[30:31], v[32:33]
	s_cbranch_execz .LBB13_268
	s_branch .LBB13_269
.LBB13_267:
                                        ; implicit-def: $vgpr30_vgpr31
.LBB13_268:
	ds_read_b64 v[30:31], v95
.LBB13_269:
	v_cmp_ne_u32_e32 vcc, 8, v0
	s_and_saveexec_b64 s[38:39], vcc
	s_cbranch_execz .LBB13_285
; %bb.270:
	v_cmp_eq_u32_e32 vcc, 1, v34
	v_cmp_eq_u32_e64 s[10:11], 2, v34
	v_cmp_eq_u32_e64 s[12:13], 3, v34
	s_waitcnt vmcnt(1)
	v_cndmask_b32_e32 v32, v3, v5, vcc
	v_cndmask_b32_e64 v32, v32, v7, s[10:11]
	v_cndmask_b32_e64 v32, v32, v9, s[12:13]
	v_cmp_eq_u32_e64 s[14:15], 4, v34
	v_cmp_eq_u32_e64 s[16:17], 5, v34
	v_cmp_eq_u32_e64 s[18:19], 6, v34
	v_cndmask_b32_e64 v32, v32, v11, s[14:15]
	v_cndmask_b32_e64 v32, v32, v13, s[16:17]
	v_cndmask_b32_e64 v32, v32, v15, s[18:19]
	v_cmp_eq_u32_e64 s[20:21], 7, v34
	v_cmp_eq_u32_e64 s[22:23], 8, v34
	v_cmp_eq_u32_e64 s[24:25], 9, v34
	v_cndmask_b32_e64 v32, v32, v17, s[20:21]
	;; [unrolled: 6-line block ×3, first 2 shown]
	v_cndmask_b32_e64 v32, v32, v25, s[28:29]
	v_cndmask_b32_e64 v32, v32, v27, s[30:31]
	v_cmp_eq_u32_e64 s[34:35], 13, v34
	ds_read_b64 v[34:35], v95 offset:8
	s_waitcnt vmcnt(0)
	v_cndmask_b32_e64 v33, v32, v29, s[34:35]
	v_cndmask_b32_e32 v32, v2, v4, vcc
	v_cndmask_b32_e64 v32, v32, v6, s[10:11]
	v_cndmask_b32_e64 v32, v32, v8, s[12:13]
	;; [unrolled: 1-line block ×12, first 2 shown]
	s_waitcnt lgkmcnt(0)
	v_fmac_f64_e32 v[30:31], v[32:33], v[34:35]
	s_and_saveexec_b64 s[34:35], s[8:9]
	s_cbranch_execz .LBB13_284
; %bb.271:
	v_add_u32_e32 v32, 2, v0
	v_cmp_eq_u32_e32 vcc, 1, v32
	v_cmp_eq_u32_e64 s[8:9], 2, v32
	v_cmp_eq_u32_e64 s[10:11], 3, v32
	v_cndmask_b32_e32 v33, v3, v5, vcc
	v_cmp_eq_u32_e64 s[12:13], 4, v32
	v_cmp_eq_u32_e64 s[14:15], 5, v32
	;; [unrolled: 1-line block ×10, first 2 shown]
	v_cndmask_b32_e32 v32, v2, v4, vcc
	v_cndmask_b32_e64 v33, v33, v7, s[8:9]
	v_cndmask_b32_e64 v32, v32, v6, s[8:9]
	v_cndmask_b32_e64 v33, v33, v9, s[10:11]
	v_cndmask_b32_e64 v32, v32, v8, s[10:11]
	v_cndmask_b32_e64 v33, v33, v11, s[12:13]
	v_cndmask_b32_e64 v32, v32, v10, s[12:13]
	v_cndmask_b32_e64 v33, v33, v13, s[14:15]
	v_cndmask_b32_e64 v32, v32, v12, s[14:15]
	v_cndmask_b32_e64 v33, v33, v15, s[16:17]
	v_cndmask_b32_e64 v32, v32, v14, s[16:17]
	v_cndmask_b32_e64 v33, v33, v17, s[18:19]
	v_cndmask_b32_e64 v32, v32, v16, s[18:19]
	v_cndmask_b32_e64 v33, v33, v19, s[20:21]
	v_cndmask_b32_e64 v32, v32, v18, s[20:21]
	v_cndmask_b32_e64 v33, v33, v21, s[22:23]
	v_cndmask_b32_e64 v32, v32, v20, s[22:23]
	ds_read_b64 v[34:35], v95 offset:16
	v_cndmask_b32_e64 v33, v33, v23, s[24:25]
	v_cndmask_b32_e64 v32, v32, v22, s[24:25]
	;; [unrolled: 1-line block ×8, first 2 shown]
	s_waitcnt lgkmcnt(0)
	v_fmac_f64_e32 v[30:31], v[32:33], v[34:35]
	v_cmp_ne_u32_e32 vcc, 6, v0
	s_and_saveexec_b64 s[40:41], vcc
	s_cbranch_execz .LBB13_283
; %bb.272:
	v_add_u32_e32 v32, 3, v0
	v_cmp_eq_u32_e32 vcc, 1, v32
	v_cmp_eq_u32_e64 s[8:9], 2, v32
	v_cmp_eq_u32_e64 s[10:11], 3, v32
	v_cndmask_b32_e32 v33, v3, v5, vcc
	v_cmp_eq_u32_e64 s[12:13], 4, v32
	v_cmp_eq_u32_e64 s[14:15], 5, v32
	;; [unrolled: 1-line block ×10, first 2 shown]
	v_cndmask_b32_e32 v32, v2, v4, vcc
	v_cndmask_b32_e64 v33, v33, v7, s[8:9]
	v_cndmask_b32_e64 v32, v32, v6, s[8:9]
	;; [unrolled: 1-line block ×16, first 2 shown]
	ds_read_b64 v[34:35], v95 offset:24
	v_cndmask_b32_e64 v33, v33, v23, s[24:25]
	v_cndmask_b32_e64 v32, v32, v22, s[24:25]
	;; [unrolled: 1-line block ×8, first 2 shown]
	s_waitcnt lgkmcnt(0)
	v_fmac_f64_e32 v[30:31], v[32:33], v[34:35]
	s_and_saveexec_b64 s[30:31], s[6:7]
	s_cbranch_execz .LBB13_282
; %bb.273:
	v_add_u32_e32 v32, 4, v0
	v_cmp_eq_u32_e32 vcc, 1, v32
	v_cmp_eq_u32_e64 s[6:7], 2, v32
	v_cmp_eq_u32_e64 s[8:9], 3, v32
	v_cndmask_b32_e32 v33, v3, v5, vcc
	v_cmp_eq_u32_e64 s[10:11], 4, v32
	v_cmp_eq_u32_e64 s[12:13], 5, v32
	;; [unrolled: 1-line block ×10, first 2 shown]
	v_cndmask_b32_e32 v32, v2, v4, vcc
	v_cndmask_b32_e64 v33, v33, v7, s[6:7]
	v_cndmask_b32_e64 v32, v32, v6, s[6:7]
	;; [unrolled: 1-line block ×16, first 2 shown]
	ds_read_b64 v[34:35], v95 offset:32
	v_cndmask_b32_e64 v33, v33, v23, s[22:23]
	v_cndmask_b32_e64 v32, v32, v22, s[22:23]
	;; [unrolled: 1-line block ×8, first 2 shown]
	s_waitcnt lgkmcnt(0)
	v_fmac_f64_e32 v[30:31], v[32:33], v[34:35]
	v_cmp_ne_u32_e32 vcc, 4, v0
	s_and_saveexec_b64 s[42:43], vcc
	s_cbranch_execz .LBB13_281
; %bb.274:
	v_add_u32_e32 v32, 5, v0
	v_cmp_eq_u32_e32 vcc, 1, v32
	v_cmp_eq_u32_e64 s[6:7], 2, v32
	v_cmp_eq_u32_e64 s[8:9], 3, v32
	v_cndmask_b32_e32 v33, v3, v5, vcc
	v_cmp_eq_u32_e64 s[10:11], 4, v32
	v_cmp_eq_u32_e64 s[12:13], 5, v32
	;; [unrolled: 1-line block ×10, first 2 shown]
	v_cndmask_b32_e32 v32, v2, v4, vcc
	v_cndmask_b32_e64 v33, v33, v7, s[6:7]
	v_cndmask_b32_e64 v32, v32, v6, s[6:7]
	;; [unrolled: 1-line block ×16, first 2 shown]
	ds_read_b64 v[34:35], v95 offset:40
	v_cndmask_b32_e64 v33, v33, v23, s[22:23]
	v_cndmask_b32_e64 v32, v32, v22, s[22:23]
	;; [unrolled: 1-line block ×8, first 2 shown]
	s_waitcnt lgkmcnt(0)
	v_fmac_f64_e32 v[30:31], v[32:33], v[34:35]
	s_and_saveexec_b64 s[28:29], s[4:5]
	s_cbranch_execz .LBB13_280
; %bb.275:
	v_add_u32_e32 v32, 6, v0
	v_cmp_eq_u32_e32 vcc, 1, v32
	v_cmp_eq_u32_e64 s[4:5], 2, v32
	v_cmp_eq_u32_e64 s[6:7], 3, v32
	v_cndmask_b32_e32 v33, v3, v5, vcc
	v_cmp_eq_u32_e64 s[8:9], 4, v32
	v_cmp_eq_u32_e64 s[10:11], 5, v32
	;; [unrolled: 1-line block ×10, first 2 shown]
	v_cndmask_b32_e32 v32, v2, v4, vcc
	v_cndmask_b32_e64 v33, v33, v7, s[4:5]
	v_cndmask_b32_e64 v32, v32, v6, s[4:5]
	;; [unrolled: 1-line block ×16, first 2 shown]
	ds_read_b64 v[34:35], v95 offset:48
	v_cndmask_b32_e64 v33, v33, v23, s[20:21]
	v_cndmask_b32_e64 v32, v32, v22, s[20:21]
	;; [unrolled: 1-line block ×8, first 2 shown]
	s_waitcnt lgkmcnt(0)
	v_fmac_f64_e32 v[30:31], v[32:33], v[34:35]
	v_cmp_ne_u32_e32 vcc, 2, v0
	s_and_saveexec_b64 s[44:45], vcc
	s_cbranch_execz .LBB13_279
; %bb.276:
	v_add_u32_e32 v32, 7, v0
	v_cmp_eq_u32_e32 vcc, 1, v32
	v_cmp_eq_u32_e64 s[4:5], 2, v32
	v_cmp_eq_u32_e64 s[6:7], 3, v32
	v_cndmask_b32_e32 v33, v3, v5, vcc
	v_cmp_eq_u32_e64 s[8:9], 4, v32
	v_cmp_eq_u32_e64 s[10:11], 5, v32
	;; [unrolled: 1-line block ×10, first 2 shown]
	v_cndmask_b32_e32 v32, v2, v4, vcc
	v_cndmask_b32_e64 v33, v33, v7, s[4:5]
	v_cndmask_b32_e64 v32, v32, v6, s[4:5]
	;; [unrolled: 1-line block ×16, first 2 shown]
	ds_read_b64 v[32:33], v95 offset:56
	v_cndmask_b32_e64 v21, v21, v23, s[20:21]
	v_cndmask_b32_e64 v20, v20, v22, s[20:21]
	;; [unrolled: 1-line block ×8, first 2 shown]
	s_waitcnt lgkmcnt(0)
	v_fmac_f64_e32 v[30:31], v[20:21], v[32:33]
	s_and_saveexec_b64 s[4:5], s[2:3]
	s_cbranch_execz .LBB13_278
; %bb.277:
	ds_read_b64 v[20:21], v95 offset:64
	s_waitcnt lgkmcnt(0)
	v_fmac_f64_e32 v[30:31], v[18:19], v[20:21]
.LBB13_278:
	s_or_b64 exec, exec, s[4:5]
.LBB13_279:
	s_or_b64 exec, exec, s[44:45]
.LBB13_280:
	s_or_b64 exec, exec, s[28:29]
.LBB13_281:
	s_or_b64 exec, exec, s[42:43]
.LBB13_282:
	s_or_b64 exec, exec, s[30:31]
.LBB13_283:
	s_or_b64 exec, exec, s[40:41]
.LBB13_284:
	s_or_b64 exec, exec, s[34:35]
.LBB13_285:
	s_or_b64 exec, exec, s[38:39]
	v_mov_b32_e32 v20, 0
	ds_read_b64 v[20:21], v20 offset:72
	s_waitcnt lgkmcnt(0)
	v_mul_f64 v[20:21], v[30:31], v[20:21]
.LBB13_286:
	s_or_b64 exec, exec, s[36:37]
	v_cmp_gt_u32_e32 vcc, 10, v0
	s_waitcnt vmcnt(4)
	ds_write_b64 v95, v[22:23]
	s_waitcnt lgkmcnt(0)
	; wave barrier
	s_and_saveexec_b64 s[26:27], vcc
	s_cbranch_execz .LBB13_296
; %bb.287:
	s_and_b64 vcc, exec, s[0:1]
	s_cbranch_vccnz .LBB13_289
; %bb.288:
	v_cmp_eq_u32_e32 vcc, 1, v0
	v_cmp_eq_u32_e64 s[2:3], 2, v0
	v_cmp_eq_u32_e64 s[4:5], 3, v0
	s_waitcnt vmcnt(1)
	v_cndmask_b32_e32 v30, v3, v5, vcc
	v_cndmask_b32_e64 v30, v30, v7, s[2:3]
	v_cndmask_b32_e64 v30, v30, v9, s[4:5]
	v_cmp_eq_u32_e64 s[6:7], 4, v0
	v_cmp_eq_u32_e64 s[8:9], 5, v0
	v_cmp_eq_u32_e64 s[10:11], 6, v0
	v_cndmask_b32_e64 v30, v30, v11, s[6:7]
	v_cndmask_b32_e64 v30, v30, v13, s[8:9]
	v_cndmask_b32_e64 v30, v30, v15, s[10:11]
	v_cmp_eq_u32_e64 s[12:13], 7, v0
	v_cmp_eq_u32_e64 s[14:15], 8, v0
	v_cmp_eq_u32_e64 s[16:17], 9, v0
	v_cndmask_b32_e64 v30, v30, v17, s[12:13]
	;; [unrolled: 6-line block ×3, first 2 shown]
	v_cndmask_b32_e64 v30, v30, v25, s[20:21]
	v_cndmask_b32_e64 v30, v30, v27, s[22:23]
	v_cmp_eq_u32_e64 s[24:25], 13, v0
	ds_read_b64 v[32:33], v95
	s_waitcnt vmcnt(0)
	v_cndmask_b32_e64 v31, v30, v29, s[24:25]
	v_cndmask_b32_e32 v30, v2, v4, vcc
	v_cndmask_b32_e64 v30, v30, v6, s[2:3]
	v_cndmask_b32_e64 v30, v30, v8, s[4:5]
	;; [unrolled: 1-line block ×12, first 2 shown]
	s_waitcnt lgkmcnt(0)
	v_mul_f64 v[30:31], v[30:31], v[32:33]
	s_cbranch_execz .LBB13_290
	s_branch .LBB13_291
.LBB13_289:
                                        ; implicit-def: $vgpr30_vgpr31
.LBB13_290:
	ds_read_b64 v[30:31], v95
.LBB13_291:
	v_cmp_ne_u32_e32 vcc, 9, v0
	s_and_saveexec_b64 s[6:7], vcc
	s_cbranch_execz .LBB13_295
; %bb.292:
	v_mov_b32_e32 v32, 0x78
	v_lshl_add_u32 v34, v0, 3, v32
	s_mov_b64 s[8:9], 0
	v_mov_b64_e32 v[32:33], v[0:1]
.LBB13_293:                             ; =>This Inner Loop Header: Depth=1
	v_lshl_add_u64 v[32:33], v[32:33], 0, 1
	v_cmp_eq_u32_e32 vcc, 1, v32
	v_cmp_eq_u32_e64 s[4:5], 2, v32
	v_cmp_lt_u32_e64 s[2:3], 8, v32
	s_waitcnt vmcnt(1)
	v_cndmask_b32_e32 v35, v3, v5, vcc
	v_cndmask_b32_e64 v35, v35, v7, s[4:5]
	v_cndmask_b32_e32 v38, v2, v4, vcc
	v_cmp_eq_u32_e32 vcc, 3, v32
	s_or_b64 s[8:9], s[2:3], s[8:9]
	v_cndmask_b32_e64 v38, v38, v6, s[4:5]
	v_cndmask_b32_e32 v35, v35, v9, vcc
	v_cmp_eq_u32_e64 s[2:3], 4, v32
	v_cndmask_b32_e32 v38, v38, v8, vcc
	v_cmp_eq_u32_e32 vcc, 5, v32
	v_cndmask_b32_e64 v35, v35, v11, s[2:3]
	v_cndmask_b32_e64 v38, v38, v10, s[2:3]
	v_cndmask_b32_e32 v35, v35, v13, vcc
	v_cmp_eq_u32_e64 s[2:3], 6, v32
	v_cndmask_b32_e32 v38, v38, v12, vcc
	v_cmp_eq_u32_e32 vcc, 7, v32
	v_cndmask_b32_e64 v35, v35, v15, s[2:3]
	;; [unrolled: 6-line block ×3, first 2 shown]
	v_cndmask_b32_e64 v38, v38, v18, s[2:3]
	v_cndmask_b32_e32 v35, v35, v21, vcc
	v_cmp_eq_u32_e64 s[2:3], 10, v32
	ds_read_b64 v[36:37], v34
	v_cndmask_b32_e32 v38, v38, v20, vcc
	v_cndmask_b32_e64 v35, v35, v23, s[2:3]
	v_cmp_eq_u32_e32 vcc, 11, v32
	v_cndmask_b32_e64 v38, v38, v22, s[2:3]
	v_cmp_eq_u32_e64 s[2:3], 12, v32
	v_cndmask_b32_e32 v35, v35, v25, vcc
	v_cndmask_b32_e32 v38, v38, v24, vcc
	v_cndmask_b32_e64 v35, v35, v27, s[2:3]
	v_cmp_eq_u32_e32 vcc, 13, v32
	v_add_u32_e32 v34, 8, v34
	s_waitcnt vmcnt(0)
	v_cndmask_b32_e32 v39, v35, v29, vcc
	v_cndmask_b32_e64 v35, v38, v26, s[2:3]
	v_cndmask_b32_e32 v38, v35, v28, vcc
	s_waitcnt lgkmcnt(0)
	v_fmac_f64_e32 v[30:31], v[38:39], v[36:37]
	s_andn2_b64 exec, exec, s[8:9]
	s_cbranch_execnz .LBB13_293
; %bb.294:
	s_or_b64 exec, exec, s[8:9]
.LBB13_295:
	s_or_b64 exec, exec, s[6:7]
	v_mov_b32_e32 v22, 0
	ds_read_b64 v[22:23], v22 offset:80
	s_waitcnt lgkmcnt(0)
	v_mul_f64 v[22:23], v[30:31], v[22:23]
.LBB13_296:
	s_or_b64 exec, exec, s[26:27]
	v_cmp_gt_u32_e32 vcc, 11, v0
	s_waitcnt vmcnt(3)
	ds_write_b64 v95, v[24:25]
	s_waitcnt lgkmcnt(0)
	; wave barrier
	s_and_saveexec_b64 s[26:27], vcc
	s_cbranch_execz .LBB13_306
; %bb.297:
	s_and_b64 vcc, exec, s[0:1]
	s_cbranch_vccnz .LBB13_299
; %bb.298:
	v_cmp_eq_u32_e32 vcc, 1, v0
	v_cmp_eq_u32_e64 s[2:3], 2, v0
	v_cmp_eq_u32_e64 s[4:5], 3, v0
	s_waitcnt vmcnt(1)
	v_cndmask_b32_e32 v30, v3, v5, vcc
	v_cndmask_b32_e64 v30, v30, v7, s[2:3]
	v_cndmask_b32_e64 v30, v30, v9, s[4:5]
	v_cmp_eq_u32_e64 s[6:7], 4, v0
	v_cmp_eq_u32_e64 s[8:9], 5, v0
	v_cmp_eq_u32_e64 s[10:11], 6, v0
	v_cndmask_b32_e64 v30, v30, v11, s[6:7]
	v_cndmask_b32_e64 v30, v30, v13, s[8:9]
	v_cndmask_b32_e64 v30, v30, v15, s[10:11]
	v_cmp_eq_u32_e64 s[12:13], 7, v0
	v_cmp_eq_u32_e64 s[14:15], 8, v0
	v_cmp_eq_u32_e64 s[16:17], 9, v0
	v_cndmask_b32_e64 v30, v30, v17, s[12:13]
	;; [unrolled: 6-line block ×3, first 2 shown]
	v_cndmask_b32_e64 v30, v30, v25, s[20:21]
	v_cndmask_b32_e64 v30, v30, v27, s[22:23]
	v_cmp_eq_u32_e64 s[24:25], 13, v0
	ds_read_b64 v[32:33], v95
	s_waitcnt vmcnt(0)
	v_cndmask_b32_e64 v31, v30, v29, s[24:25]
	v_cndmask_b32_e32 v30, v2, v4, vcc
	v_cndmask_b32_e64 v30, v30, v6, s[2:3]
	v_cndmask_b32_e64 v30, v30, v8, s[4:5]
	;; [unrolled: 1-line block ×12, first 2 shown]
	s_waitcnt lgkmcnt(0)
	v_mul_f64 v[30:31], v[30:31], v[32:33]
	s_cbranch_execz .LBB13_300
	s_branch .LBB13_301
.LBB13_299:
                                        ; implicit-def: $vgpr30_vgpr31
.LBB13_300:
	ds_read_b64 v[30:31], v95
.LBB13_301:
	v_cmp_ne_u32_e32 vcc, 10, v0
	s_and_saveexec_b64 s[6:7], vcc
	s_cbranch_execz .LBB13_305
; %bb.302:
	v_mov_b32_e32 v32, 0x78
	v_lshl_add_u32 v34, v0, 3, v32
	s_mov_b64 s[8:9], 0
	v_mov_b64_e32 v[32:33], v[0:1]
.LBB13_303:                             ; =>This Inner Loop Header: Depth=1
	v_lshl_add_u64 v[32:33], v[32:33], 0, 1
	v_cmp_eq_u32_e32 vcc, 1, v32
	v_cmp_eq_u32_e64 s[4:5], 2, v32
	v_cmp_lt_u32_e64 s[2:3], 9, v32
	s_waitcnt vmcnt(1)
	v_cndmask_b32_e32 v35, v3, v5, vcc
	v_cndmask_b32_e64 v35, v35, v7, s[4:5]
	v_cndmask_b32_e32 v38, v2, v4, vcc
	v_cmp_eq_u32_e32 vcc, 3, v32
	s_or_b64 s[8:9], s[2:3], s[8:9]
	v_cndmask_b32_e64 v38, v38, v6, s[4:5]
	v_cndmask_b32_e32 v35, v35, v9, vcc
	v_cmp_eq_u32_e64 s[2:3], 4, v32
	v_cndmask_b32_e32 v38, v38, v8, vcc
	v_cmp_eq_u32_e32 vcc, 5, v32
	v_cndmask_b32_e64 v35, v35, v11, s[2:3]
	v_cndmask_b32_e64 v38, v38, v10, s[2:3]
	v_cndmask_b32_e32 v35, v35, v13, vcc
	v_cmp_eq_u32_e64 s[2:3], 6, v32
	v_cndmask_b32_e32 v38, v38, v12, vcc
	v_cmp_eq_u32_e32 vcc, 7, v32
	v_cndmask_b32_e64 v35, v35, v15, s[2:3]
	;; [unrolled: 6-line block ×3, first 2 shown]
	v_cndmask_b32_e64 v38, v38, v18, s[2:3]
	v_cndmask_b32_e32 v35, v35, v21, vcc
	v_cmp_eq_u32_e64 s[2:3], 10, v32
	ds_read_b64 v[36:37], v34
	v_cndmask_b32_e32 v38, v38, v20, vcc
	v_cndmask_b32_e64 v35, v35, v23, s[2:3]
	v_cmp_eq_u32_e32 vcc, 11, v32
	v_cndmask_b32_e64 v38, v38, v22, s[2:3]
	v_cmp_eq_u32_e64 s[2:3], 12, v32
	v_cndmask_b32_e32 v35, v35, v25, vcc
	v_cndmask_b32_e32 v38, v38, v24, vcc
	v_cndmask_b32_e64 v35, v35, v27, s[2:3]
	v_cmp_eq_u32_e32 vcc, 13, v32
	v_add_u32_e32 v34, 8, v34
	s_waitcnt vmcnt(0)
	v_cndmask_b32_e32 v39, v35, v29, vcc
	v_cndmask_b32_e64 v35, v38, v26, s[2:3]
	v_cndmask_b32_e32 v38, v35, v28, vcc
	s_waitcnt lgkmcnt(0)
	v_fmac_f64_e32 v[30:31], v[38:39], v[36:37]
	s_andn2_b64 exec, exec, s[8:9]
	s_cbranch_execnz .LBB13_303
; %bb.304:
	s_or_b64 exec, exec, s[8:9]
.LBB13_305:
	s_or_b64 exec, exec, s[6:7]
	v_mov_b32_e32 v24, 0
	ds_read_b64 v[24:25], v24 offset:88
	s_waitcnt lgkmcnt(0)
	v_mul_f64 v[24:25], v[30:31], v[24:25]
.LBB13_306:
	s_or_b64 exec, exec, s[26:27]
	v_cmp_gt_u32_e64 s[2:3], 12, v0
	s_waitcnt vmcnt(2)
	ds_write_b64 v95, v[26:27]
	s_waitcnt lgkmcnt(0)
	; wave barrier
	s_and_saveexec_b64 s[28:29], s[2:3]
	s_cbranch_execz .LBB13_316
; %bb.307:
	s_and_b64 vcc, exec, s[0:1]
	s_cbranch_vccnz .LBB13_309
; %bb.308:
	v_cmp_eq_u32_e32 vcc, 1, v0
	v_cmp_eq_u32_e64 s[4:5], 2, v0
	v_cmp_eq_u32_e64 s[6:7], 3, v0
	s_waitcnt vmcnt(1)
	v_cndmask_b32_e32 v30, v3, v5, vcc
	v_cndmask_b32_e64 v30, v30, v7, s[4:5]
	v_cndmask_b32_e64 v30, v30, v9, s[6:7]
	v_cmp_eq_u32_e64 s[8:9], 4, v0
	v_cmp_eq_u32_e64 s[10:11], 5, v0
	v_cmp_eq_u32_e64 s[12:13], 6, v0
	v_cndmask_b32_e64 v30, v30, v11, s[8:9]
	v_cndmask_b32_e64 v30, v30, v13, s[10:11]
	v_cndmask_b32_e64 v30, v30, v15, s[12:13]
	v_cmp_eq_u32_e64 s[14:15], 7, v0
	v_cmp_eq_u32_e64 s[16:17], 8, v0
	v_cmp_eq_u32_e64 s[18:19], 9, v0
	v_cndmask_b32_e64 v30, v30, v17, s[14:15]
	;; [unrolled: 6-line block ×3, first 2 shown]
	v_cndmask_b32_e64 v30, v30, v25, s[22:23]
	v_cndmask_b32_e64 v30, v30, v27, s[24:25]
	v_cmp_eq_u32_e64 s[26:27], 13, v0
	ds_read_b64 v[32:33], v95
	s_waitcnt vmcnt(0)
	v_cndmask_b32_e64 v31, v30, v29, s[26:27]
	v_cndmask_b32_e32 v30, v2, v4, vcc
	v_cndmask_b32_e64 v30, v30, v6, s[4:5]
	v_cndmask_b32_e64 v30, v30, v8, s[6:7]
	;; [unrolled: 1-line block ×12, first 2 shown]
	s_waitcnt lgkmcnt(0)
	v_mul_f64 v[30:31], v[30:31], v[32:33]
	s_cbranch_execz .LBB13_310
	s_branch .LBB13_311
.LBB13_309:
                                        ; implicit-def: $vgpr30_vgpr31
.LBB13_310:
	ds_read_b64 v[30:31], v95
.LBB13_311:
	v_cmp_ne_u32_e32 vcc, 11, v0
	s_and_saveexec_b64 s[8:9], vcc
	s_cbranch_execz .LBB13_315
; %bb.312:
	v_mov_b32_e32 v32, 0x78
	v_lshl_add_u32 v34, v0, 3, v32
	s_mov_b64 s[10:11], 0
	v_mov_b64_e32 v[32:33], v[0:1]
.LBB13_313:                             ; =>This Inner Loop Header: Depth=1
	v_lshl_add_u64 v[32:33], v[32:33], 0, 1
	v_cmp_eq_u32_e32 vcc, 1, v32
	v_cmp_eq_u32_e64 s[6:7], 2, v32
	v_cmp_lt_u32_e64 s[4:5], 10, v32
	s_waitcnt vmcnt(1)
	v_cndmask_b32_e32 v35, v3, v5, vcc
	v_cndmask_b32_e64 v35, v35, v7, s[6:7]
	v_cndmask_b32_e32 v38, v2, v4, vcc
	v_cmp_eq_u32_e32 vcc, 3, v32
	s_or_b64 s[10:11], s[4:5], s[10:11]
	v_cndmask_b32_e64 v38, v38, v6, s[6:7]
	v_cndmask_b32_e32 v35, v35, v9, vcc
	v_cmp_eq_u32_e64 s[4:5], 4, v32
	v_cndmask_b32_e32 v38, v38, v8, vcc
	v_cmp_eq_u32_e32 vcc, 5, v32
	v_cndmask_b32_e64 v35, v35, v11, s[4:5]
	v_cndmask_b32_e64 v38, v38, v10, s[4:5]
	v_cndmask_b32_e32 v35, v35, v13, vcc
	v_cmp_eq_u32_e64 s[4:5], 6, v32
	v_cndmask_b32_e32 v38, v38, v12, vcc
	v_cmp_eq_u32_e32 vcc, 7, v32
	v_cndmask_b32_e64 v35, v35, v15, s[4:5]
	;; [unrolled: 6-line block ×3, first 2 shown]
	v_cndmask_b32_e64 v38, v38, v18, s[4:5]
	v_cndmask_b32_e32 v35, v35, v21, vcc
	v_cmp_eq_u32_e64 s[4:5], 10, v32
	ds_read_b64 v[36:37], v34
	v_cndmask_b32_e32 v38, v38, v20, vcc
	v_cndmask_b32_e64 v35, v35, v23, s[4:5]
	v_cmp_eq_u32_e32 vcc, 11, v32
	v_cndmask_b32_e64 v38, v38, v22, s[4:5]
	v_cmp_eq_u32_e64 s[4:5], 12, v32
	v_cndmask_b32_e32 v35, v35, v25, vcc
	v_cndmask_b32_e32 v38, v38, v24, vcc
	v_cndmask_b32_e64 v35, v35, v27, s[4:5]
	v_cmp_eq_u32_e32 vcc, 13, v32
	v_add_u32_e32 v34, 8, v34
	s_waitcnt vmcnt(0)
	v_cndmask_b32_e32 v39, v35, v29, vcc
	v_cndmask_b32_e64 v35, v38, v26, s[4:5]
	v_cndmask_b32_e32 v38, v35, v28, vcc
	s_waitcnt lgkmcnt(0)
	v_fmac_f64_e32 v[30:31], v[38:39], v[36:37]
	s_andn2_b64 exec, exec, s[10:11]
	s_cbranch_execnz .LBB13_313
; %bb.314:
	s_or_b64 exec, exec, s[10:11]
.LBB13_315:
	s_or_b64 exec, exec, s[8:9]
	v_mov_b32_e32 v26, 0
	ds_read_b64 v[26:27], v26 offset:96
	s_waitcnt lgkmcnt(0)
	v_mul_f64 v[26:27], v[30:31], v[26:27]
.LBB13_316:
	s_or_b64 exec, exec, s[28:29]
	v_cmp_ne_u32_e32 vcc, 13, v0
	s_waitcnt vmcnt(0)
	ds_write_b64 v95, v[28:29]
	s_waitcnt lgkmcnt(0)
	; wave barrier
	s_and_saveexec_b64 s[26:27], vcc
	s_cbranch_execz .LBB13_326
; %bb.317:
	s_and_b64 vcc, exec, s[0:1]
	s_cbranch_vccnz .LBB13_319
; %bb.318:
	v_cmp_eq_u32_e32 vcc, 1, v0
	v_cmp_eq_u32_e64 s[0:1], 2, v0
	v_cmp_eq_u32_e64 s[4:5], 3, v0
	v_cndmask_b32_e32 v30, v3, v5, vcc
	v_cndmask_b32_e64 v30, v30, v7, s[0:1]
	v_cndmask_b32_e64 v30, v30, v9, s[4:5]
	v_cmp_eq_u32_e64 s[6:7], 4, v0
	v_cmp_eq_u32_e64 s[8:9], 5, v0
	v_cmp_eq_u32_e64 s[10:11], 6, v0
	v_cndmask_b32_e64 v30, v30, v11, s[6:7]
	v_cndmask_b32_e64 v30, v30, v13, s[8:9]
	v_cndmask_b32_e64 v30, v30, v15, s[10:11]
	v_cmp_eq_u32_e64 s[12:13], 7, v0
	v_cmp_eq_u32_e64 s[14:15], 8, v0
	v_cmp_eq_u32_e64 s[16:17], 9, v0
	v_cndmask_b32_e64 v30, v30, v17, s[12:13]
	;; [unrolled: 6-line block ×3, first 2 shown]
	v_cndmask_b32_e64 v30, v30, v25, s[20:21]
	v_cndmask_b32_e64 v30, v30, v27, s[22:23]
	v_cmp_eq_u32_e64 s[24:25], 13, v0
	ds_read_b64 v[32:33], v95
	s_nop 0
	v_cndmask_b32_e64 v31, v30, v29, s[24:25]
	v_cndmask_b32_e32 v30, v2, v4, vcc
	v_cndmask_b32_e64 v30, v30, v6, s[0:1]
	v_cndmask_b32_e64 v30, v30, v8, s[4:5]
	v_cndmask_b32_e64 v30, v30, v10, s[6:7]
	v_cndmask_b32_e64 v30, v30, v12, s[8:9]
	v_cndmask_b32_e64 v30, v30, v14, s[10:11]
	v_cndmask_b32_e64 v30, v30, v16, s[12:13]
	v_cndmask_b32_e64 v30, v30, v18, s[14:15]
	v_cndmask_b32_e64 v30, v30, v20, s[16:17]
	v_cndmask_b32_e64 v30, v30, v22, s[18:19]
	v_cndmask_b32_e64 v30, v30, v24, s[20:21]
	v_cndmask_b32_e64 v30, v30, v26, s[22:23]
	v_cndmask_b32_e64 v30, v30, v28, s[24:25]
	s_waitcnt lgkmcnt(0)
	v_mul_f64 v[30:31], v[30:31], v[32:33]
	s_cbranch_execz .LBB13_320
	s_branch .LBB13_321
.LBB13_319:
                                        ; implicit-def: $vgpr30_vgpr31
.LBB13_320:
	ds_read_b64 v[30:31], v95
.LBB13_321:
	s_and_saveexec_b64 s[4:5], s[2:3]
	s_cbranch_execz .LBB13_325
; %bb.322:
	v_mov_b32_e32 v32, 0x78
	v_lshl_add_u32 v32, v0, 3, v32
	s_mov_b64 s[6:7], 0
.LBB13_323:                             ; =>This Inner Loop Header: Depth=1
	v_lshl_add_u64 v[0:1], v[0:1], 0, 1
	v_cmp_eq_u32_e32 vcc, 1, v0
	v_cmp_eq_u32_e64 s[2:3], 2, v0
	v_cmp_lt_u32_e64 s[0:1], 11, v0
	v_cndmask_b32_e32 v33, v3, v5, vcc
	v_cndmask_b32_e64 v33, v33, v7, s[2:3]
	v_cndmask_b32_e32 v36, v2, v4, vcc
	v_cmp_eq_u32_e32 vcc, 3, v0
	s_or_b64 s[6:7], s[0:1], s[6:7]
	v_cndmask_b32_e64 v36, v36, v6, s[2:3]
	v_cndmask_b32_e32 v33, v33, v9, vcc
	v_cmp_eq_u32_e64 s[0:1], 4, v0
	v_cndmask_b32_e32 v36, v36, v8, vcc
	v_cmp_eq_u32_e32 vcc, 5, v0
	v_cndmask_b32_e64 v33, v33, v11, s[0:1]
	v_cndmask_b32_e64 v36, v36, v10, s[0:1]
	v_cndmask_b32_e32 v33, v33, v13, vcc
	v_cmp_eq_u32_e64 s[0:1], 6, v0
	v_cndmask_b32_e32 v36, v36, v12, vcc
	v_cmp_eq_u32_e32 vcc, 7, v0
	v_cndmask_b32_e64 v33, v33, v15, s[0:1]
	v_cndmask_b32_e64 v36, v36, v14, s[0:1]
	v_cndmask_b32_e32 v33, v33, v17, vcc
	v_cmp_eq_u32_e64 s[0:1], 8, v0
	v_cndmask_b32_e32 v36, v36, v16, vcc
	v_cmp_eq_u32_e32 vcc, 9, v0
	v_cndmask_b32_e64 v33, v33, v19, s[0:1]
	v_cndmask_b32_e64 v36, v36, v18, s[0:1]
	v_cndmask_b32_e32 v33, v33, v21, vcc
	v_cmp_eq_u32_e64 s[0:1], 10, v0
	ds_read_b64 v[34:35], v32
	v_cndmask_b32_e32 v36, v36, v20, vcc
	v_cndmask_b32_e64 v33, v33, v23, s[0:1]
	v_cmp_eq_u32_e32 vcc, 11, v0
	v_cndmask_b32_e64 v36, v36, v22, s[0:1]
	v_cmp_eq_u32_e64 s[0:1], 12, v0
	v_cndmask_b32_e32 v33, v33, v25, vcc
	v_cndmask_b32_e32 v36, v36, v24, vcc
	v_cndmask_b32_e64 v33, v33, v27, s[0:1]
	v_cmp_eq_u32_e32 vcc, 13, v0
	v_add_u32_e32 v32, 8, v32
	s_nop 0
	v_cndmask_b32_e32 v37, v33, v29, vcc
	v_cndmask_b32_e64 v33, v36, v26, s[0:1]
	v_cndmask_b32_e32 v36, v33, v28, vcc
	s_waitcnt lgkmcnt(0)
	v_fmac_f64_e32 v[30:31], v[36:37], v[34:35]
	s_andn2_b64 exec, exec, s[6:7]
	s_cbranch_execnz .LBB13_323
; %bb.324:
	s_or_b64 exec, exec, s[6:7]
.LBB13_325:
	s_or_b64 exec, exec, s[4:5]
	v_mov_b32_e32 v0, 0
	ds_read_b64 v[0:1], v0 offset:104
	s_waitcnt lgkmcnt(0)
	v_mul_f64 v[28:29], v[30:31], v[0:1]
.LBB13_326:
	s_or_b64 exec, exec, s[26:27]
	v_mov_b64_e32 v[60:61], v[32:33]
	v_mov_b64_e32 v[58:59], v[30:31]
	;; [unrolled: 1-line block ×16, first 2 shown]
.LBB13_327:
	global_store_dwordx2 v[62:63], v[30:31], off
	global_store_dwordx2 v[64:65], v[32:33], off
	;; [unrolled: 1-line block ×14, first 2 shown]
.LBB13_328:
	s_endpgm
	.section	.rodata,"a",@progbits
	.p2align	6, 0x0
	.amdhsa_kernel _ZN9rocsolver6v33100L18trti2_kernel_smallILi14EdPdEEv13rocblas_fill_17rocblas_diagonal_T1_iil
		.amdhsa_group_segment_fixed_size 224
		.amdhsa_private_segment_fixed_size 0
		.amdhsa_kernarg_size 32
		.amdhsa_user_sgpr_count 2
		.amdhsa_user_sgpr_dispatch_ptr 0
		.amdhsa_user_sgpr_queue_ptr 0
		.amdhsa_user_sgpr_kernarg_segment_ptr 1
		.amdhsa_user_sgpr_dispatch_id 0
		.amdhsa_user_sgpr_kernarg_preload_length 0
		.amdhsa_user_sgpr_kernarg_preload_offset 0
		.amdhsa_user_sgpr_private_segment_size 0
		.amdhsa_uses_dynamic_stack 0
		.amdhsa_enable_private_segment 0
		.amdhsa_system_sgpr_workgroup_id_x 1
		.amdhsa_system_sgpr_workgroup_id_y 0
		.amdhsa_system_sgpr_workgroup_id_z 0
		.amdhsa_system_sgpr_workgroup_info 0
		.amdhsa_system_vgpr_workitem_id 0
		.amdhsa_next_free_vgpr 118
		.amdhsa_next_free_sgpr 46
		.amdhsa_accum_offset 120
		.amdhsa_reserve_vcc 1
		.amdhsa_float_round_mode_32 0
		.amdhsa_float_round_mode_16_64 0
		.amdhsa_float_denorm_mode_32 3
		.amdhsa_float_denorm_mode_16_64 3
		.amdhsa_dx10_clamp 1
		.amdhsa_ieee_mode 1
		.amdhsa_fp16_overflow 0
		.amdhsa_tg_split 0
		.amdhsa_exception_fp_ieee_invalid_op 0
		.amdhsa_exception_fp_denorm_src 0
		.amdhsa_exception_fp_ieee_div_zero 0
		.amdhsa_exception_fp_ieee_overflow 0
		.amdhsa_exception_fp_ieee_underflow 0
		.amdhsa_exception_fp_ieee_inexact 0
		.amdhsa_exception_int_div_zero 0
	.end_amdhsa_kernel
	.section	.text._ZN9rocsolver6v33100L18trti2_kernel_smallILi14EdPdEEv13rocblas_fill_17rocblas_diagonal_T1_iil,"axG",@progbits,_ZN9rocsolver6v33100L18trti2_kernel_smallILi14EdPdEEv13rocblas_fill_17rocblas_diagonal_T1_iil,comdat
.Lfunc_end13:
	.size	_ZN9rocsolver6v33100L18trti2_kernel_smallILi14EdPdEEv13rocblas_fill_17rocblas_diagonal_T1_iil, .Lfunc_end13-_ZN9rocsolver6v33100L18trti2_kernel_smallILi14EdPdEEv13rocblas_fill_17rocblas_diagonal_T1_iil
                                        ; -- End function
	.set _ZN9rocsolver6v33100L18trti2_kernel_smallILi14EdPdEEv13rocblas_fill_17rocblas_diagonal_T1_iil.num_vgpr, 118
	.set _ZN9rocsolver6v33100L18trti2_kernel_smallILi14EdPdEEv13rocblas_fill_17rocblas_diagonal_T1_iil.num_agpr, 0
	.set _ZN9rocsolver6v33100L18trti2_kernel_smallILi14EdPdEEv13rocblas_fill_17rocblas_diagonal_T1_iil.numbered_sgpr, 46
	.set _ZN9rocsolver6v33100L18trti2_kernel_smallILi14EdPdEEv13rocblas_fill_17rocblas_diagonal_T1_iil.num_named_barrier, 0
	.set _ZN9rocsolver6v33100L18trti2_kernel_smallILi14EdPdEEv13rocblas_fill_17rocblas_diagonal_T1_iil.private_seg_size, 0
	.set _ZN9rocsolver6v33100L18trti2_kernel_smallILi14EdPdEEv13rocblas_fill_17rocblas_diagonal_T1_iil.uses_vcc, 1
	.set _ZN9rocsolver6v33100L18trti2_kernel_smallILi14EdPdEEv13rocblas_fill_17rocblas_diagonal_T1_iil.uses_flat_scratch, 0
	.set _ZN9rocsolver6v33100L18trti2_kernel_smallILi14EdPdEEv13rocblas_fill_17rocblas_diagonal_T1_iil.has_dyn_sized_stack, 0
	.set _ZN9rocsolver6v33100L18trti2_kernel_smallILi14EdPdEEv13rocblas_fill_17rocblas_diagonal_T1_iil.has_recursion, 0
	.set _ZN9rocsolver6v33100L18trti2_kernel_smallILi14EdPdEEv13rocblas_fill_17rocblas_diagonal_T1_iil.has_indirect_call, 0
	.section	.AMDGPU.csdata,"",@progbits
; Kernel info:
; codeLenInByte = 26324
; TotalNumSgprs: 52
; NumVgprs: 118
; NumAgprs: 0
; TotalNumVgprs: 118
; ScratchSize: 0
; MemoryBound: 0
; FloatMode: 240
; IeeeMode: 1
; LDSByteSize: 224 bytes/workgroup (compile time only)
; SGPRBlocks: 6
; VGPRBlocks: 14
; NumSGPRsForWavesPerEU: 52
; NumVGPRsForWavesPerEU: 118
; AccumOffset: 120
; Occupancy: 4
; WaveLimiterHint : 0
; COMPUTE_PGM_RSRC2:SCRATCH_EN: 0
; COMPUTE_PGM_RSRC2:USER_SGPR: 2
; COMPUTE_PGM_RSRC2:TRAP_HANDLER: 0
; COMPUTE_PGM_RSRC2:TGID_X_EN: 1
; COMPUTE_PGM_RSRC2:TGID_Y_EN: 0
; COMPUTE_PGM_RSRC2:TGID_Z_EN: 0
; COMPUTE_PGM_RSRC2:TIDIG_COMP_CNT: 0
; COMPUTE_PGM_RSRC3_GFX90A:ACCUM_OFFSET: 29
; COMPUTE_PGM_RSRC3_GFX90A:TG_SPLIT: 0
	.section	.text._ZN9rocsolver6v33100L18trti2_kernel_smallILi15EdPdEEv13rocblas_fill_17rocblas_diagonal_T1_iil,"axG",@progbits,_ZN9rocsolver6v33100L18trti2_kernel_smallILi15EdPdEEv13rocblas_fill_17rocblas_diagonal_T1_iil,comdat
	.globl	_ZN9rocsolver6v33100L18trti2_kernel_smallILi15EdPdEEv13rocblas_fill_17rocblas_diagonal_T1_iil ; -- Begin function _ZN9rocsolver6v33100L18trti2_kernel_smallILi15EdPdEEv13rocblas_fill_17rocblas_diagonal_T1_iil
	.p2align	8
	.type	_ZN9rocsolver6v33100L18trti2_kernel_smallILi15EdPdEEv13rocblas_fill_17rocblas_diagonal_T1_iil,@function
_ZN9rocsolver6v33100L18trti2_kernel_smallILi15EdPdEEv13rocblas_fill_17rocblas_diagonal_T1_iil: ; @_ZN9rocsolver6v33100L18trti2_kernel_smallILi15EdPdEEv13rocblas_fill_17rocblas_diagonal_T1_iil
; %bb.0:
	v_cmp_gt_u32_e32 vcc, 15, v0
	s_and_saveexec_b64 s[4:5], vcc
	s_cbranch_execz .LBB14_354
; %bb.1:
	s_load_dwordx8 s[36:43], s[0:1], 0x0
	s_ashr_i32 s3, s2, 31
	v_mov_b32_e32 v1, 0
	v_lshlrev_b32_e32 v32, 3, v0
	v_mov_b32_e32 v33, v1
	s_waitcnt lgkmcnt(0)
	s_mul_hi_u32 s4, s42, s2
	s_mul_i32 s3, s42, s3
	s_add_i32 s3, s4, s3
	s_mul_i32 s4, s43, s2
	s_add_i32 s3, s3, s4
	s_mul_i32 s2, s42, s2
	s_ashr_i32 s1, s40, 31
	s_lshl_b64 s[2:3], s[2:3], 3
	s_mov_b32 s0, s40
	s_add_u32 s2, s38, s2
	s_addc_u32 s3, s39, s3
	s_lshl_b64 s[0:1], s[0:1], 3
	s_add_u32 s0, s2, s0
	s_addc_u32 s1, s3, s1
	v_lshl_add_u64 v[64:65], s[0:1], 0, v[32:33]
	s_ashr_i32 s3, s41, 31
	s_mov_b32 s2, s41
	v_lshl_add_u64 v[66:67], s[2:3], 3, v[64:65]
	s_add_i32 s2, s41, s41
	v_add_u32_e32 v2, s2, v0
	v_ashrrev_i32_e32 v3, 31, v2
	v_lshl_add_u64 v[68:69], v[2:3], 3, s[0:1]
	v_add_u32_e32 v2, s41, v2
	v_ashrrev_i32_e32 v3, 31, v2
	v_lshl_add_u64 v[70:71], v[2:3], 3, s[0:1]
	;; [unrolled: 3-line block ×12, first 2 shown]
	v_add_u32_e32 v2, s41, v2
	global_load_dwordx2 v[4:5], v[66:67], off
	global_load_dwordx2 v[6:7], v[68:69], off
	;; [unrolled: 1-line block ×12, first 2 shown]
	v_ashrrev_i32_e32 v3, 31, v2
	v_lshl_add_u64 v[92:93], v[2:3], 3, s[0:1]
	global_load_dwordx2 v[2:3], v32, s[0:1]
	global_load_dwordx2 v[28:29], v[90:91], off
	global_load_dwordx2 v[30:31], v[92:93], off
	s_cmpk_lg_i32 s37, 0x84
	s_cselect_b64 s[30:31], -1, 0
	s_cmpk_eq_i32 s37, 0x84
	v_mov_b64_e32 v[34:35], -1.0
	s_cbranch_scc1 .LBB14_3
; %bb.2:
	v_cmp_eq_u32_e64 s[0:1], 1, v0
	v_cmp_eq_u32_e64 s[2:3], 2, v0
	;; [unrolled: 1-line block ×3, first 2 shown]
	s_waitcnt vmcnt(2)
	v_cndmask_b32_e64 v33, v3, v5, s[0:1]
	v_cndmask_b32_e64 v33, v33, v7, s[2:3]
	v_cndmask_b32_e64 v33, v33, v9, s[4:5]
	v_cmp_eq_u32_e64 s[6:7], 4, v0
	v_cmp_eq_u32_e64 s[8:9], 5, v0
	v_cmp_eq_u32_e64 s[10:11], 6, v0
	v_cndmask_b32_e64 v33, v33, v11, s[6:7]
	v_cndmask_b32_e64 v33, v33, v13, s[8:9]
	v_cndmask_b32_e64 v33, v33, v15, s[10:11]
	v_cmp_eq_u32_e64 s[12:13], 7, v0
	v_cmp_eq_u32_e64 s[14:15], 8, v0
	v_cmp_eq_u32_e64 s[16:17], 9, v0
	;; [unrolled: 6-line block ×3, first 2 shown]
	v_cndmask_b32_e64 v33, v33, v23, s[18:19]
	v_cndmask_b32_e64 v33, v33, v25, s[20:21]
	v_cndmask_b32_e64 v33, v33, v27, s[22:23]
	v_cmp_eq_u32_e64 s[24:25], 13, v0
	v_cmp_eq_u32_e64 s[26:27], 14, v0
	s_waitcnt vmcnt(1)
	v_cndmask_b32_e64 v33, v33, v29, s[24:25]
	s_waitcnt vmcnt(0)
	v_cndmask_b32_e64 v35, v33, v31, s[26:27]
	v_cndmask_b32_e64 v33, v2, v4, s[0:1]
	;; [unrolled: 1-line block ×15, first 2 shown]
	v_div_scale_f64 v[36:37], s[28:29], v[34:35], v[34:35], 1.0
	v_rcp_f64_e32 v[38:39], v[36:37]
	s_nop 0
	v_fma_f64 v[40:41], -v[36:37], v[38:39], 1.0
	v_fmac_f64_e32 v[38:39], v[38:39], v[40:41]
	v_fma_f64 v[40:41], -v[36:37], v[38:39], 1.0
	v_fmac_f64_e32 v[38:39], v[38:39], v[40:41]
	v_div_scale_f64 v[40:41], vcc, 1.0, v[34:35], 1.0
	v_mul_f64 v[42:43], v[40:41], v[38:39]
	v_fma_f64 v[36:37], -v[36:37], v[42:43], v[40:41]
	s_nop 1
	v_div_fmas_f64 v[36:37], v[36:37], v[38:39], v[42:43]
	v_div_fixup_f64 v[34:35], v[36:37], v[34:35], 1.0
	v_cmp_eq_u32_e32 vcc, 0, v0
	v_cndmask_b32_e64 v31, v31, v35, s[26:27]
	v_cndmask_b32_e64 v30, v30, v34, s[26:27]
	;; [unrolled: 1-line block ×28, first 2 shown]
	v_cndmask_b32_e32 v3, v3, v35, vcc
	v_cndmask_b32_e32 v2, v2, v34, vcc
	v_xor_b32_e32 v35, 0x80000000, v35
.LBB14_3:
	s_cmpk_eq_i32 s36, 0x79
	v_add_u32_e32 v99, 0x80, v32
	ds_write_b64 v32, v[34:35]
	s_cbranch_scc1 .LBB14_7
; %bb.4:
	s_waitcnt vmcnt(0)
	v_mov_b64_e32 v[62:63], v[32:33]
	v_cmp_eq_u32_e64 s[0:1], 14, v0
	v_mov_b64_e32 v[60:61], v[30:31]
	v_mov_b64_e32 v[58:59], v[28:29]
	;; [unrolled: 1-line block ×15, first 2 shown]
	ds_write_b64 v99, v[28:29]
	s_waitcnt lgkmcnt(0)
	; wave barrier
	s_and_saveexec_b64 s[28:29], s[0:1]
	s_cbranch_execz .LBB14_11
; %bb.5:
	s_and_b64 vcc, exec, s[30:31]
	s_cbranch_vccz .LBB14_8
; %bb.6:
	v_cmp_eq_u32_e32 vcc, 1, v0
	v_cmp_eq_u32_e64 s[2:3], 2, v0
	v_cmp_eq_u32_e64 s[4:5], 3, v0
	v_cndmask_b32_e32 v32, v3, v5, vcc
	v_cndmask_b32_e64 v32, v32, v7, s[2:3]
	v_cndmask_b32_e64 v32, v32, v9, s[4:5]
	v_cmp_eq_u32_e64 s[6:7], 4, v0
	v_cmp_eq_u32_e64 s[8:9], 5, v0
	v_cmp_eq_u32_e64 s[10:11], 6, v0
	v_cndmask_b32_e64 v32, v32, v11, s[6:7]
	v_cndmask_b32_e64 v32, v32, v13, s[8:9]
	v_cndmask_b32_e64 v32, v32, v15, s[10:11]
	v_cmp_eq_u32_e64 s[12:13], 7, v0
	v_cmp_eq_u32_e64 s[14:15], 8, v0
	v_cmp_eq_u32_e64 s[16:17], 9, v0
	v_cndmask_b32_e64 v32, v32, v17, s[12:13]
	;; [unrolled: 6-line block ×3, first 2 shown]
	v_cndmask_b32_e64 v32, v32, v25, s[20:21]
	v_cndmask_b32_e64 v32, v32, v27, s[22:23]
	v_cmp_eq_u32_e64 s[24:25], 13, v0
	v_cmp_eq_u32_e64 s[26:27], 14, v0
	ds_read_b64 v[34:35], v99
	v_cndmask_b32_e64 v32, v32, v29, s[24:25]
	v_cndmask_b32_e64 v33, v32, v31, s[26:27]
	v_cndmask_b32_e32 v32, v2, v4, vcc
	v_cndmask_b32_e64 v32, v32, v6, s[2:3]
	v_cndmask_b32_e64 v32, v32, v8, s[4:5]
	;; [unrolled: 1-line block ×13, first 2 shown]
	s_waitcnt lgkmcnt(0)
	v_mul_f64 v[36:37], v[32:33], v[34:35]
	s_cbranch_execz .LBB14_9
	s_branch .LBB14_10
.LBB14_7:
                                        ; implicit-def: $vgpr32_vgpr33_vgpr34_vgpr35_vgpr36_vgpr37_vgpr38_vgpr39_vgpr40_vgpr41_vgpr42_vgpr43_vgpr44_vgpr45_vgpr46_vgpr47_vgpr48_vgpr49_vgpr50_vgpr51_vgpr52_vgpr53_vgpr54_vgpr55_vgpr56_vgpr57_vgpr58_vgpr59_vgpr60_vgpr61_vgpr62_vgpr63
	s_cbranch_execnz .LBB14_210
	s_branch .LBB14_353
.LBB14_8:
                                        ; implicit-def: $vgpr36_vgpr37
.LBB14_9:
	ds_read_b64 v[36:37], v99
.LBB14_10:
	v_mov_b32_e32 v32, 0
	ds_read_b64 v[38:39], v32 offset:104
	v_mov_b32_e32 v32, v2
	v_mov_b32_e32 v33, v3
	;; [unrolled: 1-line block ×4, first 2 shown]
	s_waitcnt lgkmcnt(0)
	v_mul_f64 v[58:59], v[36:37], v[38:39]
	v_mov_b32_e32 v36, v6
	v_mov_b32_e32 v37, v7
	;; [unrolled: 1-line block ×24, first 2 shown]
.LBB14_11:
	s_or_b64 exec, exec, s[28:29]
	v_cmp_lt_u32_e64 s[2:3], 12, v0
	ds_write_b64 v99, v[56:57]
	s_waitcnt lgkmcnt(0)
	; wave barrier
	s_and_saveexec_b64 s[34:35], s[2:3]
	s_cbranch_execz .LBB14_17
; %bb.12:
	s_andn2_b64 vcc, exec, s[30:31]
	s_cbranch_vccnz .LBB14_14
; %bb.13:
	v_cmp_eq_u32_e32 vcc, 1, v0
	v_cmp_eq_u32_e64 s[4:5], 2, v0
	v_cmp_eq_u32_e64 s[6:7], 3, v0
	v_cndmask_b32_e32 v62, v33, v35, vcc
	v_cndmask_b32_e64 v62, v62, v37, s[4:5]
	v_cndmask_b32_e64 v62, v62, v39, s[6:7]
	v_cmp_eq_u32_e64 s[8:9], 4, v0
	v_cmp_eq_u32_e64 s[10:11], 5, v0
	v_cmp_eq_u32_e64 s[12:13], 6, v0
	v_cndmask_b32_e64 v62, v62, v41, s[8:9]
	v_cndmask_b32_e64 v62, v62, v43, s[10:11]
	v_cndmask_b32_e64 v62, v62, v45, s[12:13]
	v_cmp_eq_u32_e64 s[14:15], 7, v0
	v_cmp_eq_u32_e64 s[16:17], 8, v0
	v_cmp_eq_u32_e64 s[18:19], 9, v0
	v_cndmask_b32_e64 v62, v62, v47, s[14:15]
	;; [unrolled: 6-line block ×3, first 2 shown]
	v_cndmask_b32_e64 v62, v62, v55, s[22:23]
	v_cndmask_b32_e64 v57, v62, v57, s[24:25]
	v_cndmask_b32_e32 v62, v32, v34, vcc
	v_cndmask_b32_e64 v62, v62, v36, s[4:5]
	v_cndmask_b32_e64 v62, v62, v38, s[6:7]
	;; [unrolled: 1-line block ×9, first 2 shown]
	ds_read_b64 v[62:63], v99
	v_cndmask_b32_e64 v94, v94, v54, s[22:23]
	v_cmp_eq_u32_e64 s[26:27], 13, v0
	v_cndmask_b32_e64 v56, v94, v56, s[24:25]
	v_cmp_eq_u32_e64 s[28:29], 14, v0
	v_cndmask_b32_e64 v57, v57, v59, s[26:27]
	v_cndmask_b32_e64 v56, v56, v58, s[26:27]
	;; [unrolled: 1-line block ×4, first 2 shown]
	s_waitcnt lgkmcnt(0)
	v_mul_f64 v[56:57], v[56:57], v[62:63]
	s_cbranch_execz .LBB14_15
	s_branch .LBB14_16
.LBB14_14:
                                        ; implicit-def: $vgpr56_vgpr57
.LBB14_15:
	ds_read_b64 v[56:57], v99
.LBB14_16:
	v_mov_b32_e32 v62, 0
	ds_read2_b64 v[94:97], v62 offset0:12 offset1:29
	s_waitcnt lgkmcnt(0)
	v_fma_f64 v[62:63], v[58:59], v[96:97], v[56:57]
	v_cndmask_b32_e64 v57, v57, v63, s[0:1]
	v_cndmask_b32_e64 v56, v56, v62, s[0:1]
	v_mul_f64 v[56:57], v[56:57], v[94:95]
.LBB14_17:
	s_or_b64 exec, exec, s[34:35]
	v_cmp_lt_u32_e64 s[0:1], 11, v0
	ds_write_b64 v99, v[54:55]
	s_waitcnt lgkmcnt(0)
	; wave barrier
	s_and_saveexec_b64 s[34:35], s[0:1]
	s_cbranch_execz .LBB14_33
; %bb.18:
	s_andn2_b64 vcc, exec, s[30:31]
	s_cbranch_vccnz .LBB14_20
; %bb.19:
	v_cmp_eq_u32_e32 vcc, 1, v0
	v_cmp_eq_u32_e64 s[4:5], 2, v0
	v_cmp_eq_u32_e64 s[6:7], 3, v0
	v_cndmask_b32_e32 v94, v33, v35, vcc
	v_cndmask_b32_e64 v94, v94, v37, s[4:5]
	v_cndmask_b32_e64 v94, v94, v39, s[6:7]
	v_cmp_eq_u32_e64 s[8:9], 4, v0
	v_cmp_eq_u32_e64 s[10:11], 5, v0
	v_cmp_eq_u32_e64 s[12:13], 6, v0
	v_cndmask_b32_e64 v94, v94, v41, s[8:9]
	v_cndmask_b32_e64 v94, v94, v43, s[10:11]
	v_cndmask_b32_e64 v94, v94, v45, s[12:13]
	v_cmp_eq_u32_e64 s[14:15], 7, v0
	v_cmp_eq_u32_e64 s[16:17], 8, v0
	v_cmp_eq_u32_e64 s[18:19], 9, v0
	v_cndmask_b32_e64 v94, v94, v47, s[14:15]
	;; [unrolled: 6-line block ×3, first 2 shown]
	v_cndmask_b32_e64 v94, v94, v55, s[22:23]
	v_cndmask_b32_e64 v94, v94, v57, s[24:25]
	v_cmp_eq_u32_e64 s[26:27], 13, v0
	v_cmp_eq_u32_e64 s[28:29], 14, v0
	ds_read_b64 v[96:97], v99
	v_cndmask_b32_e64 v94, v94, v59, s[26:27]
	v_cndmask_b32_e64 v95, v94, v61, s[28:29]
	v_cndmask_b32_e32 v94, v32, v34, vcc
	v_cndmask_b32_e64 v94, v94, v36, s[4:5]
	v_cndmask_b32_e64 v94, v94, v38, s[6:7]
	;; [unrolled: 1-line block ×13, first 2 shown]
	s_waitcnt lgkmcnt(0)
	v_mul_f64 v[94:95], v[94:95], v[96:97]
	s_cbranch_execz .LBB14_21
	s_branch .LBB14_22
.LBB14_20:
                                        ; implicit-def: $vgpr94_vgpr95
.LBB14_21:
	ds_read_b64 v[94:95], v99
.LBB14_22:
	s_and_saveexec_b64 s[6:7], s[2:3]
	s_cbranch_execz .LBB14_32
; %bb.23:
	v_add_u32_e32 v96, -13, v0
	v_add_u32_e32 v97, -12, v0
	v_cmp_lt_u32_e32 vcc, 6, v96
	v_mov_b32_e32 v96, 12
	s_and_saveexec_b64 s[2:3], vcc
	s_cbranch_execz .LBB14_27
; %bb.24:
	v_and_b32_e32 v96, -8, v97
	v_sub_u32_e32 v98, 0, v96
	s_mov_b64 s[4:5], 19
	s_movk_i32 s10, 0xe0
	s_mov_b64 s[8:9], 0
.LBB14_25:                              ; =>This Inner Loop Header: Depth=1
	s_lshl_b32 s11, s4, 1
	s_add_i32 s12, s11, -13
	s_add_i32 s13, s11, -14
	s_set_gpr_idx_on s12, gpr_idx(SRC0)
	v_mov_b32_e32 v117, v32
	s_set_gpr_idx_off
	v_mov_b32_e32 v96, s10
	s_add_i32 s14, s11, -11
	s_set_gpr_idx_on s13, gpr_idx(SRC0)
	v_mov_b32_e32 v116, v32
	s_set_gpr_idx_off
	s_add_i32 s15, s11, -12
	ds_read_b128 v[100:103], v96
	ds_read_b128 v[104:107], v96 offset:16
	ds_read_b128 v[108:111], v96 offset:32
	;; [unrolled: 1-line block ×3, first 2 shown]
	s_set_gpr_idx_on s14, gpr_idx(SRC0)
	v_mov_b32_e32 v119, v32
	s_set_gpr_idx_off
	s_add_i32 s16, s11, -9
	s_set_gpr_idx_on s15, gpr_idx(SRC0)
	v_mov_b32_e32 v118, v32
	s_set_gpr_idx_off
	s_add_i32 s17, s11, -10
	;; [unrolled: 4-line block ×4, first 2 shown]
	s_waitcnt lgkmcnt(3)
	v_fmac_f64_e32 v[94:95], v[116:117], v[100:101]
	s_set_gpr_idx_on s18, gpr_idx(SRC0)
	v_mov_b32_e32 v101, v32
	s_set_gpr_idx_off
	s_add_i32 s20, s11, -5
	v_fmac_f64_e32 v[94:95], v[118:119], v[102:103]
	s_set_gpr_idx_on s19, gpr_idx(SRC0)
	v_mov_b32_e32 v100, v32
	s_set_gpr_idx_off
	s_add_i32 s21, s11, -6
	s_waitcnt lgkmcnt(2)
	v_fmac_f64_e32 v[94:95], v[120:121], v[104:105]
	s_set_gpr_idx_on s20, gpr_idx(SRC0)
	v_mov_b32_e32 v103, v32
	s_set_gpr_idx_off
	s_add_i32 s22, s11, -3
	v_fmac_f64_e32 v[94:95], v[100:101], v[106:107]
	s_set_gpr_idx_on s21, gpr_idx(SRC0)
	v_mov_b32_e32 v102, v32
	s_set_gpr_idx_off
	s_add_i32 s23, s11, -4
	s_waitcnt lgkmcnt(1)
	v_fmac_f64_e32 v[94:95], v[102:103], v[108:109]
	s_set_gpr_idx_on s22, gpr_idx(SRC0)
	v_mov_b32_e32 v101, v32
	s_set_gpr_idx_off
	s_add_i32 s24, s11, -1
	s_set_gpr_idx_on s23, gpr_idx(SRC0)
	v_mov_b32_e32 v100, v32
	s_set_gpr_idx_off
	s_add_i32 s25, s11, -2
	v_fmac_f64_e32 v[94:95], v[100:101], v[110:111]
	s_set_gpr_idx_on s24, gpr_idx(SRC0)
	v_mov_b32_e32 v101, v32
	s_set_gpr_idx_off
	s_add_u32 s4, s4, 8
	s_set_gpr_idx_on s25, gpr_idx(SRC0)
	v_mov_b32_e32 v100, v32
	s_set_gpr_idx_off
	v_add_u32_e32 v96, s4, v98
	s_waitcnt lgkmcnt(0)
	v_fmac_f64_e32 v[94:95], v[100:101], v[112:113]
	s_set_gpr_idx_on s11, gpr_idx(SRC0)
	v_mov_b32_e32 v101, v33
	s_set_gpr_idx_off
	s_addc_u32 s5, s5, 0
	s_add_i32 s10, s10, 64
	s_add_i32 s12, s4, -7
	v_cmp_eq_u32_e32 vcc, 19, v96
	s_set_gpr_idx_on s11, gpr_idx(SRC0)
	v_mov_b32_e32 v100, v32
	s_set_gpr_idx_off
	v_mov_b32_e32 v96, s12
	s_or_b64 s[8:9], vcc, s[8:9]
	v_fmac_f64_e32 v[94:95], v[100:101], v[114:115]
	s_andn2_b64 exec, exec, s[8:9]
	s_cbranch_execnz .LBB14_25
; %bb.26:
	s_or_b64 exec, exec, s[8:9]
.LBB14_27:
	s_or_b64 exec, exec, s[2:3]
	v_and_b32_e32 v62, 7, v97
	v_cmp_ne_u32_e32 vcc, 0, v62
	s_and_saveexec_b64 s[8:9], vcc
	s_cbranch_execz .LBB14_31
; %bb.28:
	v_mov_b32_e32 v63, 0x80
	v_lshl_add_u32 v63, v96, 3, v63
	v_mov_b32_e32 v97, 0
	s_mov_b64 s[10:11], 0
.LBB14_29:                              ; =>This Inner Loop Header: Depth=1
	v_cmp_eq_u32_e32 vcc, 1, v96
	v_add_u32_e32 v62, -1, v62
	v_cmp_eq_u32_e64 s[2:3], 2, v96
	v_cndmask_b32_e32 v98, v33, v35, vcc
	v_cndmask_b32_e32 v102, v32, v34, vcc
	v_cndmask_b32_e64 v98, v98, v37, s[2:3]
	v_cmp_eq_u32_e32 vcc, 0, v62
	v_cmp_eq_u32_e64 s[4:5], 3, v96
	v_cndmask_b32_e64 v102, v102, v36, s[2:3]
	s_or_b64 s[10:11], vcc, s[10:11]
	v_cndmask_b32_e64 v98, v98, v39, s[4:5]
	v_cmp_eq_u32_e32 vcc, 4, v96
	v_cndmask_b32_e64 v102, v102, v38, s[4:5]
	v_cmp_eq_u32_e64 s[2:3], 5, v96
	v_cndmask_b32_e32 v98, v98, v41, vcc
	v_cndmask_b32_e32 v102, v102, v40, vcc
	v_cndmask_b32_e64 v98, v98, v43, s[2:3]
	v_cmp_eq_u32_e32 vcc, 6, v96
	v_cndmask_b32_e64 v102, v102, v42, s[2:3]
	v_cmp_eq_u32_e64 s[2:3], 7, v96
	v_cndmask_b32_e32 v98, v98, v45, vcc
	v_cndmask_b32_e32 v102, v102, v44, vcc
	v_cndmask_b32_e64 v98, v98, v47, s[2:3]
	v_cmp_eq_u32_e32 vcc, 8, v96
	v_cndmask_b32_e64 v102, v102, v46, s[2:3]
	v_cmp_eq_u32_e64 s[2:3], 9, v96
	v_cndmask_b32_e32 v98, v98, v49, vcc
	v_cndmask_b32_e32 v102, v102, v48, vcc
	v_cndmask_b32_e64 v98, v98, v51, s[2:3]
	v_cmp_eq_u32_e32 vcc, 10, v96
	v_cndmask_b32_e64 v102, v102, v50, s[2:3]
	v_cmp_eq_u32_e64 s[2:3], 11, v96
	v_cndmask_b32_e32 v98, v98, v53, vcc
	ds_read_b64 v[100:101], v63
	v_cndmask_b32_e64 v98, v98, v55, s[2:3]
	v_cndmask_b32_e32 v102, v102, v52, vcc
	v_cmp_eq_u32_e32 vcc, 12, v96
	v_cndmask_b32_e64 v102, v102, v54, s[2:3]
	v_cmp_eq_u32_e64 s[2:3], 13, v96
	v_cndmask_b32_e32 v98, v98, v57, vcc
	v_cmp_eq_u32_e64 s[4:5], 14, v96
	v_cndmask_b32_e64 v98, v98, v59, s[2:3]
	v_cndmask_b32_e32 v102, v102, v56, vcc
	v_cndmask_b32_e64 v103, v98, v61, s[4:5]
	v_cndmask_b32_e64 v98, v102, v58, s[2:3]
	;; [unrolled: 1-line block ×3, first 2 shown]
	v_add_u32_e32 v63, 8, v63
	v_lshl_add_u64 v[96:97], v[96:97], 0, 1
	s_waitcnt lgkmcnt(0)
	v_fmac_f64_e32 v[94:95], v[102:103], v[100:101]
	s_andn2_b64 exec, exec, s[10:11]
	s_cbranch_execnz .LBB14_29
; %bb.30:
	s_or_b64 exec, exec, s[10:11]
.LBB14_31:
	s_or_b64 exec, exec, s[8:9]
.LBB14_32:
	s_or_b64 exec, exec, s[6:7]
	v_mov_b32_e32 v54, 0
	ds_read_b64 v[54:55], v54 offset:88
	s_waitcnt lgkmcnt(0)
	v_mul_f64 v[54:55], v[94:95], v[54:55]
.LBB14_33:
	s_or_b64 exec, exec, s[34:35]
	v_cmp_lt_u32_e64 s[2:3], 10, v0
	ds_write_b64 v99, v[52:53]
	s_waitcnt lgkmcnt(0)
	; wave barrier
	s_and_saveexec_b64 s[34:35], s[2:3]
	s_cbranch_execz .LBB14_49
; %bb.34:
	s_andn2_b64 vcc, exec, s[30:31]
	s_cbranch_vccnz .LBB14_36
; %bb.35:
	v_cmp_eq_u32_e32 vcc, 1, v0
	v_cmp_eq_u32_e64 s[4:5], 2, v0
	v_cmp_eq_u32_e64 s[6:7], 3, v0
	v_cndmask_b32_e32 v94, v33, v35, vcc
	v_cndmask_b32_e64 v94, v94, v37, s[4:5]
	v_cndmask_b32_e64 v94, v94, v39, s[6:7]
	v_cmp_eq_u32_e64 s[8:9], 4, v0
	v_cmp_eq_u32_e64 s[10:11], 5, v0
	v_cmp_eq_u32_e64 s[12:13], 6, v0
	v_cndmask_b32_e64 v94, v94, v41, s[8:9]
	v_cndmask_b32_e64 v94, v94, v43, s[10:11]
	v_cndmask_b32_e64 v94, v94, v45, s[12:13]
	v_cmp_eq_u32_e64 s[14:15], 7, v0
	v_cmp_eq_u32_e64 s[16:17], 8, v0
	v_cmp_eq_u32_e64 s[18:19], 9, v0
	v_cndmask_b32_e64 v94, v94, v47, s[14:15]
	v_cndmask_b32_e64 v94, v94, v49, s[16:17]
	v_cndmask_b32_e64 v94, v94, v51, s[18:19]
	v_cmp_eq_u32_e64 s[20:21], 10, v0
	v_cmp_eq_u32_e64 s[22:23], 11, v0
	v_cmp_eq_u32_e64 s[24:25], 12, v0
	v_cndmask_b32_e64 v94, v94, v53, s[20:21]
	v_cndmask_b32_e64 v94, v94, v55, s[22:23]
	v_cndmask_b32_e64 v94, v94, v57, s[24:25]
	v_cmp_eq_u32_e64 s[26:27], 13, v0
	v_cmp_eq_u32_e64 s[28:29], 14, v0
	ds_read_b64 v[96:97], v99
	v_cndmask_b32_e64 v94, v94, v59, s[26:27]
	v_cndmask_b32_e64 v95, v94, v61, s[28:29]
	v_cndmask_b32_e32 v94, v32, v34, vcc
	v_cndmask_b32_e64 v94, v94, v36, s[4:5]
	v_cndmask_b32_e64 v94, v94, v38, s[6:7]
	;; [unrolled: 1-line block ×13, first 2 shown]
	s_waitcnt lgkmcnt(0)
	v_mul_f64 v[94:95], v[94:95], v[96:97]
	s_cbranch_execz .LBB14_37
	s_branch .LBB14_38
.LBB14_36:
                                        ; implicit-def: $vgpr94_vgpr95
.LBB14_37:
	ds_read_b64 v[94:95], v99
.LBB14_38:
	s_and_saveexec_b64 s[6:7], s[0:1]
	s_cbranch_execz .LBB14_48
; %bb.39:
	v_add_u32_e32 v96, -12, v0
	v_add_u32_e32 v97, -11, v0
	v_cmp_lt_u32_e32 vcc, 6, v96
	v_mov_b32_e32 v96, 11
	s_and_saveexec_b64 s[0:1], vcc
	s_cbranch_execz .LBB14_43
; %bb.40:
	v_and_b32_e32 v96, -8, v97
	v_sub_u32_e32 v98, 0, v96
	s_mov_b64 s[4:5], 18
	s_movk_i32 s10, 0xd8
	s_mov_b64 s[8:9], 0
.LBB14_41:                              ; =>This Inner Loop Header: Depth=1
	s_lshl_b32 s11, s4, 1
	s_add_i32 s12, s11, -13
	v_mov_b32_e32 v114, s10
	s_add_i32 s13, s11, -14
	s_set_gpr_idx_on s12, gpr_idx(SRC0)
	v_mov_b32_e32 v109, v32
	s_set_gpr_idx_off
	s_add_i32 s14, s11, -11
	s_set_gpr_idx_on s13, gpr_idx(SRC0)
	v_mov_b32_e32 v108, v32
	s_set_gpr_idx_off
	ds_read2_b64 v[100:103], v114 offset1:1
	s_add_i32 s15, s11, -12
	s_set_gpr_idx_on s14, gpr_idx(SRC0)
	v_mov_b32_e32 v111, v32
	s_set_gpr_idx_off
	s_add_i32 s16, s11, -9
	s_set_gpr_idx_on s15, gpr_idx(SRC0)
	v_mov_b32_e32 v110, v32
	s_set_gpr_idx_off
	s_add_i32 s17, s11, -10
	s_set_gpr_idx_on s16, gpr_idx(SRC0)
	v_mov_b32_e32 v113, v32
	s_set_gpr_idx_off
	s_add_i32 s18, s11, -7
	s_set_gpr_idx_on s17, gpr_idx(SRC0)
	v_mov_b32_e32 v112, v32
	s_set_gpr_idx_off
	ds_read2_b64 v[104:107], v114 offset0:2 offset1:3
	s_add_i32 s19, s11, -8
	s_waitcnt lgkmcnt(1)
	v_fmac_f64_e32 v[94:95], v[108:109], v[100:101]
	s_set_gpr_idx_on s18, gpr_idx(SRC0)
	v_mov_b32_e32 v109, v32
	s_set_gpr_idx_off
	s_add_i32 s20, s11, -5
	v_fmac_f64_e32 v[94:95], v[110:111], v[102:103]
	s_set_gpr_idx_on s19, gpr_idx(SRC0)
	v_mov_b32_e32 v108, v32
	s_set_gpr_idx_off
	s_add_i32 s21, s11, -6
	s_set_gpr_idx_on s20, gpr_idx(SRC0)
	v_mov_b32_e32 v111, v32
	s_set_gpr_idx_off
	s_add_i32 s22, s11, -3
	;; [unrolled: 4-line block ×3, first 2 shown]
	ds_read2_b64 v[100:103], v114 offset0:4 offset1:5
	s_waitcnt lgkmcnt(1)
	v_fmac_f64_e32 v[94:95], v[112:113], v[104:105]
	s_set_gpr_idx_on s22, gpr_idx(SRC0)
	v_mov_b32_e32 v113, v32
	s_set_gpr_idx_off
	s_add_i32 s24, s11, -1
	v_fmac_f64_e32 v[94:95], v[108:109], v[106:107]
	s_set_gpr_idx_on s23, gpr_idx(SRC0)
	v_mov_b32_e32 v112, v32
	s_set_gpr_idx_off
	s_add_i32 s25, s11, -2
	s_set_gpr_idx_on s24, gpr_idx(SRC0)
	v_mov_b32_e32 v109, v32
	s_set_gpr_idx_off
	s_set_gpr_idx_on s25, gpr_idx(SRC0)
	v_mov_b32_e32 v108, v32
	s_set_gpr_idx_off
	ds_read2_b64 v[104:107], v114 offset0:6 offset1:7
	s_add_u32 s4, s4, 8
	s_waitcnt lgkmcnt(1)
	v_fmac_f64_e32 v[94:95], v[110:111], v[100:101]
	s_set_gpr_idx_on s11, gpr_idx(SRC0)
	v_mov_b32_e32 v101, v33
	s_set_gpr_idx_off
	v_add_u32_e32 v96, s4, v98
	v_fmac_f64_e32 v[94:95], v[112:113], v[102:103]
	s_set_gpr_idx_on s11, gpr_idx(SRC0)
	v_mov_b32_e32 v100, v32
	s_set_gpr_idx_off
	s_addc_u32 s5, s5, 0
	s_add_i32 s10, s10, 64
	s_add_i32 s12, s4, -7
	v_cmp_eq_u32_e32 vcc, 18, v96
	s_waitcnt lgkmcnt(0)
	v_fmac_f64_e32 v[94:95], v[108:109], v[104:105]
	v_mov_b32_e32 v96, s12
	s_or_b64 s[8:9], vcc, s[8:9]
	v_fmac_f64_e32 v[94:95], v[100:101], v[106:107]
	s_andn2_b64 exec, exec, s[8:9]
	s_cbranch_execnz .LBB14_41
; %bb.42:
	s_or_b64 exec, exec, s[8:9]
.LBB14_43:
	s_or_b64 exec, exec, s[0:1]
	v_and_b32_e32 v62, 7, v97
	v_cmp_ne_u32_e32 vcc, 0, v62
	s_and_saveexec_b64 s[8:9], vcc
	s_cbranch_execz .LBB14_47
; %bb.44:
	v_mov_b32_e32 v63, 0x80
	v_lshl_add_u32 v63, v96, 3, v63
	v_mov_b32_e32 v97, 0
	s_mov_b64 s[10:11], 0
.LBB14_45:                              ; =>This Inner Loop Header: Depth=1
	v_cmp_eq_u32_e32 vcc, 1, v96
	v_add_u32_e32 v62, -1, v62
	v_cmp_eq_u32_e64 s[0:1], 2, v96
	v_cndmask_b32_e32 v98, v33, v35, vcc
	v_cndmask_b32_e32 v102, v32, v34, vcc
	v_cndmask_b32_e64 v98, v98, v37, s[0:1]
	v_cmp_eq_u32_e32 vcc, 0, v62
	v_cmp_eq_u32_e64 s[4:5], 3, v96
	v_cndmask_b32_e64 v102, v102, v36, s[0:1]
	s_or_b64 s[10:11], vcc, s[10:11]
	v_cndmask_b32_e64 v98, v98, v39, s[4:5]
	v_cmp_eq_u32_e32 vcc, 4, v96
	v_cndmask_b32_e64 v102, v102, v38, s[4:5]
	v_cmp_eq_u32_e64 s[0:1], 5, v96
	v_cndmask_b32_e32 v98, v98, v41, vcc
	v_cndmask_b32_e32 v102, v102, v40, vcc
	v_cndmask_b32_e64 v98, v98, v43, s[0:1]
	v_cmp_eq_u32_e32 vcc, 6, v96
	v_cndmask_b32_e64 v102, v102, v42, s[0:1]
	v_cmp_eq_u32_e64 s[0:1], 7, v96
	v_cndmask_b32_e32 v98, v98, v45, vcc
	v_cndmask_b32_e32 v102, v102, v44, vcc
	;; [unrolled: 6-line block ×3, first 2 shown]
	v_cndmask_b32_e64 v98, v98, v51, s[0:1]
	v_cmp_eq_u32_e32 vcc, 10, v96
	v_cndmask_b32_e64 v102, v102, v50, s[0:1]
	v_cmp_eq_u32_e64 s[0:1], 11, v96
	v_cndmask_b32_e32 v98, v98, v53, vcc
	ds_read_b64 v[100:101], v63
	v_cndmask_b32_e64 v98, v98, v55, s[0:1]
	v_cndmask_b32_e32 v102, v102, v52, vcc
	v_cmp_eq_u32_e32 vcc, 12, v96
	v_cndmask_b32_e64 v102, v102, v54, s[0:1]
	v_cmp_eq_u32_e64 s[0:1], 13, v96
	v_cndmask_b32_e32 v98, v98, v57, vcc
	v_cmp_eq_u32_e64 s[4:5], 14, v96
	v_cndmask_b32_e64 v98, v98, v59, s[0:1]
	v_cndmask_b32_e32 v102, v102, v56, vcc
	v_cndmask_b32_e64 v103, v98, v61, s[4:5]
	v_cndmask_b32_e64 v98, v102, v58, s[0:1]
	v_cndmask_b32_e64 v102, v98, v60, s[4:5]
	v_add_u32_e32 v63, 8, v63
	v_lshl_add_u64 v[96:97], v[96:97], 0, 1
	s_waitcnt lgkmcnt(0)
	v_fmac_f64_e32 v[94:95], v[102:103], v[100:101]
	s_andn2_b64 exec, exec, s[10:11]
	s_cbranch_execnz .LBB14_45
; %bb.46:
	s_or_b64 exec, exec, s[10:11]
.LBB14_47:
	s_or_b64 exec, exec, s[8:9]
.LBB14_48:
	s_or_b64 exec, exec, s[6:7]
	v_mov_b32_e32 v52, 0
	ds_read_b64 v[52:53], v52 offset:80
	s_waitcnt lgkmcnt(0)
	v_mul_f64 v[52:53], v[94:95], v[52:53]
.LBB14_49:
	s_or_b64 exec, exec, s[34:35]
	v_cmp_lt_u32_e64 s[0:1], 9, v0
	ds_write_b64 v99, v[50:51]
	s_waitcnt lgkmcnt(0)
	; wave barrier
	s_and_saveexec_b64 s[34:35], s[0:1]
	s_cbranch_execz .LBB14_65
; %bb.50:
	s_andn2_b64 vcc, exec, s[30:31]
	s_cbranch_vccnz .LBB14_52
; %bb.51:
	v_cmp_eq_u32_e32 vcc, 1, v0
	v_cmp_eq_u32_e64 s[4:5], 2, v0
	v_cmp_eq_u32_e64 s[6:7], 3, v0
	v_cndmask_b32_e32 v94, v33, v35, vcc
	v_cndmask_b32_e64 v94, v94, v37, s[4:5]
	v_cndmask_b32_e64 v94, v94, v39, s[6:7]
	v_cmp_eq_u32_e64 s[8:9], 4, v0
	v_cmp_eq_u32_e64 s[10:11], 5, v0
	v_cmp_eq_u32_e64 s[12:13], 6, v0
	v_cndmask_b32_e64 v94, v94, v41, s[8:9]
	v_cndmask_b32_e64 v94, v94, v43, s[10:11]
	v_cndmask_b32_e64 v94, v94, v45, s[12:13]
	v_cmp_eq_u32_e64 s[14:15], 7, v0
	v_cmp_eq_u32_e64 s[16:17], 8, v0
	v_cmp_eq_u32_e64 s[18:19], 9, v0
	v_cndmask_b32_e64 v94, v94, v47, s[14:15]
	;; [unrolled: 6-line block ×3, first 2 shown]
	v_cndmask_b32_e64 v94, v94, v55, s[22:23]
	v_cndmask_b32_e64 v94, v94, v57, s[24:25]
	v_cmp_eq_u32_e64 s[26:27], 13, v0
	v_cmp_eq_u32_e64 s[28:29], 14, v0
	ds_read_b64 v[96:97], v99
	v_cndmask_b32_e64 v94, v94, v59, s[26:27]
	v_cndmask_b32_e64 v95, v94, v61, s[28:29]
	v_cndmask_b32_e32 v94, v32, v34, vcc
	v_cndmask_b32_e64 v94, v94, v36, s[4:5]
	v_cndmask_b32_e64 v94, v94, v38, s[6:7]
	v_cndmask_b32_e64 v94, v94, v40, s[8:9]
	v_cndmask_b32_e64 v94, v94, v42, s[10:11]
	v_cndmask_b32_e64 v94, v94, v44, s[12:13]
	v_cndmask_b32_e64 v94, v94, v46, s[14:15]
	v_cndmask_b32_e64 v94, v94, v48, s[16:17]
	v_cndmask_b32_e64 v94, v94, v50, s[18:19]
	v_cndmask_b32_e64 v94, v94, v52, s[20:21]
	v_cndmask_b32_e64 v94, v94, v54, s[22:23]
	v_cndmask_b32_e64 v94, v94, v56, s[24:25]
	v_cndmask_b32_e64 v94, v94, v58, s[26:27]
	v_cndmask_b32_e64 v94, v94, v60, s[28:29]
	s_waitcnt lgkmcnt(0)
	v_mul_f64 v[94:95], v[94:95], v[96:97]
	s_cbranch_execz .LBB14_53
	s_branch .LBB14_54
.LBB14_52:
                                        ; implicit-def: $vgpr94_vgpr95
.LBB14_53:
	ds_read_b64 v[94:95], v99
.LBB14_54:
	s_and_saveexec_b64 s[6:7], s[2:3]
	s_cbranch_execz .LBB14_64
; %bb.55:
	v_add_u32_e32 v96, -11, v0
	v_add_u32_e32 v97, -10, v0
	v_cmp_lt_u32_e32 vcc, 6, v96
	v_mov_b32_e32 v96, 10
	s_and_saveexec_b64 s[2:3], vcc
	s_cbranch_execz .LBB14_59
; %bb.56:
	v_and_b32_e32 v96, -8, v97
	v_sub_u32_e32 v98, 0, v96
	s_mov_b64 s[4:5], 17
	s_movk_i32 s10, 0xd0
	s_mov_b64 s[8:9], 0
.LBB14_57:                              ; =>This Inner Loop Header: Depth=1
	s_lshl_b32 s11, s4, 1
	s_add_i32 s12, s11, -13
	s_add_i32 s13, s11, -14
	s_set_gpr_idx_on s12, gpr_idx(SRC0)
	v_mov_b32_e32 v117, v32
	s_set_gpr_idx_off
	v_mov_b32_e32 v96, s10
	s_add_i32 s14, s11, -11
	s_set_gpr_idx_on s13, gpr_idx(SRC0)
	v_mov_b32_e32 v116, v32
	s_set_gpr_idx_off
	s_add_i32 s15, s11, -12
	ds_read_b128 v[100:103], v96
	ds_read_b128 v[104:107], v96 offset:16
	ds_read_b128 v[108:111], v96 offset:32
	;; [unrolled: 1-line block ×3, first 2 shown]
	s_set_gpr_idx_on s14, gpr_idx(SRC0)
	v_mov_b32_e32 v119, v32
	s_set_gpr_idx_off
	s_add_i32 s16, s11, -9
	s_set_gpr_idx_on s15, gpr_idx(SRC0)
	v_mov_b32_e32 v118, v32
	s_set_gpr_idx_off
	s_add_i32 s17, s11, -10
	;; [unrolled: 4-line block ×4, first 2 shown]
	s_waitcnt lgkmcnt(3)
	v_fmac_f64_e32 v[94:95], v[116:117], v[100:101]
	s_set_gpr_idx_on s18, gpr_idx(SRC0)
	v_mov_b32_e32 v101, v32
	s_set_gpr_idx_off
	s_add_i32 s20, s11, -5
	v_fmac_f64_e32 v[94:95], v[118:119], v[102:103]
	s_set_gpr_idx_on s19, gpr_idx(SRC0)
	v_mov_b32_e32 v100, v32
	s_set_gpr_idx_off
	s_add_i32 s21, s11, -6
	s_waitcnt lgkmcnt(2)
	v_fmac_f64_e32 v[94:95], v[120:121], v[104:105]
	s_set_gpr_idx_on s20, gpr_idx(SRC0)
	v_mov_b32_e32 v103, v32
	s_set_gpr_idx_off
	s_add_i32 s22, s11, -3
	v_fmac_f64_e32 v[94:95], v[100:101], v[106:107]
	s_set_gpr_idx_on s21, gpr_idx(SRC0)
	v_mov_b32_e32 v102, v32
	s_set_gpr_idx_off
	s_add_i32 s23, s11, -4
	s_waitcnt lgkmcnt(1)
	v_fmac_f64_e32 v[94:95], v[102:103], v[108:109]
	s_set_gpr_idx_on s22, gpr_idx(SRC0)
	v_mov_b32_e32 v101, v32
	s_set_gpr_idx_off
	s_add_i32 s24, s11, -1
	s_set_gpr_idx_on s23, gpr_idx(SRC0)
	v_mov_b32_e32 v100, v32
	s_set_gpr_idx_off
	s_add_i32 s25, s11, -2
	v_fmac_f64_e32 v[94:95], v[100:101], v[110:111]
	s_set_gpr_idx_on s24, gpr_idx(SRC0)
	v_mov_b32_e32 v101, v32
	s_set_gpr_idx_off
	s_add_u32 s4, s4, 8
	s_set_gpr_idx_on s25, gpr_idx(SRC0)
	v_mov_b32_e32 v100, v32
	s_set_gpr_idx_off
	v_add_u32_e32 v96, s4, v98
	s_waitcnt lgkmcnt(0)
	v_fmac_f64_e32 v[94:95], v[100:101], v[112:113]
	s_set_gpr_idx_on s11, gpr_idx(SRC0)
	v_mov_b32_e32 v101, v33
	s_set_gpr_idx_off
	s_addc_u32 s5, s5, 0
	s_add_i32 s10, s10, 64
	s_add_i32 s12, s4, -7
	v_cmp_eq_u32_e32 vcc, 17, v96
	s_set_gpr_idx_on s11, gpr_idx(SRC0)
	v_mov_b32_e32 v100, v32
	s_set_gpr_idx_off
	v_mov_b32_e32 v96, s12
	s_or_b64 s[8:9], vcc, s[8:9]
	v_fmac_f64_e32 v[94:95], v[100:101], v[114:115]
	s_andn2_b64 exec, exec, s[8:9]
	s_cbranch_execnz .LBB14_57
; %bb.58:
	s_or_b64 exec, exec, s[8:9]
.LBB14_59:
	s_or_b64 exec, exec, s[2:3]
	v_and_b32_e32 v62, 7, v97
	v_cmp_ne_u32_e32 vcc, 0, v62
	s_and_saveexec_b64 s[8:9], vcc
	s_cbranch_execz .LBB14_63
; %bb.60:
	v_mov_b32_e32 v63, 0x80
	v_lshl_add_u32 v63, v96, 3, v63
	v_mov_b32_e32 v97, 0
	s_mov_b64 s[10:11], 0
.LBB14_61:                              ; =>This Inner Loop Header: Depth=1
	v_cmp_eq_u32_e32 vcc, 1, v96
	v_add_u32_e32 v62, -1, v62
	v_cmp_eq_u32_e64 s[2:3], 2, v96
	v_cndmask_b32_e32 v98, v33, v35, vcc
	v_cndmask_b32_e32 v102, v32, v34, vcc
	v_cndmask_b32_e64 v98, v98, v37, s[2:3]
	v_cmp_eq_u32_e32 vcc, 0, v62
	v_cmp_eq_u32_e64 s[4:5], 3, v96
	v_cndmask_b32_e64 v102, v102, v36, s[2:3]
	s_or_b64 s[10:11], vcc, s[10:11]
	v_cndmask_b32_e64 v98, v98, v39, s[4:5]
	v_cmp_eq_u32_e32 vcc, 4, v96
	v_cndmask_b32_e64 v102, v102, v38, s[4:5]
	v_cmp_eq_u32_e64 s[2:3], 5, v96
	v_cndmask_b32_e32 v98, v98, v41, vcc
	v_cndmask_b32_e32 v102, v102, v40, vcc
	v_cndmask_b32_e64 v98, v98, v43, s[2:3]
	v_cmp_eq_u32_e32 vcc, 6, v96
	v_cndmask_b32_e64 v102, v102, v42, s[2:3]
	v_cmp_eq_u32_e64 s[2:3], 7, v96
	v_cndmask_b32_e32 v98, v98, v45, vcc
	v_cndmask_b32_e32 v102, v102, v44, vcc
	;; [unrolled: 6-line block ×3, first 2 shown]
	v_cndmask_b32_e64 v98, v98, v51, s[2:3]
	v_cmp_eq_u32_e32 vcc, 10, v96
	v_cndmask_b32_e64 v102, v102, v50, s[2:3]
	v_cmp_eq_u32_e64 s[2:3], 11, v96
	v_cndmask_b32_e32 v98, v98, v53, vcc
	ds_read_b64 v[100:101], v63
	v_cndmask_b32_e64 v98, v98, v55, s[2:3]
	v_cndmask_b32_e32 v102, v102, v52, vcc
	v_cmp_eq_u32_e32 vcc, 12, v96
	v_cndmask_b32_e64 v102, v102, v54, s[2:3]
	v_cmp_eq_u32_e64 s[2:3], 13, v96
	v_cndmask_b32_e32 v98, v98, v57, vcc
	v_cmp_eq_u32_e64 s[4:5], 14, v96
	v_cndmask_b32_e64 v98, v98, v59, s[2:3]
	v_cndmask_b32_e32 v102, v102, v56, vcc
	v_cndmask_b32_e64 v103, v98, v61, s[4:5]
	v_cndmask_b32_e64 v98, v102, v58, s[2:3]
	;; [unrolled: 1-line block ×3, first 2 shown]
	v_add_u32_e32 v63, 8, v63
	v_lshl_add_u64 v[96:97], v[96:97], 0, 1
	s_waitcnt lgkmcnt(0)
	v_fmac_f64_e32 v[94:95], v[102:103], v[100:101]
	s_andn2_b64 exec, exec, s[10:11]
	s_cbranch_execnz .LBB14_61
; %bb.62:
	s_or_b64 exec, exec, s[10:11]
.LBB14_63:
	s_or_b64 exec, exec, s[8:9]
.LBB14_64:
	s_or_b64 exec, exec, s[6:7]
	v_mov_b32_e32 v50, 0
	ds_read_b64 v[50:51], v50 offset:72
	s_waitcnt lgkmcnt(0)
	v_mul_f64 v[50:51], v[94:95], v[50:51]
.LBB14_65:
	s_or_b64 exec, exec, s[34:35]
	v_cmp_lt_u32_e64 s[2:3], 8, v0
	ds_write_b64 v99, v[48:49]
	s_waitcnt lgkmcnt(0)
	; wave barrier
	s_and_saveexec_b64 s[34:35], s[2:3]
	s_cbranch_execz .LBB14_81
; %bb.66:
	s_andn2_b64 vcc, exec, s[30:31]
	s_cbranch_vccnz .LBB14_68
; %bb.67:
	v_cmp_eq_u32_e32 vcc, 1, v0
	v_cmp_eq_u32_e64 s[4:5], 2, v0
	v_cmp_eq_u32_e64 s[6:7], 3, v0
	v_cndmask_b32_e32 v94, v33, v35, vcc
	v_cndmask_b32_e64 v94, v94, v37, s[4:5]
	v_cndmask_b32_e64 v94, v94, v39, s[6:7]
	v_cmp_eq_u32_e64 s[8:9], 4, v0
	v_cmp_eq_u32_e64 s[10:11], 5, v0
	v_cmp_eq_u32_e64 s[12:13], 6, v0
	v_cndmask_b32_e64 v94, v94, v41, s[8:9]
	v_cndmask_b32_e64 v94, v94, v43, s[10:11]
	v_cndmask_b32_e64 v94, v94, v45, s[12:13]
	v_cmp_eq_u32_e64 s[14:15], 7, v0
	v_cmp_eq_u32_e64 s[16:17], 8, v0
	v_cmp_eq_u32_e64 s[18:19], 9, v0
	v_cndmask_b32_e64 v94, v94, v47, s[14:15]
	;; [unrolled: 6-line block ×3, first 2 shown]
	v_cndmask_b32_e64 v94, v94, v55, s[22:23]
	v_cndmask_b32_e64 v94, v94, v57, s[24:25]
	v_cmp_eq_u32_e64 s[26:27], 13, v0
	v_cmp_eq_u32_e64 s[28:29], 14, v0
	ds_read_b64 v[96:97], v99
	v_cndmask_b32_e64 v94, v94, v59, s[26:27]
	v_cndmask_b32_e64 v95, v94, v61, s[28:29]
	v_cndmask_b32_e32 v94, v32, v34, vcc
	v_cndmask_b32_e64 v94, v94, v36, s[4:5]
	v_cndmask_b32_e64 v94, v94, v38, s[6:7]
	;; [unrolled: 1-line block ×13, first 2 shown]
	s_waitcnt lgkmcnt(0)
	v_mul_f64 v[94:95], v[94:95], v[96:97]
	s_cbranch_execz .LBB14_69
	s_branch .LBB14_70
.LBB14_68:
                                        ; implicit-def: $vgpr94_vgpr95
.LBB14_69:
	ds_read_b64 v[94:95], v99
.LBB14_70:
	s_and_saveexec_b64 s[6:7], s[0:1]
	s_cbranch_execz .LBB14_80
; %bb.71:
	v_add_u32_e32 v96, -10, v0
	v_add_u32_e32 v97, -9, v0
	v_cmp_lt_u32_e32 vcc, 6, v96
	v_mov_b32_e32 v96, 9
	s_and_saveexec_b64 s[0:1], vcc
	s_cbranch_execz .LBB14_75
; %bb.72:
	v_and_b32_e32 v96, -8, v97
	v_sub_u32_e32 v98, 0, v96
	s_mov_b64 s[4:5], 16
	s_movk_i32 s10, 0xc8
	s_mov_b64 s[8:9], 0
.LBB14_73:                              ; =>This Inner Loop Header: Depth=1
	s_lshl_b32 s11, s4, 1
	s_add_i32 s12, s11, -13
	v_mov_b32_e32 v114, s10
	s_add_i32 s13, s11, -14
	s_set_gpr_idx_on s12, gpr_idx(SRC0)
	v_mov_b32_e32 v109, v32
	s_set_gpr_idx_off
	s_add_i32 s14, s11, -11
	s_set_gpr_idx_on s13, gpr_idx(SRC0)
	v_mov_b32_e32 v108, v32
	s_set_gpr_idx_off
	ds_read2_b64 v[100:103], v114 offset1:1
	s_add_i32 s15, s11, -12
	s_set_gpr_idx_on s14, gpr_idx(SRC0)
	v_mov_b32_e32 v111, v32
	s_set_gpr_idx_off
	s_add_i32 s16, s11, -9
	s_set_gpr_idx_on s15, gpr_idx(SRC0)
	v_mov_b32_e32 v110, v32
	s_set_gpr_idx_off
	;; [unrolled: 4-line block ×4, first 2 shown]
	ds_read2_b64 v[104:107], v114 offset0:2 offset1:3
	s_add_i32 s19, s11, -8
	s_waitcnt lgkmcnt(1)
	v_fmac_f64_e32 v[94:95], v[108:109], v[100:101]
	s_set_gpr_idx_on s18, gpr_idx(SRC0)
	v_mov_b32_e32 v109, v32
	s_set_gpr_idx_off
	s_add_i32 s20, s11, -5
	v_fmac_f64_e32 v[94:95], v[110:111], v[102:103]
	s_set_gpr_idx_on s19, gpr_idx(SRC0)
	v_mov_b32_e32 v108, v32
	s_set_gpr_idx_off
	s_add_i32 s21, s11, -6
	s_set_gpr_idx_on s20, gpr_idx(SRC0)
	v_mov_b32_e32 v111, v32
	s_set_gpr_idx_off
	s_add_i32 s22, s11, -3
	;; [unrolled: 4-line block ×3, first 2 shown]
	ds_read2_b64 v[100:103], v114 offset0:4 offset1:5
	s_waitcnt lgkmcnt(1)
	v_fmac_f64_e32 v[94:95], v[112:113], v[104:105]
	s_set_gpr_idx_on s22, gpr_idx(SRC0)
	v_mov_b32_e32 v113, v32
	s_set_gpr_idx_off
	s_add_i32 s24, s11, -1
	v_fmac_f64_e32 v[94:95], v[108:109], v[106:107]
	s_set_gpr_idx_on s23, gpr_idx(SRC0)
	v_mov_b32_e32 v112, v32
	s_set_gpr_idx_off
	s_add_i32 s25, s11, -2
	s_set_gpr_idx_on s24, gpr_idx(SRC0)
	v_mov_b32_e32 v109, v32
	s_set_gpr_idx_off
	s_set_gpr_idx_on s25, gpr_idx(SRC0)
	v_mov_b32_e32 v108, v32
	s_set_gpr_idx_off
	ds_read2_b64 v[104:107], v114 offset0:6 offset1:7
	s_add_u32 s4, s4, 8
	s_waitcnt lgkmcnt(1)
	v_fmac_f64_e32 v[94:95], v[110:111], v[100:101]
	s_set_gpr_idx_on s11, gpr_idx(SRC0)
	v_mov_b32_e32 v101, v33
	s_set_gpr_idx_off
	v_add_u32_e32 v96, s4, v98
	v_fmac_f64_e32 v[94:95], v[112:113], v[102:103]
	s_set_gpr_idx_on s11, gpr_idx(SRC0)
	v_mov_b32_e32 v100, v32
	s_set_gpr_idx_off
	s_addc_u32 s5, s5, 0
	s_add_i32 s10, s10, 64
	s_add_i32 s12, s4, -7
	v_cmp_eq_u32_e32 vcc, 16, v96
	s_waitcnt lgkmcnt(0)
	v_fmac_f64_e32 v[94:95], v[108:109], v[104:105]
	v_mov_b32_e32 v96, s12
	s_or_b64 s[8:9], vcc, s[8:9]
	v_fmac_f64_e32 v[94:95], v[100:101], v[106:107]
	s_andn2_b64 exec, exec, s[8:9]
	s_cbranch_execnz .LBB14_73
; %bb.74:
	s_or_b64 exec, exec, s[8:9]
.LBB14_75:
	s_or_b64 exec, exec, s[0:1]
	v_and_b32_e32 v62, 7, v97
	v_cmp_ne_u32_e32 vcc, 0, v62
	s_and_saveexec_b64 s[8:9], vcc
	s_cbranch_execz .LBB14_79
; %bb.76:
	v_mov_b32_e32 v63, 0x80
	v_lshl_add_u32 v63, v96, 3, v63
	v_mov_b32_e32 v97, 0
	s_mov_b64 s[10:11], 0
.LBB14_77:                              ; =>This Inner Loop Header: Depth=1
	v_cmp_eq_u32_e32 vcc, 1, v96
	v_add_u32_e32 v62, -1, v62
	v_cmp_eq_u32_e64 s[0:1], 2, v96
	v_cndmask_b32_e32 v98, v33, v35, vcc
	v_cndmask_b32_e32 v102, v32, v34, vcc
	v_cndmask_b32_e64 v98, v98, v37, s[0:1]
	v_cmp_eq_u32_e32 vcc, 0, v62
	v_cmp_eq_u32_e64 s[4:5], 3, v96
	v_cndmask_b32_e64 v102, v102, v36, s[0:1]
	s_or_b64 s[10:11], vcc, s[10:11]
	v_cndmask_b32_e64 v98, v98, v39, s[4:5]
	v_cmp_eq_u32_e32 vcc, 4, v96
	v_cndmask_b32_e64 v102, v102, v38, s[4:5]
	v_cmp_eq_u32_e64 s[0:1], 5, v96
	v_cndmask_b32_e32 v98, v98, v41, vcc
	v_cndmask_b32_e32 v102, v102, v40, vcc
	v_cndmask_b32_e64 v98, v98, v43, s[0:1]
	v_cmp_eq_u32_e32 vcc, 6, v96
	v_cndmask_b32_e64 v102, v102, v42, s[0:1]
	v_cmp_eq_u32_e64 s[0:1], 7, v96
	v_cndmask_b32_e32 v98, v98, v45, vcc
	v_cndmask_b32_e32 v102, v102, v44, vcc
	;; [unrolled: 6-line block ×3, first 2 shown]
	v_cndmask_b32_e64 v98, v98, v51, s[0:1]
	v_cmp_eq_u32_e32 vcc, 10, v96
	v_cndmask_b32_e64 v102, v102, v50, s[0:1]
	v_cmp_eq_u32_e64 s[0:1], 11, v96
	v_cndmask_b32_e32 v98, v98, v53, vcc
	ds_read_b64 v[100:101], v63
	v_cndmask_b32_e64 v98, v98, v55, s[0:1]
	v_cndmask_b32_e32 v102, v102, v52, vcc
	v_cmp_eq_u32_e32 vcc, 12, v96
	v_cndmask_b32_e64 v102, v102, v54, s[0:1]
	v_cmp_eq_u32_e64 s[0:1], 13, v96
	v_cndmask_b32_e32 v98, v98, v57, vcc
	v_cmp_eq_u32_e64 s[4:5], 14, v96
	v_cndmask_b32_e64 v98, v98, v59, s[0:1]
	v_cndmask_b32_e32 v102, v102, v56, vcc
	v_cndmask_b32_e64 v103, v98, v61, s[4:5]
	v_cndmask_b32_e64 v98, v102, v58, s[0:1]
	;; [unrolled: 1-line block ×3, first 2 shown]
	v_add_u32_e32 v63, 8, v63
	v_lshl_add_u64 v[96:97], v[96:97], 0, 1
	s_waitcnt lgkmcnt(0)
	v_fmac_f64_e32 v[94:95], v[102:103], v[100:101]
	s_andn2_b64 exec, exec, s[10:11]
	s_cbranch_execnz .LBB14_77
; %bb.78:
	s_or_b64 exec, exec, s[10:11]
.LBB14_79:
	s_or_b64 exec, exec, s[8:9]
.LBB14_80:
	s_or_b64 exec, exec, s[6:7]
	v_mov_b32_e32 v48, 0
	ds_read_b64 v[48:49], v48 offset:64
	s_waitcnt lgkmcnt(0)
	v_mul_f64 v[48:49], v[94:95], v[48:49]
.LBB14_81:
	s_or_b64 exec, exec, s[34:35]
	v_cmp_lt_u32_e64 s[4:5], 7, v0
	ds_write_b64 v99, v[46:47]
	s_waitcnt lgkmcnt(0)
	; wave barrier
	s_and_saveexec_b64 s[34:35], s[4:5]
	s_cbranch_execz .LBB14_97
; %bb.82:
	s_andn2_b64 vcc, exec, s[30:31]
	s_cbranch_vccnz .LBB14_84
; %bb.83:
	v_cmp_eq_u32_e32 vcc, 1, v0
	v_cmp_eq_u32_e64 s[0:1], 2, v0
	v_cmp_eq_u32_e64 s[6:7], 3, v0
	v_cndmask_b32_e32 v94, v33, v35, vcc
	v_cndmask_b32_e64 v94, v94, v37, s[0:1]
	v_cndmask_b32_e64 v94, v94, v39, s[6:7]
	v_cmp_eq_u32_e64 s[8:9], 4, v0
	v_cmp_eq_u32_e64 s[10:11], 5, v0
	v_cmp_eq_u32_e64 s[12:13], 6, v0
	v_cndmask_b32_e64 v94, v94, v41, s[8:9]
	v_cndmask_b32_e64 v94, v94, v43, s[10:11]
	v_cndmask_b32_e64 v94, v94, v45, s[12:13]
	v_cmp_eq_u32_e64 s[14:15], 7, v0
	v_cmp_eq_u32_e64 s[16:17], 8, v0
	v_cmp_eq_u32_e64 s[18:19], 9, v0
	v_cndmask_b32_e64 v94, v94, v47, s[14:15]
	;; [unrolled: 6-line block ×3, first 2 shown]
	v_cndmask_b32_e64 v94, v94, v55, s[22:23]
	v_cndmask_b32_e64 v94, v94, v57, s[24:25]
	v_cmp_eq_u32_e64 s[26:27], 13, v0
	v_cmp_eq_u32_e64 s[28:29], 14, v0
	ds_read_b64 v[96:97], v99
	v_cndmask_b32_e64 v94, v94, v59, s[26:27]
	v_cndmask_b32_e64 v95, v94, v61, s[28:29]
	v_cndmask_b32_e32 v94, v32, v34, vcc
	v_cndmask_b32_e64 v94, v94, v36, s[0:1]
	v_cndmask_b32_e64 v94, v94, v38, s[6:7]
	;; [unrolled: 1-line block ×13, first 2 shown]
	s_waitcnt lgkmcnt(0)
	v_mul_f64 v[94:95], v[94:95], v[96:97]
	s_cbranch_execz .LBB14_85
	s_branch .LBB14_86
.LBB14_84:
                                        ; implicit-def: $vgpr94_vgpr95
.LBB14_85:
	ds_read_b64 v[94:95], v99
.LBB14_86:
	s_and_saveexec_b64 s[6:7], s[2:3]
	s_cbranch_execz .LBB14_96
; %bb.87:
	v_add_u32_e32 v96, -9, v0
	v_cmp_lt_u32_e32 vcc, 6, v96
	v_mov_b32_e32 v96, 8
	s_and_saveexec_b64 s[0:1], vcc
	s_cbranch_execz .LBB14_91
; %bb.88:
	v_and_b32_e32 v96, 8, v0
	v_sub_u32_e32 v98, 0, v96
	s_mov_b64 s[2:3], 15
	s_movk_i32 s10, 0xc0
	s_mov_b64 s[8:9], 0
.LBB14_89:                              ; =>This Inner Loop Header: Depth=1
	s_lshl_b32 s11, s2, 1
	s_add_i32 s12, s11, -13
	s_add_i32 s13, s11, -14
	s_set_gpr_idx_on s12, gpr_idx(SRC0)
	v_mov_b32_e32 v117, v32
	s_set_gpr_idx_off
	v_mov_b32_e32 v96, s10
	s_add_i32 s14, s11, -11
	s_set_gpr_idx_on s13, gpr_idx(SRC0)
	v_mov_b32_e32 v116, v32
	s_set_gpr_idx_off
	s_add_i32 s15, s11, -12
	ds_read_b128 v[100:103], v96
	ds_read_b128 v[104:107], v96 offset:16
	ds_read_b128 v[108:111], v96 offset:32
	;; [unrolled: 1-line block ×3, first 2 shown]
	s_set_gpr_idx_on s14, gpr_idx(SRC0)
	v_mov_b32_e32 v119, v32
	s_set_gpr_idx_off
	s_add_i32 s16, s11, -9
	s_set_gpr_idx_on s15, gpr_idx(SRC0)
	v_mov_b32_e32 v118, v32
	s_set_gpr_idx_off
	s_add_i32 s17, s11, -10
	;; [unrolled: 4-line block ×4, first 2 shown]
	s_waitcnt lgkmcnt(3)
	v_fmac_f64_e32 v[94:95], v[116:117], v[100:101]
	s_set_gpr_idx_on s18, gpr_idx(SRC0)
	v_mov_b32_e32 v101, v32
	s_set_gpr_idx_off
	s_add_i32 s20, s11, -5
	v_fmac_f64_e32 v[94:95], v[118:119], v[102:103]
	s_set_gpr_idx_on s19, gpr_idx(SRC0)
	v_mov_b32_e32 v100, v32
	s_set_gpr_idx_off
	s_add_i32 s21, s11, -6
	s_waitcnt lgkmcnt(2)
	v_fmac_f64_e32 v[94:95], v[120:121], v[104:105]
	s_set_gpr_idx_on s20, gpr_idx(SRC0)
	v_mov_b32_e32 v103, v32
	s_set_gpr_idx_off
	s_add_i32 s22, s11, -3
	v_fmac_f64_e32 v[94:95], v[100:101], v[106:107]
	s_set_gpr_idx_on s21, gpr_idx(SRC0)
	v_mov_b32_e32 v102, v32
	s_set_gpr_idx_off
	s_add_i32 s23, s11, -4
	s_waitcnt lgkmcnt(1)
	v_fmac_f64_e32 v[94:95], v[102:103], v[108:109]
	s_set_gpr_idx_on s22, gpr_idx(SRC0)
	v_mov_b32_e32 v101, v32
	s_set_gpr_idx_off
	s_add_i32 s24, s11, -1
	s_set_gpr_idx_on s23, gpr_idx(SRC0)
	v_mov_b32_e32 v100, v32
	s_set_gpr_idx_off
	s_add_i32 s25, s11, -2
	v_fmac_f64_e32 v[94:95], v[100:101], v[110:111]
	s_set_gpr_idx_on s24, gpr_idx(SRC0)
	v_mov_b32_e32 v101, v32
	s_set_gpr_idx_off
	s_add_u32 s2, s2, 8
	s_set_gpr_idx_on s25, gpr_idx(SRC0)
	v_mov_b32_e32 v100, v32
	s_set_gpr_idx_off
	v_add_u32_e32 v96, s2, v98
	s_waitcnt lgkmcnt(0)
	v_fmac_f64_e32 v[94:95], v[100:101], v[112:113]
	s_set_gpr_idx_on s11, gpr_idx(SRC0)
	v_mov_b32_e32 v101, v33
	s_set_gpr_idx_off
	s_addc_u32 s3, s3, 0
	s_add_i32 s10, s10, 64
	s_add_i32 s12, s2, -7
	v_cmp_eq_u32_e32 vcc, 7, v96
	s_set_gpr_idx_on s11, gpr_idx(SRC0)
	v_mov_b32_e32 v100, v32
	s_set_gpr_idx_off
	v_mov_b32_e32 v96, s12
	s_or_b64 s[8:9], vcc, s[8:9]
	v_fmac_f64_e32 v[94:95], v[100:101], v[114:115]
	s_andn2_b64 exec, exec, s[8:9]
	s_cbranch_execnz .LBB14_89
; %bb.90:
	s_or_b64 exec, exec, s[8:9]
.LBB14_91:
	s_or_b64 exec, exec, s[0:1]
	v_and_b32_e32 v62, 7, v0
	v_cmp_ne_u32_e32 vcc, 0, v62
	s_and_saveexec_b64 s[8:9], vcc
	s_cbranch_execz .LBB14_95
; %bb.92:
	v_mov_b32_e32 v63, 0x80
	v_lshl_add_u32 v63, v96, 3, v63
	v_mov_b32_e32 v97, 0
	s_mov_b64 s[10:11], 0
.LBB14_93:                              ; =>This Inner Loop Header: Depth=1
	v_cmp_eq_u32_e32 vcc, 1, v96
	v_add_u32_e32 v62, -1, v62
	v_cmp_eq_u32_e64 s[0:1], 2, v96
	v_cndmask_b32_e32 v98, v33, v35, vcc
	v_cndmask_b32_e32 v102, v32, v34, vcc
	v_cndmask_b32_e64 v98, v98, v37, s[0:1]
	v_cmp_eq_u32_e32 vcc, 0, v62
	v_cmp_eq_u32_e64 s[2:3], 3, v96
	v_cndmask_b32_e64 v102, v102, v36, s[0:1]
	s_or_b64 s[10:11], vcc, s[10:11]
	v_cndmask_b32_e64 v98, v98, v39, s[2:3]
	v_cmp_eq_u32_e32 vcc, 4, v96
	v_cndmask_b32_e64 v102, v102, v38, s[2:3]
	v_cmp_eq_u32_e64 s[0:1], 5, v96
	v_cndmask_b32_e32 v98, v98, v41, vcc
	v_cndmask_b32_e32 v102, v102, v40, vcc
	v_cndmask_b32_e64 v98, v98, v43, s[0:1]
	v_cmp_eq_u32_e32 vcc, 6, v96
	v_cndmask_b32_e64 v102, v102, v42, s[0:1]
	v_cmp_eq_u32_e64 s[0:1], 7, v96
	v_cndmask_b32_e32 v98, v98, v45, vcc
	v_cndmask_b32_e32 v102, v102, v44, vcc
	;; [unrolled: 6-line block ×3, first 2 shown]
	v_cndmask_b32_e64 v98, v98, v51, s[0:1]
	v_cmp_eq_u32_e32 vcc, 10, v96
	v_cndmask_b32_e64 v102, v102, v50, s[0:1]
	v_cmp_eq_u32_e64 s[0:1], 11, v96
	v_cndmask_b32_e32 v98, v98, v53, vcc
	ds_read_b64 v[100:101], v63
	v_cndmask_b32_e64 v98, v98, v55, s[0:1]
	v_cndmask_b32_e32 v102, v102, v52, vcc
	v_cmp_eq_u32_e32 vcc, 12, v96
	v_cndmask_b32_e64 v102, v102, v54, s[0:1]
	v_cmp_eq_u32_e64 s[0:1], 13, v96
	v_cndmask_b32_e32 v98, v98, v57, vcc
	v_cmp_eq_u32_e64 s[2:3], 14, v96
	v_cndmask_b32_e64 v98, v98, v59, s[0:1]
	v_cndmask_b32_e32 v102, v102, v56, vcc
	v_cndmask_b32_e64 v103, v98, v61, s[2:3]
	v_cndmask_b32_e64 v98, v102, v58, s[0:1]
	;; [unrolled: 1-line block ×3, first 2 shown]
	v_add_u32_e32 v63, 8, v63
	v_lshl_add_u64 v[96:97], v[96:97], 0, 1
	s_waitcnt lgkmcnt(0)
	v_fmac_f64_e32 v[94:95], v[102:103], v[100:101]
	s_andn2_b64 exec, exec, s[10:11]
	s_cbranch_execnz .LBB14_93
; %bb.94:
	s_or_b64 exec, exec, s[10:11]
.LBB14_95:
	s_or_b64 exec, exec, s[8:9]
.LBB14_96:
	s_or_b64 exec, exec, s[6:7]
	v_mov_b32_e32 v46, 0
	ds_read_b64 v[46:47], v46 offset:56
	s_waitcnt lgkmcnt(0)
	v_mul_f64 v[46:47], v[94:95], v[46:47]
.LBB14_97:
	s_or_b64 exec, exec, s[34:35]
	v_cmp_lt_u32_e64 s[0:1], 6, v0
	ds_write_b64 v99, v[44:45]
	s_waitcnt lgkmcnt(0)
	; wave barrier
	s_and_saveexec_b64 s[34:35], s[0:1]
	s_cbranch_execz .LBB14_113
; %bb.98:
	s_andn2_b64 vcc, exec, s[30:31]
	s_cbranch_vccnz .LBB14_100
; %bb.99:
	v_cmp_eq_u32_e32 vcc, 1, v0
	v_cmp_eq_u32_e64 s[2:3], 2, v0
	v_cmp_eq_u32_e64 s[6:7], 3, v0
	v_cndmask_b32_e32 v94, v33, v35, vcc
	v_cndmask_b32_e64 v94, v94, v37, s[2:3]
	v_cndmask_b32_e64 v94, v94, v39, s[6:7]
	v_cmp_eq_u32_e64 s[8:9], 4, v0
	v_cmp_eq_u32_e64 s[10:11], 5, v0
	v_cmp_eq_u32_e64 s[12:13], 6, v0
	v_cndmask_b32_e64 v94, v94, v41, s[8:9]
	v_cndmask_b32_e64 v94, v94, v43, s[10:11]
	v_cndmask_b32_e64 v94, v94, v45, s[12:13]
	v_cmp_eq_u32_e64 s[14:15], 7, v0
	v_cmp_eq_u32_e64 s[16:17], 8, v0
	v_cmp_eq_u32_e64 s[18:19], 9, v0
	v_cndmask_b32_e64 v94, v94, v47, s[14:15]
	;; [unrolled: 6-line block ×3, first 2 shown]
	v_cndmask_b32_e64 v94, v94, v55, s[22:23]
	v_cndmask_b32_e64 v94, v94, v57, s[24:25]
	v_cmp_eq_u32_e64 s[26:27], 13, v0
	v_cmp_eq_u32_e64 s[28:29], 14, v0
	ds_read_b64 v[96:97], v99
	v_cndmask_b32_e64 v94, v94, v59, s[26:27]
	v_cndmask_b32_e64 v95, v94, v61, s[28:29]
	v_cndmask_b32_e32 v94, v32, v34, vcc
	v_cndmask_b32_e64 v94, v94, v36, s[2:3]
	v_cndmask_b32_e64 v94, v94, v38, s[6:7]
	;; [unrolled: 1-line block ×13, first 2 shown]
	s_waitcnt lgkmcnt(0)
	v_mul_f64 v[94:95], v[94:95], v[96:97]
	s_cbranch_execz .LBB14_101
	s_branch .LBB14_102
.LBB14_100:
                                        ; implicit-def: $vgpr94_vgpr95
.LBB14_101:
	ds_read_b64 v[94:95], v99
.LBB14_102:
	s_and_saveexec_b64 s[6:7], s[4:5]
	s_cbranch_execz .LBB14_112
; %bb.103:
	v_add_u32_e32 v96, -8, v0
	v_add_u32_e32 v97, -7, v0
	v_cmp_lt_u32_e32 vcc, 6, v96
	v_mov_b32_e32 v96, 7
	s_and_saveexec_b64 s[2:3], vcc
	s_cbranch_execz .LBB14_107
; %bb.104:
	v_and_b32_e32 v96, -8, v97
	v_sub_u32_e32 v98, 0, v96
	s_mov_b64 s[4:5], 14
	s_movk_i32 s10, 0xb8
	s_mov_b64 s[8:9], 0
.LBB14_105:                             ; =>This Inner Loop Header: Depth=1
	s_lshl_b32 s11, s4, 1
	s_add_i32 s12, s11, -13
	v_mov_b32_e32 v114, s10
	s_add_i32 s13, s11, -14
	s_set_gpr_idx_on s12, gpr_idx(SRC0)
	v_mov_b32_e32 v109, v32
	s_set_gpr_idx_off
	s_add_i32 s14, s11, -11
	s_set_gpr_idx_on s13, gpr_idx(SRC0)
	v_mov_b32_e32 v108, v32
	s_set_gpr_idx_off
	ds_read2_b64 v[100:103], v114 offset1:1
	s_add_i32 s15, s11, -12
	s_set_gpr_idx_on s14, gpr_idx(SRC0)
	v_mov_b32_e32 v111, v32
	s_set_gpr_idx_off
	s_add_i32 s16, s11, -9
	s_set_gpr_idx_on s15, gpr_idx(SRC0)
	v_mov_b32_e32 v110, v32
	s_set_gpr_idx_off
	;; [unrolled: 4-line block ×4, first 2 shown]
	ds_read2_b64 v[104:107], v114 offset0:2 offset1:3
	s_add_i32 s19, s11, -8
	s_waitcnt lgkmcnt(1)
	v_fmac_f64_e32 v[94:95], v[108:109], v[100:101]
	s_set_gpr_idx_on s18, gpr_idx(SRC0)
	v_mov_b32_e32 v109, v32
	s_set_gpr_idx_off
	s_add_i32 s20, s11, -5
	v_fmac_f64_e32 v[94:95], v[110:111], v[102:103]
	s_set_gpr_idx_on s19, gpr_idx(SRC0)
	v_mov_b32_e32 v108, v32
	s_set_gpr_idx_off
	s_add_i32 s21, s11, -6
	s_set_gpr_idx_on s20, gpr_idx(SRC0)
	v_mov_b32_e32 v111, v32
	s_set_gpr_idx_off
	s_add_i32 s22, s11, -3
	s_set_gpr_idx_on s21, gpr_idx(SRC0)
	v_mov_b32_e32 v110, v32
	s_set_gpr_idx_off
	s_add_i32 s23, s11, -4
	ds_read2_b64 v[100:103], v114 offset0:4 offset1:5
	s_waitcnt lgkmcnt(1)
	v_fmac_f64_e32 v[94:95], v[112:113], v[104:105]
	s_set_gpr_idx_on s22, gpr_idx(SRC0)
	v_mov_b32_e32 v113, v32
	s_set_gpr_idx_off
	s_add_i32 s24, s11, -1
	v_fmac_f64_e32 v[94:95], v[108:109], v[106:107]
	s_set_gpr_idx_on s23, gpr_idx(SRC0)
	v_mov_b32_e32 v112, v32
	s_set_gpr_idx_off
	s_add_i32 s25, s11, -2
	s_set_gpr_idx_on s24, gpr_idx(SRC0)
	v_mov_b32_e32 v109, v32
	s_set_gpr_idx_off
	s_set_gpr_idx_on s25, gpr_idx(SRC0)
	v_mov_b32_e32 v108, v32
	s_set_gpr_idx_off
	ds_read2_b64 v[104:107], v114 offset0:6 offset1:7
	s_add_u32 s4, s4, 8
	s_waitcnt lgkmcnt(1)
	v_fmac_f64_e32 v[94:95], v[110:111], v[100:101]
	s_set_gpr_idx_on s11, gpr_idx(SRC0)
	v_mov_b32_e32 v101, v33
	s_set_gpr_idx_off
	v_add_u32_e32 v96, s4, v98
	v_fmac_f64_e32 v[94:95], v[112:113], v[102:103]
	s_set_gpr_idx_on s11, gpr_idx(SRC0)
	v_mov_b32_e32 v100, v32
	s_set_gpr_idx_off
	s_addc_u32 s5, s5, 0
	s_add_i32 s10, s10, 64
	s_add_i32 s12, s4, -7
	v_cmp_eq_u32_e32 vcc, 14, v96
	s_waitcnt lgkmcnt(0)
	v_fmac_f64_e32 v[94:95], v[108:109], v[104:105]
	v_mov_b32_e32 v96, s12
	s_or_b64 s[8:9], vcc, s[8:9]
	v_fmac_f64_e32 v[94:95], v[100:101], v[106:107]
	s_andn2_b64 exec, exec, s[8:9]
	s_cbranch_execnz .LBB14_105
; %bb.106:
	s_or_b64 exec, exec, s[8:9]
.LBB14_107:
	s_or_b64 exec, exec, s[2:3]
	v_and_b32_e32 v62, 7, v97
	v_cmp_ne_u32_e32 vcc, 0, v62
	s_and_saveexec_b64 s[8:9], vcc
	s_cbranch_execz .LBB14_111
; %bb.108:
	v_mov_b32_e32 v63, 0x80
	v_lshl_add_u32 v63, v96, 3, v63
	v_mov_b32_e32 v97, 0
	s_mov_b64 s[10:11], 0
.LBB14_109:                             ; =>This Inner Loop Header: Depth=1
	v_cmp_eq_u32_e32 vcc, 1, v96
	v_add_u32_e32 v62, -1, v62
	v_cmp_eq_u32_e64 s[2:3], 2, v96
	v_cndmask_b32_e32 v98, v33, v35, vcc
	v_cndmask_b32_e32 v102, v32, v34, vcc
	v_cndmask_b32_e64 v98, v98, v37, s[2:3]
	v_cmp_eq_u32_e32 vcc, 0, v62
	v_cmp_eq_u32_e64 s[4:5], 3, v96
	v_cndmask_b32_e64 v102, v102, v36, s[2:3]
	s_or_b64 s[10:11], vcc, s[10:11]
	v_cndmask_b32_e64 v98, v98, v39, s[4:5]
	v_cmp_eq_u32_e32 vcc, 4, v96
	v_cndmask_b32_e64 v102, v102, v38, s[4:5]
	v_cmp_eq_u32_e64 s[2:3], 5, v96
	v_cndmask_b32_e32 v98, v98, v41, vcc
	v_cndmask_b32_e32 v102, v102, v40, vcc
	v_cndmask_b32_e64 v98, v98, v43, s[2:3]
	v_cmp_eq_u32_e32 vcc, 6, v96
	v_cndmask_b32_e64 v102, v102, v42, s[2:3]
	v_cmp_eq_u32_e64 s[2:3], 7, v96
	v_cndmask_b32_e32 v98, v98, v45, vcc
	v_cndmask_b32_e32 v102, v102, v44, vcc
	;; [unrolled: 6-line block ×3, first 2 shown]
	v_cndmask_b32_e64 v98, v98, v51, s[2:3]
	v_cmp_eq_u32_e32 vcc, 10, v96
	v_cndmask_b32_e64 v102, v102, v50, s[2:3]
	v_cmp_eq_u32_e64 s[2:3], 11, v96
	v_cndmask_b32_e32 v98, v98, v53, vcc
	ds_read_b64 v[100:101], v63
	v_cndmask_b32_e64 v98, v98, v55, s[2:3]
	v_cndmask_b32_e32 v102, v102, v52, vcc
	v_cmp_eq_u32_e32 vcc, 12, v96
	v_cndmask_b32_e64 v102, v102, v54, s[2:3]
	v_cmp_eq_u32_e64 s[2:3], 13, v96
	v_cndmask_b32_e32 v98, v98, v57, vcc
	v_cmp_eq_u32_e64 s[4:5], 14, v96
	v_cndmask_b32_e64 v98, v98, v59, s[2:3]
	v_cndmask_b32_e32 v102, v102, v56, vcc
	v_cndmask_b32_e64 v103, v98, v61, s[4:5]
	v_cndmask_b32_e64 v98, v102, v58, s[2:3]
	;; [unrolled: 1-line block ×3, first 2 shown]
	v_add_u32_e32 v63, 8, v63
	v_lshl_add_u64 v[96:97], v[96:97], 0, 1
	s_waitcnt lgkmcnt(0)
	v_fmac_f64_e32 v[94:95], v[102:103], v[100:101]
	s_andn2_b64 exec, exec, s[10:11]
	s_cbranch_execnz .LBB14_109
; %bb.110:
	s_or_b64 exec, exec, s[10:11]
.LBB14_111:
	s_or_b64 exec, exec, s[8:9]
.LBB14_112:
	s_or_b64 exec, exec, s[6:7]
	v_mov_b32_e32 v44, 0
	ds_read_b64 v[44:45], v44 offset:48
	s_waitcnt lgkmcnt(0)
	v_mul_f64 v[44:45], v[94:95], v[44:45]
.LBB14_113:
	s_or_b64 exec, exec, s[34:35]
	v_cmp_lt_u32_e64 s[2:3], 5, v0
	ds_write_b64 v99, v[42:43]
	s_waitcnt lgkmcnt(0)
	; wave barrier
	s_and_saveexec_b64 s[34:35], s[2:3]
	s_cbranch_execz .LBB14_129
; %bb.114:
	s_andn2_b64 vcc, exec, s[30:31]
	s_cbranch_vccnz .LBB14_116
; %bb.115:
	v_cmp_eq_u32_e32 vcc, 1, v0
	v_cmp_eq_u32_e64 s[4:5], 2, v0
	v_cmp_eq_u32_e64 s[6:7], 3, v0
	v_cndmask_b32_e32 v94, v33, v35, vcc
	v_cndmask_b32_e64 v94, v94, v37, s[4:5]
	v_cndmask_b32_e64 v94, v94, v39, s[6:7]
	v_cmp_eq_u32_e64 s[8:9], 4, v0
	v_cmp_eq_u32_e64 s[10:11], 5, v0
	v_cmp_eq_u32_e64 s[12:13], 6, v0
	v_cndmask_b32_e64 v94, v94, v41, s[8:9]
	v_cndmask_b32_e64 v94, v94, v43, s[10:11]
	v_cndmask_b32_e64 v94, v94, v45, s[12:13]
	v_cmp_eq_u32_e64 s[14:15], 7, v0
	v_cmp_eq_u32_e64 s[16:17], 8, v0
	v_cmp_eq_u32_e64 s[18:19], 9, v0
	v_cndmask_b32_e64 v94, v94, v47, s[14:15]
	v_cndmask_b32_e64 v94, v94, v49, s[16:17]
	v_cndmask_b32_e64 v94, v94, v51, s[18:19]
	v_cmp_eq_u32_e64 s[20:21], 10, v0
	v_cmp_eq_u32_e64 s[22:23], 11, v0
	v_cmp_eq_u32_e64 s[24:25], 12, v0
	v_cndmask_b32_e64 v94, v94, v53, s[20:21]
	v_cndmask_b32_e64 v94, v94, v55, s[22:23]
	v_cndmask_b32_e64 v94, v94, v57, s[24:25]
	v_cmp_eq_u32_e64 s[26:27], 13, v0
	v_cmp_eq_u32_e64 s[28:29], 14, v0
	ds_read_b64 v[96:97], v99
	v_cndmask_b32_e64 v94, v94, v59, s[26:27]
	v_cndmask_b32_e64 v95, v94, v61, s[28:29]
	v_cndmask_b32_e32 v94, v32, v34, vcc
	v_cndmask_b32_e64 v94, v94, v36, s[4:5]
	v_cndmask_b32_e64 v94, v94, v38, s[6:7]
	;; [unrolled: 1-line block ×13, first 2 shown]
	s_waitcnt lgkmcnt(0)
	v_mul_f64 v[94:95], v[94:95], v[96:97]
	s_cbranch_execz .LBB14_117
	s_branch .LBB14_118
.LBB14_116:
                                        ; implicit-def: $vgpr94_vgpr95
.LBB14_117:
	ds_read_b64 v[94:95], v99
.LBB14_118:
	s_and_saveexec_b64 s[6:7], s[0:1]
	s_cbranch_execz .LBB14_128
; %bb.119:
	v_add_u32_e32 v98, -7, v0
	v_add_u32_e32 v97, -6, v0
	v_mov_b32_e32 v96, 6
	v_cmp_lt_u32_e32 vcc, 6, v98
	s_and_saveexec_b64 s[0:1], vcc
	s_cbranch_execz .LBB14_123
; %bb.120:
	v_and_b32_e32 v96, -8, v97
	v_sub_u32_e32 v98, 0, v96
	s_mov_b64 s[4:5], 13
	s_movk_i32 s10, 0xb0
	s_mov_b64 s[8:9], 0
.LBB14_121:                             ; =>This Inner Loop Header: Depth=1
	s_lshl_b32 s11, s4, 1
	s_add_i32 s12, s11, -13
	s_add_i32 s13, s11, -14
	s_set_gpr_idx_on s12, gpr_idx(SRC0)
	v_mov_b32_e32 v117, v32
	s_set_gpr_idx_off
	v_mov_b32_e32 v96, s10
	s_add_i32 s14, s11, -11
	s_set_gpr_idx_on s13, gpr_idx(SRC0)
	v_mov_b32_e32 v116, v32
	s_set_gpr_idx_off
	s_add_i32 s15, s11, -12
	ds_read_b128 v[100:103], v96
	ds_read_b128 v[104:107], v96 offset:16
	ds_read_b128 v[108:111], v96 offset:32
	;; [unrolled: 1-line block ×3, first 2 shown]
	s_set_gpr_idx_on s14, gpr_idx(SRC0)
	v_mov_b32_e32 v119, v32
	s_set_gpr_idx_off
	s_add_i32 s16, s11, -9
	s_set_gpr_idx_on s15, gpr_idx(SRC0)
	v_mov_b32_e32 v118, v32
	s_set_gpr_idx_off
	s_add_i32 s17, s11, -10
	s_set_gpr_idx_on s16, gpr_idx(SRC0)
	v_mov_b32_e32 v121, v32
	s_set_gpr_idx_off
	s_add_i32 s18, s11, -7
	s_set_gpr_idx_on s17, gpr_idx(SRC0)
	v_mov_b32_e32 v120, v32
	s_set_gpr_idx_off
	s_add_i32 s19, s11, -8
	s_waitcnt lgkmcnt(3)
	v_fmac_f64_e32 v[94:95], v[116:117], v[100:101]
	s_set_gpr_idx_on s18, gpr_idx(SRC0)
	v_mov_b32_e32 v101, v32
	s_set_gpr_idx_off
	s_add_i32 s20, s11, -5
	v_fmac_f64_e32 v[94:95], v[118:119], v[102:103]
	s_set_gpr_idx_on s19, gpr_idx(SRC0)
	v_mov_b32_e32 v100, v32
	s_set_gpr_idx_off
	s_add_i32 s21, s11, -6
	s_waitcnt lgkmcnt(2)
	v_fmac_f64_e32 v[94:95], v[120:121], v[104:105]
	s_set_gpr_idx_on s20, gpr_idx(SRC0)
	v_mov_b32_e32 v103, v32
	s_set_gpr_idx_off
	s_add_i32 s22, s11, -3
	v_fmac_f64_e32 v[94:95], v[100:101], v[106:107]
	s_set_gpr_idx_on s21, gpr_idx(SRC0)
	v_mov_b32_e32 v102, v32
	s_set_gpr_idx_off
	s_add_i32 s23, s11, -4
	s_waitcnt lgkmcnt(1)
	v_fmac_f64_e32 v[94:95], v[102:103], v[108:109]
	s_set_gpr_idx_on s22, gpr_idx(SRC0)
	v_mov_b32_e32 v101, v32
	s_set_gpr_idx_off
	s_add_i32 s24, s11, -1
	s_set_gpr_idx_on s23, gpr_idx(SRC0)
	v_mov_b32_e32 v100, v32
	s_set_gpr_idx_off
	s_add_i32 s25, s11, -2
	v_fmac_f64_e32 v[94:95], v[100:101], v[110:111]
	s_set_gpr_idx_on s24, gpr_idx(SRC0)
	v_mov_b32_e32 v101, v32
	s_set_gpr_idx_off
	s_add_u32 s4, s4, 8
	s_set_gpr_idx_on s25, gpr_idx(SRC0)
	v_mov_b32_e32 v100, v32
	s_set_gpr_idx_off
	v_add_u32_e32 v96, s4, v98
	s_waitcnt lgkmcnt(0)
	v_fmac_f64_e32 v[94:95], v[100:101], v[112:113]
	s_set_gpr_idx_on s11, gpr_idx(SRC0)
	v_mov_b32_e32 v101, v33
	s_set_gpr_idx_off
	s_addc_u32 s5, s5, 0
	s_add_i32 s10, s10, 64
	s_add_i32 s12, s4, -7
	v_cmp_eq_u32_e32 vcc, 13, v96
	s_set_gpr_idx_on s11, gpr_idx(SRC0)
	v_mov_b32_e32 v100, v32
	s_set_gpr_idx_off
	v_mov_b32_e32 v96, s12
	s_or_b64 s[8:9], vcc, s[8:9]
	v_fmac_f64_e32 v[94:95], v[100:101], v[114:115]
	s_andn2_b64 exec, exec, s[8:9]
	s_cbranch_execnz .LBB14_121
; %bb.122:
	s_or_b64 exec, exec, s[8:9]
.LBB14_123:
	s_or_b64 exec, exec, s[0:1]
	v_and_b32_e32 v62, 7, v97
	v_cmp_ne_u32_e32 vcc, 0, v62
	s_and_saveexec_b64 s[8:9], vcc
	s_cbranch_execz .LBB14_127
; %bb.124:
	v_mov_b32_e32 v63, 0x80
	v_lshl_add_u32 v63, v96, 3, v63
	v_mov_b32_e32 v97, 0
	s_mov_b64 s[10:11], 0
.LBB14_125:                             ; =>This Inner Loop Header: Depth=1
	v_cmp_eq_u32_e32 vcc, 1, v96
	v_add_u32_e32 v62, -1, v62
	v_cmp_eq_u32_e64 s[0:1], 2, v96
	v_cndmask_b32_e32 v98, v33, v35, vcc
	v_cndmask_b32_e32 v102, v32, v34, vcc
	v_cndmask_b32_e64 v98, v98, v37, s[0:1]
	v_cmp_eq_u32_e32 vcc, 0, v62
	v_cmp_eq_u32_e64 s[4:5], 3, v96
	v_cndmask_b32_e64 v102, v102, v36, s[0:1]
	s_or_b64 s[10:11], vcc, s[10:11]
	v_cndmask_b32_e64 v98, v98, v39, s[4:5]
	v_cmp_eq_u32_e32 vcc, 4, v96
	v_cndmask_b32_e64 v102, v102, v38, s[4:5]
	v_cmp_eq_u32_e64 s[0:1], 5, v96
	v_cndmask_b32_e32 v98, v98, v41, vcc
	v_cndmask_b32_e32 v102, v102, v40, vcc
	v_cndmask_b32_e64 v98, v98, v43, s[0:1]
	v_cmp_eq_u32_e32 vcc, 6, v96
	v_cndmask_b32_e64 v102, v102, v42, s[0:1]
	v_cmp_eq_u32_e64 s[0:1], 7, v96
	v_cndmask_b32_e32 v98, v98, v45, vcc
	v_cndmask_b32_e32 v102, v102, v44, vcc
	;; [unrolled: 6-line block ×3, first 2 shown]
	v_cndmask_b32_e64 v98, v98, v51, s[0:1]
	v_cmp_eq_u32_e32 vcc, 10, v96
	v_cndmask_b32_e64 v102, v102, v50, s[0:1]
	v_cmp_eq_u32_e64 s[0:1], 11, v96
	v_cndmask_b32_e32 v98, v98, v53, vcc
	ds_read_b64 v[100:101], v63
	v_cndmask_b32_e64 v98, v98, v55, s[0:1]
	v_cndmask_b32_e32 v102, v102, v52, vcc
	v_cmp_eq_u32_e32 vcc, 12, v96
	v_cndmask_b32_e64 v102, v102, v54, s[0:1]
	v_cmp_eq_u32_e64 s[0:1], 13, v96
	v_cndmask_b32_e32 v98, v98, v57, vcc
	v_cmp_eq_u32_e64 s[4:5], 14, v96
	v_cndmask_b32_e64 v98, v98, v59, s[0:1]
	v_cndmask_b32_e32 v102, v102, v56, vcc
	v_cndmask_b32_e64 v103, v98, v61, s[4:5]
	v_cndmask_b32_e64 v98, v102, v58, s[0:1]
	v_cndmask_b32_e64 v102, v98, v60, s[4:5]
	v_add_u32_e32 v63, 8, v63
	v_lshl_add_u64 v[96:97], v[96:97], 0, 1
	s_waitcnt lgkmcnt(0)
	v_fmac_f64_e32 v[94:95], v[102:103], v[100:101]
	s_andn2_b64 exec, exec, s[10:11]
	s_cbranch_execnz .LBB14_125
; %bb.126:
	s_or_b64 exec, exec, s[10:11]
.LBB14_127:
	s_or_b64 exec, exec, s[8:9]
.LBB14_128:
	s_or_b64 exec, exec, s[6:7]
	v_mov_b32_e32 v42, 0
	ds_read_b64 v[42:43], v42 offset:40
	s_waitcnt lgkmcnt(0)
	v_mul_f64 v[42:43], v[94:95], v[42:43]
.LBB14_129:
	s_or_b64 exec, exec, s[34:35]
	v_cmp_lt_u32_e64 s[0:1], 4, v0
	ds_write_b64 v99, v[40:41]
	s_waitcnt lgkmcnt(0)
	; wave barrier
	s_and_saveexec_b64 s[34:35], s[0:1]
	s_cbranch_execz .LBB14_145
; %bb.130:
	s_andn2_b64 vcc, exec, s[30:31]
	s_cbranch_vccnz .LBB14_132
; %bb.131:
	v_cmp_eq_u32_e32 vcc, 1, v0
	v_cmp_eq_u32_e64 s[4:5], 2, v0
	v_cmp_eq_u32_e64 s[6:7], 3, v0
	v_cndmask_b32_e32 v94, v33, v35, vcc
	v_cndmask_b32_e64 v94, v94, v37, s[4:5]
	v_cndmask_b32_e64 v94, v94, v39, s[6:7]
	v_cmp_eq_u32_e64 s[8:9], 4, v0
	v_cmp_eq_u32_e64 s[10:11], 5, v0
	v_cmp_eq_u32_e64 s[12:13], 6, v0
	v_cndmask_b32_e64 v94, v94, v41, s[8:9]
	v_cndmask_b32_e64 v94, v94, v43, s[10:11]
	v_cndmask_b32_e64 v94, v94, v45, s[12:13]
	v_cmp_eq_u32_e64 s[14:15], 7, v0
	v_cmp_eq_u32_e64 s[16:17], 8, v0
	v_cmp_eq_u32_e64 s[18:19], 9, v0
	v_cndmask_b32_e64 v94, v94, v47, s[14:15]
	;; [unrolled: 6-line block ×3, first 2 shown]
	v_cndmask_b32_e64 v94, v94, v55, s[22:23]
	v_cndmask_b32_e64 v94, v94, v57, s[24:25]
	v_cmp_eq_u32_e64 s[26:27], 13, v0
	v_cmp_eq_u32_e64 s[28:29], 14, v0
	ds_read_b64 v[96:97], v99
	v_cndmask_b32_e64 v94, v94, v59, s[26:27]
	v_cndmask_b32_e64 v95, v94, v61, s[28:29]
	v_cndmask_b32_e32 v94, v32, v34, vcc
	v_cndmask_b32_e64 v94, v94, v36, s[4:5]
	v_cndmask_b32_e64 v94, v94, v38, s[6:7]
	;; [unrolled: 1-line block ×13, first 2 shown]
	s_waitcnt lgkmcnt(0)
	v_mul_f64 v[94:95], v[94:95], v[96:97]
	s_cbranch_execz .LBB14_133
	s_branch .LBB14_134
.LBB14_132:
                                        ; implicit-def: $vgpr94_vgpr95
.LBB14_133:
	ds_read_b64 v[94:95], v99
.LBB14_134:
	s_and_saveexec_b64 s[6:7], s[2:3]
	s_cbranch_execz .LBB14_144
; %bb.135:
	v_add_u32_e32 v96, -6, v0
	v_add_u32_e32 v97, -5, v0
	v_cmp_lt_u32_e32 vcc, 6, v96
	v_mov_b32_e32 v96, 5
	s_and_saveexec_b64 s[2:3], vcc
	s_cbranch_execz .LBB14_139
; %bb.136:
	v_and_b32_e32 v96, -8, v97
	v_sub_u32_e32 v98, 0, v96
	s_mov_b64 s[4:5], 12
	s_movk_i32 s10, 0xa8
	s_mov_b64 s[8:9], 0
.LBB14_137:                             ; =>This Inner Loop Header: Depth=1
	s_lshl_b32 s11, s4, 1
	s_add_i32 s12, s11, -13
	v_mov_b32_e32 v114, s10
	s_add_i32 s13, s11, -14
	s_set_gpr_idx_on s12, gpr_idx(SRC0)
	v_mov_b32_e32 v109, v32
	s_set_gpr_idx_off
	s_add_i32 s14, s11, -11
	s_set_gpr_idx_on s13, gpr_idx(SRC0)
	v_mov_b32_e32 v108, v32
	s_set_gpr_idx_off
	ds_read2_b64 v[100:103], v114 offset1:1
	s_add_i32 s15, s11, -12
	s_set_gpr_idx_on s14, gpr_idx(SRC0)
	v_mov_b32_e32 v111, v32
	s_set_gpr_idx_off
	s_add_i32 s16, s11, -9
	s_set_gpr_idx_on s15, gpr_idx(SRC0)
	v_mov_b32_e32 v110, v32
	s_set_gpr_idx_off
	;; [unrolled: 4-line block ×4, first 2 shown]
	ds_read2_b64 v[104:107], v114 offset0:2 offset1:3
	s_add_i32 s19, s11, -8
	s_waitcnt lgkmcnt(1)
	v_fmac_f64_e32 v[94:95], v[108:109], v[100:101]
	s_set_gpr_idx_on s18, gpr_idx(SRC0)
	v_mov_b32_e32 v109, v32
	s_set_gpr_idx_off
	s_add_i32 s20, s11, -5
	v_fmac_f64_e32 v[94:95], v[110:111], v[102:103]
	s_set_gpr_idx_on s19, gpr_idx(SRC0)
	v_mov_b32_e32 v108, v32
	s_set_gpr_idx_off
	s_add_i32 s21, s11, -6
	s_set_gpr_idx_on s20, gpr_idx(SRC0)
	v_mov_b32_e32 v111, v32
	s_set_gpr_idx_off
	s_add_i32 s22, s11, -3
	;; [unrolled: 4-line block ×3, first 2 shown]
	ds_read2_b64 v[100:103], v114 offset0:4 offset1:5
	s_waitcnt lgkmcnt(1)
	v_fmac_f64_e32 v[94:95], v[112:113], v[104:105]
	s_set_gpr_idx_on s22, gpr_idx(SRC0)
	v_mov_b32_e32 v113, v32
	s_set_gpr_idx_off
	s_add_i32 s24, s11, -1
	v_fmac_f64_e32 v[94:95], v[108:109], v[106:107]
	s_set_gpr_idx_on s23, gpr_idx(SRC0)
	v_mov_b32_e32 v112, v32
	s_set_gpr_idx_off
	s_add_i32 s25, s11, -2
	s_set_gpr_idx_on s24, gpr_idx(SRC0)
	v_mov_b32_e32 v109, v32
	s_set_gpr_idx_off
	s_set_gpr_idx_on s25, gpr_idx(SRC0)
	v_mov_b32_e32 v108, v32
	s_set_gpr_idx_off
	ds_read2_b64 v[104:107], v114 offset0:6 offset1:7
	s_add_u32 s4, s4, 8
	s_waitcnt lgkmcnt(1)
	v_fmac_f64_e32 v[94:95], v[110:111], v[100:101]
	s_set_gpr_idx_on s11, gpr_idx(SRC0)
	v_mov_b32_e32 v101, v33
	s_set_gpr_idx_off
	v_add_u32_e32 v96, s4, v98
	v_fmac_f64_e32 v[94:95], v[112:113], v[102:103]
	s_set_gpr_idx_on s11, gpr_idx(SRC0)
	v_mov_b32_e32 v100, v32
	s_set_gpr_idx_off
	s_addc_u32 s5, s5, 0
	s_add_i32 s10, s10, 64
	s_add_i32 s12, s4, -7
	v_cmp_eq_u32_e32 vcc, 12, v96
	s_waitcnt lgkmcnt(0)
	v_fmac_f64_e32 v[94:95], v[108:109], v[104:105]
	v_mov_b32_e32 v96, s12
	s_or_b64 s[8:9], vcc, s[8:9]
	v_fmac_f64_e32 v[94:95], v[100:101], v[106:107]
	s_andn2_b64 exec, exec, s[8:9]
	s_cbranch_execnz .LBB14_137
; %bb.138:
	s_or_b64 exec, exec, s[8:9]
.LBB14_139:
	s_or_b64 exec, exec, s[2:3]
	v_and_b32_e32 v62, 7, v97
	v_cmp_ne_u32_e32 vcc, 0, v62
	s_and_saveexec_b64 s[8:9], vcc
	s_cbranch_execz .LBB14_143
; %bb.140:
	v_mov_b32_e32 v63, 0x80
	v_lshl_add_u32 v63, v96, 3, v63
	v_mov_b32_e32 v97, 0
	s_mov_b64 s[10:11], 0
.LBB14_141:                             ; =>This Inner Loop Header: Depth=1
	v_cmp_eq_u32_e32 vcc, 1, v96
	v_add_u32_e32 v62, -1, v62
	v_cmp_eq_u32_e64 s[2:3], 2, v96
	v_cndmask_b32_e32 v98, v33, v35, vcc
	v_cndmask_b32_e32 v102, v32, v34, vcc
	v_cndmask_b32_e64 v98, v98, v37, s[2:3]
	v_cmp_eq_u32_e32 vcc, 0, v62
	v_cmp_eq_u32_e64 s[4:5], 3, v96
	v_cndmask_b32_e64 v102, v102, v36, s[2:3]
	s_or_b64 s[10:11], vcc, s[10:11]
	v_cndmask_b32_e64 v98, v98, v39, s[4:5]
	v_cmp_eq_u32_e32 vcc, 4, v96
	v_cndmask_b32_e64 v102, v102, v38, s[4:5]
	v_cmp_eq_u32_e64 s[2:3], 5, v96
	v_cndmask_b32_e32 v98, v98, v41, vcc
	v_cndmask_b32_e32 v102, v102, v40, vcc
	v_cndmask_b32_e64 v98, v98, v43, s[2:3]
	v_cmp_eq_u32_e32 vcc, 6, v96
	v_cndmask_b32_e64 v102, v102, v42, s[2:3]
	v_cmp_eq_u32_e64 s[2:3], 7, v96
	v_cndmask_b32_e32 v98, v98, v45, vcc
	v_cndmask_b32_e32 v102, v102, v44, vcc
	;; [unrolled: 6-line block ×3, first 2 shown]
	v_cndmask_b32_e64 v98, v98, v51, s[2:3]
	v_cmp_eq_u32_e32 vcc, 10, v96
	v_cndmask_b32_e64 v102, v102, v50, s[2:3]
	v_cmp_eq_u32_e64 s[2:3], 11, v96
	v_cndmask_b32_e32 v98, v98, v53, vcc
	ds_read_b64 v[100:101], v63
	v_cndmask_b32_e64 v98, v98, v55, s[2:3]
	v_cndmask_b32_e32 v102, v102, v52, vcc
	v_cmp_eq_u32_e32 vcc, 12, v96
	v_cndmask_b32_e64 v102, v102, v54, s[2:3]
	v_cmp_eq_u32_e64 s[2:3], 13, v96
	v_cndmask_b32_e32 v98, v98, v57, vcc
	v_cmp_eq_u32_e64 s[4:5], 14, v96
	v_cndmask_b32_e64 v98, v98, v59, s[2:3]
	v_cndmask_b32_e32 v102, v102, v56, vcc
	v_cndmask_b32_e64 v103, v98, v61, s[4:5]
	v_cndmask_b32_e64 v98, v102, v58, s[2:3]
	v_cndmask_b32_e64 v102, v98, v60, s[4:5]
	v_add_u32_e32 v63, 8, v63
	v_lshl_add_u64 v[96:97], v[96:97], 0, 1
	s_waitcnt lgkmcnt(0)
	v_fmac_f64_e32 v[94:95], v[102:103], v[100:101]
	s_andn2_b64 exec, exec, s[10:11]
	s_cbranch_execnz .LBB14_141
; %bb.142:
	s_or_b64 exec, exec, s[10:11]
.LBB14_143:
	s_or_b64 exec, exec, s[8:9]
.LBB14_144:
	s_or_b64 exec, exec, s[6:7]
	v_mov_b32_e32 v40, 0
	ds_read_b64 v[40:41], v40 offset:32
	s_waitcnt lgkmcnt(0)
	v_mul_f64 v[40:41], v[94:95], v[40:41]
.LBB14_145:
	s_or_b64 exec, exec, s[34:35]
	v_cmp_lt_u32_e64 s[2:3], 3, v0
	ds_write_b64 v99, v[38:39]
	s_waitcnt lgkmcnt(0)
	; wave barrier
	s_and_saveexec_b64 s[34:35], s[2:3]
	s_cbranch_execz .LBB14_161
; %bb.146:
	s_andn2_b64 vcc, exec, s[30:31]
	s_cbranch_vccnz .LBB14_148
; %bb.147:
	v_cmp_eq_u32_e32 vcc, 1, v0
	v_cmp_eq_u32_e64 s[4:5], 2, v0
	v_cmp_eq_u32_e64 s[6:7], 3, v0
	v_cndmask_b32_e32 v94, v33, v35, vcc
	v_cndmask_b32_e64 v94, v94, v37, s[4:5]
	v_cndmask_b32_e64 v94, v94, v39, s[6:7]
	v_cmp_eq_u32_e64 s[8:9], 4, v0
	v_cmp_eq_u32_e64 s[10:11], 5, v0
	v_cmp_eq_u32_e64 s[12:13], 6, v0
	v_cndmask_b32_e64 v94, v94, v41, s[8:9]
	v_cndmask_b32_e64 v94, v94, v43, s[10:11]
	v_cndmask_b32_e64 v94, v94, v45, s[12:13]
	v_cmp_eq_u32_e64 s[14:15], 7, v0
	v_cmp_eq_u32_e64 s[16:17], 8, v0
	v_cmp_eq_u32_e64 s[18:19], 9, v0
	v_cndmask_b32_e64 v94, v94, v47, s[14:15]
	;; [unrolled: 6-line block ×3, first 2 shown]
	v_cndmask_b32_e64 v94, v94, v55, s[22:23]
	v_cndmask_b32_e64 v94, v94, v57, s[24:25]
	v_cmp_eq_u32_e64 s[26:27], 13, v0
	v_cmp_eq_u32_e64 s[28:29], 14, v0
	ds_read_b64 v[96:97], v99
	v_cndmask_b32_e64 v94, v94, v59, s[26:27]
	v_cndmask_b32_e64 v95, v94, v61, s[28:29]
	v_cndmask_b32_e32 v94, v32, v34, vcc
	v_cndmask_b32_e64 v94, v94, v36, s[4:5]
	v_cndmask_b32_e64 v94, v94, v38, s[6:7]
	;; [unrolled: 1-line block ×13, first 2 shown]
	s_waitcnt lgkmcnt(0)
	v_mul_f64 v[94:95], v[94:95], v[96:97]
	s_cbranch_execz .LBB14_149
	s_branch .LBB14_150
.LBB14_148:
                                        ; implicit-def: $vgpr94_vgpr95
.LBB14_149:
	ds_read_b64 v[94:95], v99
.LBB14_150:
	s_and_saveexec_b64 s[6:7], s[0:1]
	s_cbranch_execz .LBB14_160
; %bb.151:
	v_add_u32_e32 v96, -5, v0
	v_add_u32_e32 v97, -4, v0
	v_cmp_lt_u32_e32 vcc, 6, v96
	v_mov_b32_e32 v96, 4
	s_and_saveexec_b64 s[0:1], vcc
	s_cbranch_execz .LBB14_155
; %bb.152:
	v_and_b32_e32 v96, -8, v97
	v_sub_u32_e32 v98, 0, v96
	s_mov_b64 s[4:5], 5
	s_movk_i32 s10, 0xa0
	s_mov_b64 s[8:9], 0
.LBB14_153:                             ; =>This Inner Loop Header: Depth=1
	s_lshl_b32 s11, s4, 1
	s_add_i32 s12, s11, -1
	s_add_i32 s13, s11, -2
	s_set_gpr_idx_on s12, gpr_idx(SRC0)
	v_mov_b32_e32 v117, v32
	s_set_gpr_idx_off
	v_mov_b32_e32 v96, s10
	s_set_gpr_idx_on s13, gpr_idx(SRC0)
	v_mov_b32_e32 v116, v32
	s_set_gpr_idx_off
	ds_read_b128 v[100:103], v96
	ds_read_b128 v[104:107], v96 offset:16
	ds_read_b128 v[108:111], v96 offset:32
	;; [unrolled: 1-line block ×3, first 2 shown]
	s_set_gpr_idx_on s11, gpr_idx(SRC0)
	v_mov_b32_e32 v119, v33
	s_add_i32 s14, s11, 3
	v_mov_b32_e32 v118, v32
	s_set_gpr_idx_off
	s_add_i32 s15, s11, 2
	s_set_gpr_idx_on s14, gpr_idx(SRC0)
	v_mov_b32_e32 v121, v32
	s_set_gpr_idx_off
	s_add_i32 s16, s11, 5
	s_set_gpr_idx_on s15, gpr_idx(SRC0)
	v_mov_b32_e32 v120, v32
	s_set_gpr_idx_off
	s_add_i32 s17, s11, 4
	s_waitcnt lgkmcnt(3)
	v_fmac_f64_e32 v[94:95], v[116:117], v[100:101]
	s_set_gpr_idx_on s16, gpr_idx(SRC0)
	v_mov_b32_e32 v101, v32
	s_set_gpr_idx_off
	s_add_i32 s18, s11, 7
	v_fmac_f64_e32 v[94:95], v[118:119], v[102:103]
	s_set_gpr_idx_on s17, gpr_idx(SRC0)
	v_mov_b32_e32 v100, v32
	s_set_gpr_idx_off
	s_add_i32 s19, s11, 6
	s_waitcnt lgkmcnt(2)
	v_fmac_f64_e32 v[94:95], v[120:121], v[104:105]
	s_set_gpr_idx_on s18, gpr_idx(SRC0)
	v_mov_b32_e32 v103, v32
	s_set_gpr_idx_off
	s_add_i32 s20, s11, 9
	v_fmac_f64_e32 v[94:95], v[100:101], v[106:107]
	s_set_gpr_idx_on s19, gpr_idx(SRC0)
	v_mov_b32_e32 v102, v32
	s_set_gpr_idx_off
	s_add_i32 s21, s11, 8
	s_waitcnt lgkmcnt(1)
	v_fmac_f64_e32 v[94:95], v[102:103], v[108:109]
	s_set_gpr_idx_on s20, gpr_idx(SRC0)
	v_mov_b32_e32 v101, v32
	s_set_gpr_idx_off
	s_add_i32 s22, s11, 11
	s_set_gpr_idx_on s21, gpr_idx(SRC0)
	v_mov_b32_e32 v100, v32
	s_set_gpr_idx_off
	s_add_i32 s23, s11, 10
	s_add_i32 s24, s11, 13
	;; [unrolled: 1-line block ×3, first 2 shown]
	v_fmac_f64_e32 v[94:95], v[100:101], v[110:111]
	s_set_gpr_idx_on s22, gpr_idx(SRC0)
	v_mov_b32_e32 v101, v32
	s_set_gpr_idx_off
	s_add_u32 s4, s4, 8
	s_set_gpr_idx_on s23, gpr_idx(SRC0)
	v_mov_b32_e32 v100, v32
	s_set_gpr_idx_off
	v_add_u32_e32 v96, s4, v98
	s_waitcnt lgkmcnt(0)
	v_fmac_f64_e32 v[94:95], v[100:101], v[112:113]
	s_set_gpr_idx_on s24, gpr_idx(SRC0)
	v_mov_b32_e32 v101, v32
	s_set_gpr_idx_off
	s_addc_u32 s5, s5, 0
	s_add_i32 s10, s10, 64
	s_add_i32 s12, s4, -1
	v_cmp_eq_u32_e32 vcc, 5, v96
	s_set_gpr_idx_on s25, gpr_idx(SRC0)
	v_mov_b32_e32 v100, v32
	s_set_gpr_idx_off
	v_mov_b32_e32 v96, s12
	s_or_b64 s[8:9], vcc, s[8:9]
	v_fmac_f64_e32 v[94:95], v[100:101], v[114:115]
	s_andn2_b64 exec, exec, s[8:9]
	s_cbranch_execnz .LBB14_153
; %bb.154:
	s_or_b64 exec, exec, s[8:9]
.LBB14_155:
	s_or_b64 exec, exec, s[0:1]
	v_and_b32_e32 v62, 7, v97
	v_cmp_ne_u32_e32 vcc, 0, v62
	s_and_saveexec_b64 s[8:9], vcc
	s_cbranch_execz .LBB14_159
; %bb.156:
	v_mov_b32_e32 v63, 0x80
	v_lshl_add_u32 v63, v96, 3, v63
	v_mov_b32_e32 v97, 0
	s_mov_b64 s[10:11], 0
.LBB14_157:                             ; =>This Inner Loop Header: Depth=1
	v_cmp_eq_u32_e32 vcc, 1, v96
	v_add_u32_e32 v62, -1, v62
	v_cmp_eq_u32_e64 s[0:1], 2, v96
	v_cndmask_b32_e32 v98, v33, v35, vcc
	v_cndmask_b32_e32 v102, v32, v34, vcc
	v_cndmask_b32_e64 v98, v98, v37, s[0:1]
	v_cmp_eq_u32_e32 vcc, 0, v62
	v_cmp_eq_u32_e64 s[4:5], 3, v96
	v_cndmask_b32_e64 v102, v102, v36, s[0:1]
	s_or_b64 s[10:11], vcc, s[10:11]
	v_cndmask_b32_e64 v98, v98, v39, s[4:5]
	v_cmp_eq_u32_e32 vcc, 4, v96
	v_cndmask_b32_e64 v102, v102, v38, s[4:5]
	v_cmp_eq_u32_e64 s[0:1], 5, v96
	v_cndmask_b32_e32 v98, v98, v41, vcc
	v_cndmask_b32_e32 v102, v102, v40, vcc
	v_cndmask_b32_e64 v98, v98, v43, s[0:1]
	v_cmp_eq_u32_e32 vcc, 6, v96
	v_cndmask_b32_e64 v102, v102, v42, s[0:1]
	v_cmp_eq_u32_e64 s[0:1], 7, v96
	v_cndmask_b32_e32 v98, v98, v45, vcc
	v_cndmask_b32_e32 v102, v102, v44, vcc
	;; [unrolled: 6-line block ×3, first 2 shown]
	v_cndmask_b32_e64 v98, v98, v51, s[0:1]
	v_cmp_eq_u32_e32 vcc, 10, v96
	v_cndmask_b32_e64 v102, v102, v50, s[0:1]
	v_cmp_eq_u32_e64 s[0:1], 11, v96
	v_cndmask_b32_e32 v98, v98, v53, vcc
	ds_read_b64 v[100:101], v63
	v_cndmask_b32_e64 v98, v98, v55, s[0:1]
	v_cndmask_b32_e32 v102, v102, v52, vcc
	v_cmp_eq_u32_e32 vcc, 12, v96
	v_cndmask_b32_e64 v102, v102, v54, s[0:1]
	v_cmp_eq_u32_e64 s[0:1], 13, v96
	v_cndmask_b32_e32 v98, v98, v57, vcc
	v_cmp_eq_u32_e64 s[4:5], 14, v96
	v_cndmask_b32_e64 v98, v98, v59, s[0:1]
	v_cndmask_b32_e32 v102, v102, v56, vcc
	v_cndmask_b32_e64 v103, v98, v61, s[4:5]
	v_cndmask_b32_e64 v98, v102, v58, s[0:1]
	;; [unrolled: 1-line block ×3, first 2 shown]
	v_add_u32_e32 v63, 8, v63
	v_lshl_add_u64 v[96:97], v[96:97], 0, 1
	s_waitcnt lgkmcnt(0)
	v_fmac_f64_e32 v[94:95], v[102:103], v[100:101]
	s_andn2_b64 exec, exec, s[10:11]
	s_cbranch_execnz .LBB14_157
; %bb.158:
	s_or_b64 exec, exec, s[10:11]
.LBB14_159:
	s_or_b64 exec, exec, s[8:9]
.LBB14_160:
	s_or_b64 exec, exec, s[6:7]
	v_mov_b32_e32 v38, 0
	ds_read_b64 v[38:39], v38 offset:24
	s_waitcnt lgkmcnt(0)
	v_mul_f64 v[38:39], v[94:95], v[38:39]
.LBB14_161:
	s_or_b64 exec, exec, s[34:35]
	v_cmp_lt_u32_e64 s[0:1], 2, v0
	ds_write_b64 v99, v[36:37]
	s_waitcnt lgkmcnt(0)
	; wave barrier
	s_and_saveexec_b64 s[34:35], s[0:1]
	s_cbranch_execz .LBB14_177
; %bb.162:
	s_andn2_b64 vcc, exec, s[30:31]
	s_cbranch_vccnz .LBB14_164
; %bb.163:
	v_cmp_eq_u32_e32 vcc, 1, v0
	v_cmp_eq_u32_e64 s[4:5], 2, v0
	v_cmp_eq_u32_e64 s[6:7], 3, v0
	v_cndmask_b32_e32 v94, v33, v35, vcc
	v_cndmask_b32_e64 v94, v94, v37, s[4:5]
	v_cndmask_b32_e64 v94, v94, v39, s[6:7]
	v_cmp_eq_u32_e64 s[8:9], 4, v0
	v_cmp_eq_u32_e64 s[10:11], 5, v0
	v_cmp_eq_u32_e64 s[12:13], 6, v0
	v_cndmask_b32_e64 v94, v94, v41, s[8:9]
	v_cndmask_b32_e64 v94, v94, v43, s[10:11]
	v_cndmask_b32_e64 v94, v94, v45, s[12:13]
	v_cmp_eq_u32_e64 s[14:15], 7, v0
	v_cmp_eq_u32_e64 s[16:17], 8, v0
	v_cmp_eq_u32_e64 s[18:19], 9, v0
	v_cndmask_b32_e64 v94, v94, v47, s[14:15]
	;; [unrolled: 6-line block ×3, first 2 shown]
	v_cndmask_b32_e64 v94, v94, v55, s[22:23]
	v_cndmask_b32_e64 v94, v94, v57, s[24:25]
	v_cmp_eq_u32_e64 s[26:27], 13, v0
	v_cmp_eq_u32_e64 s[28:29], 14, v0
	ds_read_b64 v[96:97], v99
	v_cndmask_b32_e64 v94, v94, v59, s[26:27]
	v_cndmask_b32_e64 v95, v94, v61, s[28:29]
	v_cndmask_b32_e32 v94, v32, v34, vcc
	v_cndmask_b32_e64 v94, v94, v36, s[4:5]
	v_cndmask_b32_e64 v94, v94, v38, s[6:7]
	;; [unrolled: 1-line block ×13, first 2 shown]
	s_waitcnt lgkmcnt(0)
	v_mul_f64 v[94:95], v[94:95], v[96:97]
	s_cbranch_execz .LBB14_165
	s_branch .LBB14_166
.LBB14_164:
                                        ; implicit-def: $vgpr94_vgpr95
.LBB14_165:
	ds_read_b64 v[94:95], v99
.LBB14_166:
	s_and_saveexec_b64 s[6:7], s[2:3]
	s_cbranch_execz .LBB14_176
; %bb.167:
	v_add_u32_e32 v96, -4, v0
	v_add_u32_e32 v97, -3, v0
	v_cmp_lt_u32_e32 vcc, 6, v96
	v_mov_b32_e32 v96, 3
	s_and_saveexec_b64 s[2:3], vcc
	s_cbranch_execz .LBB14_171
; %bb.168:
	v_and_b32_e32 v96, -8, v97
	v_sub_u32_e32 v98, 0, v96
	s_mov_b64 s[4:5], 10
	s_movk_i32 s10, 0x98
	s_mov_b64 s[8:9], 0
.LBB14_169:                             ; =>This Inner Loop Header: Depth=1
	s_lshl_b32 s11, s4, 1
	s_add_i32 s12, s11, -13
	v_mov_b32_e32 v114, s10
	s_add_i32 s13, s11, -14
	s_set_gpr_idx_on s12, gpr_idx(SRC0)
	v_mov_b32_e32 v109, v32
	s_set_gpr_idx_off
	s_add_i32 s14, s11, -11
	s_set_gpr_idx_on s13, gpr_idx(SRC0)
	v_mov_b32_e32 v108, v32
	s_set_gpr_idx_off
	ds_read2_b64 v[100:103], v114 offset1:1
	s_add_i32 s15, s11, -12
	s_set_gpr_idx_on s14, gpr_idx(SRC0)
	v_mov_b32_e32 v111, v32
	s_set_gpr_idx_off
	s_add_i32 s16, s11, -9
	s_set_gpr_idx_on s15, gpr_idx(SRC0)
	v_mov_b32_e32 v110, v32
	s_set_gpr_idx_off
	;; [unrolled: 4-line block ×4, first 2 shown]
	ds_read2_b64 v[104:107], v114 offset0:2 offset1:3
	s_add_i32 s19, s11, -8
	s_waitcnt lgkmcnt(1)
	v_fmac_f64_e32 v[94:95], v[108:109], v[100:101]
	s_set_gpr_idx_on s18, gpr_idx(SRC0)
	v_mov_b32_e32 v109, v32
	s_set_gpr_idx_off
	s_add_i32 s20, s11, -5
	v_fmac_f64_e32 v[94:95], v[110:111], v[102:103]
	s_set_gpr_idx_on s19, gpr_idx(SRC0)
	v_mov_b32_e32 v108, v32
	s_set_gpr_idx_off
	s_add_i32 s21, s11, -6
	s_set_gpr_idx_on s20, gpr_idx(SRC0)
	v_mov_b32_e32 v111, v32
	s_set_gpr_idx_off
	s_add_i32 s22, s11, -3
	;; [unrolled: 4-line block ×3, first 2 shown]
	ds_read2_b64 v[100:103], v114 offset0:4 offset1:5
	s_waitcnt lgkmcnt(1)
	v_fmac_f64_e32 v[94:95], v[112:113], v[104:105]
	s_set_gpr_idx_on s22, gpr_idx(SRC0)
	v_mov_b32_e32 v113, v32
	s_set_gpr_idx_off
	s_add_i32 s24, s11, -1
	v_fmac_f64_e32 v[94:95], v[108:109], v[106:107]
	s_set_gpr_idx_on s23, gpr_idx(SRC0)
	v_mov_b32_e32 v112, v32
	s_set_gpr_idx_off
	s_add_i32 s25, s11, -2
	s_set_gpr_idx_on s24, gpr_idx(SRC0)
	v_mov_b32_e32 v109, v32
	s_set_gpr_idx_off
	s_set_gpr_idx_on s25, gpr_idx(SRC0)
	v_mov_b32_e32 v108, v32
	s_set_gpr_idx_off
	ds_read2_b64 v[104:107], v114 offset0:6 offset1:7
	s_add_u32 s4, s4, 8
	s_waitcnt lgkmcnt(1)
	v_fmac_f64_e32 v[94:95], v[110:111], v[100:101]
	s_set_gpr_idx_on s11, gpr_idx(SRC0)
	v_mov_b32_e32 v101, v33
	s_set_gpr_idx_off
	v_add_u32_e32 v96, s4, v98
	v_fmac_f64_e32 v[94:95], v[112:113], v[102:103]
	s_set_gpr_idx_on s11, gpr_idx(SRC0)
	v_mov_b32_e32 v100, v32
	s_set_gpr_idx_off
	s_addc_u32 s5, s5, 0
	s_add_i32 s10, s10, 64
	s_add_i32 s12, s4, -7
	v_cmp_eq_u32_e32 vcc, 10, v96
	s_waitcnt lgkmcnt(0)
	v_fmac_f64_e32 v[94:95], v[108:109], v[104:105]
	v_mov_b32_e32 v96, s12
	s_or_b64 s[8:9], vcc, s[8:9]
	v_fmac_f64_e32 v[94:95], v[100:101], v[106:107]
	s_andn2_b64 exec, exec, s[8:9]
	s_cbranch_execnz .LBB14_169
; %bb.170:
	s_or_b64 exec, exec, s[8:9]
.LBB14_171:
	s_or_b64 exec, exec, s[2:3]
	v_and_b32_e32 v62, 7, v97
	v_cmp_ne_u32_e32 vcc, 0, v62
	s_and_saveexec_b64 s[8:9], vcc
	s_cbranch_execz .LBB14_175
; %bb.172:
	v_mov_b32_e32 v63, 0x80
	v_lshl_add_u32 v63, v96, 3, v63
	v_mov_b32_e32 v97, 0
	s_mov_b64 s[10:11], 0
.LBB14_173:                             ; =>This Inner Loop Header: Depth=1
	v_cmp_eq_u32_e32 vcc, 1, v96
	v_add_u32_e32 v62, -1, v62
	v_cmp_eq_u32_e64 s[2:3], 2, v96
	v_cndmask_b32_e32 v98, v33, v35, vcc
	v_cndmask_b32_e32 v102, v32, v34, vcc
	v_cndmask_b32_e64 v98, v98, v37, s[2:3]
	v_cmp_eq_u32_e32 vcc, 0, v62
	v_cmp_eq_u32_e64 s[4:5], 3, v96
	v_cndmask_b32_e64 v102, v102, v36, s[2:3]
	s_or_b64 s[10:11], vcc, s[10:11]
	v_cndmask_b32_e64 v98, v98, v39, s[4:5]
	v_cmp_eq_u32_e32 vcc, 4, v96
	v_cndmask_b32_e64 v102, v102, v38, s[4:5]
	v_cmp_eq_u32_e64 s[2:3], 5, v96
	v_cndmask_b32_e32 v98, v98, v41, vcc
	v_cndmask_b32_e32 v102, v102, v40, vcc
	v_cndmask_b32_e64 v98, v98, v43, s[2:3]
	v_cmp_eq_u32_e32 vcc, 6, v96
	v_cndmask_b32_e64 v102, v102, v42, s[2:3]
	v_cmp_eq_u32_e64 s[2:3], 7, v96
	v_cndmask_b32_e32 v98, v98, v45, vcc
	v_cndmask_b32_e32 v102, v102, v44, vcc
	;; [unrolled: 6-line block ×3, first 2 shown]
	v_cndmask_b32_e64 v98, v98, v51, s[2:3]
	v_cmp_eq_u32_e32 vcc, 10, v96
	v_cndmask_b32_e64 v102, v102, v50, s[2:3]
	v_cmp_eq_u32_e64 s[2:3], 11, v96
	v_cndmask_b32_e32 v98, v98, v53, vcc
	ds_read_b64 v[100:101], v63
	v_cndmask_b32_e64 v98, v98, v55, s[2:3]
	v_cndmask_b32_e32 v102, v102, v52, vcc
	v_cmp_eq_u32_e32 vcc, 12, v96
	v_cndmask_b32_e64 v102, v102, v54, s[2:3]
	v_cmp_eq_u32_e64 s[2:3], 13, v96
	v_cndmask_b32_e32 v98, v98, v57, vcc
	v_cmp_eq_u32_e64 s[4:5], 14, v96
	v_cndmask_b32_e64 v98, v98, v59, s[2:3]
	v_cndmask_b32_e32 v102, v102, v56, vcc
	v_cndmask_b32_e64 v103, v98, v61, s[4:5]
	v_cndmask_b32_e64 v98, v102, v58, s[2:3]
	;; [unrolled: 1-line block ×3, first 2 shown]
	v_add_u32_e32 v63, 8, v63
	v_lshl_add_u64 v[96:97], v[96:97], 0, 1
	s_waitcnt lgkmcnt(0)
	v_fmac_f64_e32 v[94:95], v[102:103], v[100:101]
	s_andn2_b64 exec, exec, s[10:11]
	s_cbranch_execnz .LBB14_173
; %bb.174:
	s_or_b64 exec, exec, s[10:11]
.LBB14_175:
	s_or_b64 exec, exec, s[8:9]
.LBB14_176:
	s_or_b64 exec, exec, s[6:7]
	v_mov_b32_e32 v36, 0
	ds_read_b64 v[36:37], v36 offset:16
	s_waitcnt lgkmcnt(0)
	v_mul_f64 v[36:37], v[94:95], v[36:37]
.LBB14_177:
	s_or_b64 exec, exec, s[34:35]
	v_cmp_lt_u32_e64 s[2:3], 1, v0
	ds_write_b64 v99, v[34:35]
	s_waitcnt lgkmcnt(0)
	; wave barrier
	s_and_saveexec_b64 s[34:35], s[2:3]
	s_cbranch_execz .LBB14_193
; %bb.178:
	s_andn2_b64 vcc, exec, s[30:31]
	s_cbranch_vccnz .LBB14_180
; %bb.179:
	v_cmp_eq_u32_e32 vcc, 1, v0
	v_cmp_eq_u32_e64 s[4:5], 2, v0
	v_cmp_eq_u32_e64 s[6:7], 3, v0
	v_cndmask_b32_e32 v94, v33, v35, vcc
	v_cndmask_b32_e64 v94, v94, v37, s[4:5]
	v_cndmask_b32_e64 v94, v94, v39, s[6:7]
	v_cmp_eq_u32_e64 s[8:9], 4, v0
	v_cmp_eq_u32_e64 s[10:11], 5, v0
	v_cmp_eq_u32_e64 s[12:13], 6, v0
	v_cndmask_b32_e64 v94, v94, v41, s[8:9]
	v_cndmask_b32_e64 v94, v94, v43, s[10:11]
	v_cndmask_b32_e64 v94, v94, v45, s[12:13]
	v_cmp_eq_u32_e64 s[14:15], 7, v0
	v_cmp_eq_u32_e64 s[16:17], 8, v0
	v_cmp_eq_u32_e64 s[18:19], 9, v0
	v_cndmask_b32_e64 v94, v94, v47, s[14:15]
	;; [unrolled: 6-line block ×3, first 2 shown]
	v_cndmask_b32_e64 v94, v94, v55, s[22:23]
	v_cndmask_b32_e64 v94, v94, v57, s[24:25]
	v_cmp_eq_u32_e64 s[26:27], 13, v0
	v_cmp_eq_u32_e64 s[28:29], 14, v0
	ds_read_b64 v[96:97], v99
	v_cndmask_b32_e64 v94, v94, v59, s[26:27]
	v_cndmask_b32_e64 v95, v94, v61, s[28:29]
	v_cndmask_b32_e32 v94, v32, v34, vcc
	v_cndmask_b32_e64 v94, v94, v36, s[4:5]
	v_cndmask_b32_e64 v94, v94, v38, s[6:7]
	v_cndmask_b32_e64 v94, v94, v40, s[8:9]
	v_cndmask_b32_e64 v94, v94, v42, s[10:11]
	v_cndmask_b32_e64 v94, v94, v44, s[12:13]
	v_cndmask_b32_e64 v94, v94, v46, s[14:15]
	v_cndmask_b32_e64 v94, v94, v48, s[16:17]
	v_cndmask_b32_e64 v94, v94, v50, s[18:19]
	v_cndmask_b32_e64 v94, v94, v52, s[20:21]
	v_cndmask_b32_e64 v94, v94, v54, s[22:23]
	v_cndmask_b32_e64 v94, v94, v56, s[24:25]
	v_cndmask_b32_e64 v94, v94, v58, s[26:27]
	v_cndmask_b32_e64 v94, v94, v60, s[28:29]
	s_waitcnt lgkmcnt(0)
	v_mul_f64 v[94:95], v[94:95], v[96:97]
	s_cbranch_execz .LBB14_181
	s_branch .LBB14_182
.LBB14_180:
                                        ; implicit-def: $vgpr94_vgpr95
.LBB14_181:
	ds_read_b64 v[94:95], v99
.LBB14_182:
	s_and_saveexec_b64 s[6:7], s[0:1]
	s_cbranch_execz .LBB14_192
; %bb.183:
	v_add_u32_e32 v96, -3, v0
	v_add_u32_e32 v97, -2, v0
	v_cmp_lt_u32_e32 vcc, 6, v96
	v_mov_b32_e32 v96, 2
	s_and_saveexec_b64 s[0:1], vcc
	s_cbranch_execz .LBB14_187
; %bb.184:
	v_and_b32_e32 v96, -8, v97
	v_sub_u32_e32 v98, 0, v96
	s_mov_b64 s[4:5], 9
	s_movk_i32 s10, 0x90
	s_mov_b64 s[8:9], 0
.LBB14_185:                             ; =>This Inner Loop Header: Depth=1
	s_lshl_b32 s11, s4, 1
	s_add_i32 s12, s11, -13
	s_add_i32 s13, s11, -14
	s_set_gpr_idx_on s12, gpr_idx(SRC0)
	v_mov_b32_e32 v117, v32
	s_set_gpr_idx_off
	v_mov_b32_e32 v96, s10
	s_add_i32 s14, s11, -11
	s_set_gpr_idx_on s13, gpr_idx(SRC0)
	v_mov_b32_e32 v116, v32
	s_set_gpr_idx_off
	s_add_i32 s15, s11, -12
	ds_read_b128 v[100:103], v96
	ds_read_b128 v[104:107], v96 offset:16
	ds_read_b128 v[108:111], v96 offset:32
	;; [unrolled: 1-line block ×3, first 2 shown]
	s_set_gpr_idx_on s14, gpr_idx(SRC0)
	v_mov_b32_e32 v119, v32
	s_set_gpr_idx_off
	s_add_i32 s16, s11, -9
	s_set_gpr_idx_on s15, gpr_idx(SRC0)
	v_mov_b32_e32 v118, v32
	s_set_gpr_idx_off
	s_add_i32 s17, s11, -10
	;; [unrolled: 4-line block ×4, first 2 shown]
	s_waitcnt lgkmcnt(3)
	v_fmac_f64_e32 v[94:95], v[116:117], v[100:101]
	s_set_gpr_idx_on s18, gpr_idx(SRC0)
	v_mov_b32_e32 v101, v32
	s_set_gpr_idx_off
	s_add_i32 s20, s11, -5
	v_fmac_f64_e32 v[94:95], v[118:119], v[102:103]
	s_set_gpr_idx_on s19, gpr_idx(SRC0)
	v_mov_b32_e32 v100, v32
	s_set_gpr_idx_off
	s_add_i32 s21, s11, -6
	s_waitcnt lgkmcnt(2)
	v_fmac_f64_e32 v[94:95], v[120:121], v[104:105]
	s_set_gpr_idx_on s20, gpr_idx(SRC0)
	v_mov_b32_e32 v103, v32
	s_set_gpr_idx_off
	s_add_i32 s22, s11, -3
	v_fmac_f64_e32 v[94:95], v[100:101], v[106:107]
	s_set_gpr_idx_on s21, gpr_idx(SRC0)
	v_mov_b32_e32 v102, v32
	s_set_gpr_idx_off
	s_add_i32 s23, s11, -4
	s_waitcnt lgkmcnt(1)
	v_fmac_f64_e32 v[94:95], v[102:103], v[108:109]
	s_set_gpr_idx_on s22, gpr_idx(SRC0)
	v_mov_b32_e32 v101, v32
	s_set_gpr_idx_off
	s_add_i32 s24, s11, -1
	s_set_gpr_idx_on s23, gpr_idx(SRC0)
	v_mov_b32_e32 v100, v32
	s_set_gpr_idx_off
	s_add_i32 s25, s11, -2
	v_fmac_f64_e32 v[94:95], v[100:101], v[110:111]
	s_set_gpr_idx_on s24, gpr_idx(SRC0)
	v_mov_b32_e32 v101, v32
	s_set_gpr_idx_off
	s_add_u32 s4, s4, 8
	s_set_gpr_idx_on s25, gpr_idx(SRC0)
	v_mov_b32_e32 v100, v32
	s_set_gpr_idx_off
	v_add_u32_e32 v96, s4, v98
	s_waitcnt lgkmcnt(0)
	v_fmac_f64_e32 v[94:95], v[100:101], v[112:113]
	s_set_gpr_idx_on s11, gpr_idx(SRC0)
	v_mov_b32_e32 v101, v33
	s_set_gpr_idx_off
	s_addc_u32 s5, s5, 0
	s_add_i32 s10, s10, 64
	s_add_i32 s12, s4, -7
	v_cmp_eq_u32_e32 vcc, 9, v96
	s_set_gpr_idx_on s11, gpr_idx(SRC0)
	v_mov_b32_e32 v100, v32
	s_set_gpr_idx_off
	v_mov_b32_e32 v96, s12
	s_or_b64 s[8:9], vcc, s[8:9]
	v_fmac_f64_e32 v[94:95], v[100:101], v[114:115]
	s_andn2_b64 exec, exec, s[8:9]
	s_cbranch_execnz .LBB14_185
; %bb.186:
	s_or_b64 exec, exec, s[8:9]
.LBB14_187:
	s_or_b64 exec, exec, s[0:1]
	v_and_b32_e32 v62, 7, v97
	v_cmp_ne_u32_e32 vcc, 0, v62
	s_and_saveexec_b64 s[8:9], vcc
	s_cbranch_execz .LBB14_191
; %bb.188:
	v_mov_b32_e32 v63, 0x80
	v_lshl_add_u32 v63, v96, 3, v63
	v_mov_b32_e32 v97, 0
	s_mov_b64 s[10:11], 0
.LBB14_189:                             ; =>This Inner Loop Header: Depth=1
	v_cmp_eq_u32_e32 vcc, 1, v96
	v_add_u32_e32 v62, -1, v62
	v_cmp_eq_u32_e64 s[0:1], 2, v96
	v_cndmask_b32_e32 v98, v33, v35, vcc
	v_cndmask_b32_e32 v102, v32, v34, vcc
	v_cndmask_b32_e64 v98, v98, v37, s[0:1]
	v_cmp_eq_u32_e32 vcc, 0, v62
	v_cmp_eq_u32_e64 s[4:5], 3, v96
	v_cndmask_b32_e64 v102, v102, v36, s[0:1]
	s_or_b64 s[10:11], vcc, s[10:11]
	v_cndmask_b32_e64 v98, v98, v39, s[4:5]
	v_cmp_eq_u32_e32 vcc, 4, v96
	v_cndmask_b32_e64 v102, v102, v38, s[4:5]
	v_cmp_eq_u32_e64 s[0:1], 5, v96
	v_cndmask_b32_e32 v98, v98, v41, vcc
	v_cndmask_b32_e32 v102, v102, v40, vcc
	v_cndmask_b32_e64 v98, v98, v43, s[0:1]
	v_cmp_eq_u32_e32 vcc, 6, v96
	v_cndmask_b32_e64 v102, v102, v42, s[0:1]
	v_cmp_eq_u32_e64 s[0:1], 7, v96
	v_cndmask_b32_e32 v98, v98, v45, vcc
	v_cndmask_b32_e32 v102, v102, v44, vcc
	;; [unrolled: 6-line block ×3, first 2 shown]
	v_cndmask_b32_e64 v98, v98, v51, s[0:1]
	v_cmp_eq_u32_e32 vcc, 10, v96
	v_cndmask_b32_e64 v102, v102, v50, s[0:1]
	v_cmp_eq_u32_e64 s[0:1], 11, v96
	v_cndmask_b32_e32 v98, v98, v53, vcc
	ds_read_b64 v[100:101], v63
	v_cndmask_b32_e64 v98, v98, v55, s[0:1]
	v_cndmask_b32_e32 v102, v102, v52, vcc
	v_cmp_eq_u32_e32 vcc, 12, v96
	v_cndmask_b32_e64 v102, v102, v54, s[0:1]
	v_cmp_eq_u32_e64 s[0:1], 13, v96
	v_cndmask_b32_e32 v98, v98, v57, vcc
	v_cmp_eq_u32_e64 s[4:5], 14, v96
	v_cndmask_b32_e64 v98, v98, v59, s[0:1]
	v_cndmask_b32_e32 v102, v102, v56, vcc
	v_cndmask_b32_e64 v103, v98, v61, s[4:5]
	v_cndmask_b32_e64 v98, v102, v58, s[0:1]
	v_cndmask_b32_e64 v102, v98, v60, s[4:5]
	v_add_u32_e32 v63, 8, v63
	v_lshl_add_u64 v[96:97], v[96:97], 0, 1
	s_waitcnt lgkmcnt(0)
	v_fmac_f64_e32 v[94:95], v[102:103], v[100:101]
	s_andn2_b64 exec, exec, s[10:11]
	s_cbranch_execnz .LBB14_189
; %bb.190:
	s_or_b64 exec, exec, s[10:11]
.LBB14_191:
	s_or_b64 exec, exec, s[8:9]
.LBB14_192:
	s_or_b64 exec, exec, s[6:7]
	v_mov_b32_e32 v34, 0
	ds_read_b64 v[34:35], v34 offset:8
	s_waitcnt lgkmcnt(0)
	v_mul_f64 v[34:35], v[94:95], v[34:35]
.LBB14_193:
	s_or_b64 exec, exec, s[34:35]
	v_cmp_ne_u32_e32 vcc, 0, v0
	ds_write_b64 v99, v[32:33]
	s_waitcnt lgkmcnt(0)
	; wave barrier
	s_and_saveexec_b64 s[28:29], vcc
	s_cbranch_execz .LBB14_209
; %bb.194:
	s_andn2_b64 vcc, exec, s[30:31]
	s_cbranch_vccnz .LBB14_196
; %bb.195:
	v_cmp_eq_u32_e32 vcc, 1, v0
	v_cmp_eq_u32_e64 s[0:1], 2, v0
	v_cmp_eq_u32_e64 s[4:5], 3, v0
	v_cndmask_b32_e32 v94, v33, v35, vcc
	v_cndmask_b32_e64 v94, v94, v37, s[0:1]
	v_cndmask_b32_e64 v94, v94, v39, s[4:5]
	v_cmp_eq_u32_e64 s[6:7], 4, v0
	v_cmp_eq_u32_e64 s[8:9], 5, v0
	v_cmp_eq_u32_e64 s[10:11], 6, v0
	v_cndmask_b32_e64 v94, v94, v41, s[6:7]
	v_cndmask_b32_e64 v94, v94, v43, s[8:9]
	v_cndmask_b32_e64 v94, v94, v45, s[10:11]
	v_cmp_eq_u32_e64 s[12:13], 7, v0
	v_cmp_eq_u32_e64 s[14:15], 8, v0
	v_cmp_eq_u32_e64 s[16:17], 9, v0
	v_cndmask_b32_e64 v94, v94, v47, s[12:13]
	;; [unrolled: 6-line block ×3, first 2 shown]
	v_cndmask_b32_e64 v94, v94, v55, s[20:21]
	v_cndmask_b32_e64 v94, v94, v57, s[22:23]
	v_cmp_eq_u32_e64 s[24:25], 13, v0
	v_cmp_eq_u32_e64 s[26:27], 14, v0
	ds_read_b64 v[96:97], v99
	v_cndmask_b32_e64 v94, v94, v59, s[24:25]
	v_cndmask_b32_e64 v95, v94, v61, s[26:27]
	v_cndmask_b32_e32 v94, v32, v34, vcc
	v_cndmask_b32_e64 v94, v94, v36, s[0:1]
	v_cndmask_b32_e64 v94, v94, v38, s[4:5]
	;; [unrolled: 1-line block ×13, first 2 shown]
	s_waitcnt lgkmcnt(0)
	v_mul_f64 v[94:95], v[94:95], v[96:97]
	s_cbranch_execz .LBB14_197
	s_branch .LBB14_198
.LBB14_196:
                                        ; implicit-def: $vgpr94_vgpr95
.LBB14_197:
	ds_read_b64 v[94:95], v99
.LBB14_198:
	s_and_saveexec_b64 s[4:5], s[2:3]
	s_cbranch_execz .LBB14_208
; %bb.199:
	v_add_u32_e32 v96, -2, v0
	v_add_u32_e32 v97, -1, v0
	v_cmp_lt_u32_e32 vcc, 6, v96
	v_mov_b32_e32 v96, 1
	s_and_saveexec_b64 s[0:1], vcc
	s_cbranch_execz .LBB14_203
; %bb.200:
	v_and_b32_e32 v96, -8, v97
	v_sub_u32_e32 v98, 0, v96
	s_mov_b64 s[2:3], 8
	s_movk_i32 s8, 0x88
	s_mov_b64 s[6:7], 0
.LBB14_201:                             ; =>This Inner Loop Header: Depth=1
	s_lshl_b32 s9, s2, 1
	s_add_i32 s10, s9, -13
	v_mov_b32_e32 v114, s8
	s_add_i32 s11, s9, -14
	s_set_gpr_idx_on s10, gpr_idx(SRC0)
	v_mov_b32_e32 v109, v32
	s_set_gpr_idx_off
	s_add_i32 s12, s9, -11
	s_set_gpr_idx_on s11, gpr_idx(SRC0)
	v_mov_b32_e32 v108, v32
	s_set_gpr_idx_off
	ds_read2_b64 v[100:103], v114 offset1:1
	s_add_i32 s13, s9, -12
	s_set_gpr_idx_on s12, gpr_idx(SRC0)
	v_mov_b32_e32 v111, v32
	s_set_gpr_idx_off
	s_add_i32 s14, s9, -9
	s_set_gpr_idx_on s13, gpr_idx(SRC0)
	v_mov_b32_e32 v110, v32
	s_set_gpr_idx_off
	;; [unrolled: 4-line block ×4, first 2 shown]
	ds_read2_b64 v[104:107], v114 offset0:2 offset1:3
	s_add_i32 s17, s9, -8
	s_waitcnt lgkmcnt(1)
	v_fmac_f64_e32 v[94:95], v[108:109], v[100:101]
	s_set_gpr_idx_on s16, gpr_idx(SRC0)
	v_mov_b32_e32 v109, v32
	s_set_gpr_idx_off
	s_add_i32 s18, s9, -5
	v_fmac_f64_e32 v[94:95], v[110:111], v[102:103]
	s_set_gpr_idx_on s17, gpr_idx(SRC0)
	v_mov_b32_e32 v108, v32
	s_set_gpr_idx_off
	s_add_i32 s19, s9, -6
	s_set_gpr_idx_on s18, gpr_idx(SRC0)
	v_mov_b32_e32 v111, v32
	s_set_gpr_idx_off
	s_add_i32 s20, s9, -3
	;; [unrolled: 4-line block ×3, first 2 shown]
	ds_read2_b64 v[100:103], v114 offset0:4 offset1:5
	s_waitcnt lgkmcnt(1)
	v_fmac_f64_e32 v[94:95], v[112:113], v[104:105]
	s_set_gpr_idx_on s20, gpr_idx(SRC0)
	v_mov_b32_e32 v113, v32
	s_set_gpr_idx_off
	s_add_i32 s22, s9, -1
	v_fmac_f64_e32 v[94:95], v[108:109], v[106:107]
	s_set_gpr_idx_on s21, gpr_idx(SRC0)
	v_mov_b32_e32 v112, v32
	s_set_gpr_idx_off
	s_add_i32 s23, s9, -2
	s_set_gpr_idx_on s22, gpr_idx(SRC0)
	v_mov_b32_e32 v109, v32
	s_set_gpr_idx_off
	s_set_gpr_idx_on s23, gpr_idx(SRC0)
	v_mov_b32_e32 v108, v32
	s_set_gpr_idx_off
	ds_read2_b64 v[104:107], v114 offset0:6 offset1:7
	s_add_u32 s2, s2, 8
	s_waitcnt lgkmcnt(1)
	v_fmac_f64_e32 v[94:95], v[110:111], v[100:101]
	s_set_gpr_idx_on s9, gpr_idx(SRC0)
	v_mov_b32_e32 v101, v33
	s_set_gpr_idx_off
	v_add_u32_e32 v96, s2, v98
	v_fmac_f64_e32 v[94:95], v[112:113], v[102:103]
	s_set_gpr_idx_on s9, gpr_idx(SRC0)
	v_mov_b32_e32 v100, v32
	s_set_gpr_idx_off
	s_addc_u32 s3, s3, 0
	s_add_i32 s8, s8, 64
	s_add_i32 s10, s2, -7
	v_cmp_eq_u32_e32 vcc, 8, v96
	s_waitcnt lgkmcnt(0)
	v_fmac_f64_e32 v[94:95], v[108:109], v[104:105]
	v_mov_b32_e32 v96, s10
	s_or_b64 s[6:7], vcc, s[6:7]
	v_fmac_f64_e32 v[94:95], v[100:101], v[106:107]
	s_andn2_b64 exec, exec, s[6:7]
	s_cbranch_execnz .LBB14_201
; %bb.202:
	s_or_b64 exec, exec, s[6:7]
.LBB14_203:
	s_or_b64 exec, exec, s[0:1]
	v_and_b32_e32 v62, 7, v97
	v_cmp_ne_u32_e32 vcc, 0, v62
	s_and_saveexec_b64 s[6:7], vcc
	s_cbranch_execz .LBB14_207
; %bb.204:
	v_mov_b32_e32 v63, 0x80
	v_lshl_add_u32 v63, v96, 3, v63
	v_mov_b32_e32 v97, 0
	s_mov_b64 s[8:9], 0
.LBB14_205:                             ; =>This Inner Loop Header: Depth=1
	v_cmp_eq_u32_e32 vcc, 1, v96
	v_add_u32_e32 v62, -1, v62
	v_cmp_eq_u32_e64 s[0:1], 2, v96
	v_cndmask_b32_e32 v98, v33, v35, vcc
	v_cndmask_b32_e32 v102, v32, v34, vcc
	v_cndmask_b32_e64 v98, v98, v37, s[0:1]
	v_cmp_eq_u32_e32 vcc, 0, v62
	v_cmp_eq_u32_e64 s[2:3], 3, v96
	v_cndmask_b32_e64 v102, v102, v36, s[0:1]
	s_or_b64 s[8:9], vcc, s[8:9]
	v_cndmask_b32_e64 v98, v98, v39, s[2:3]
	v_cmp_eq_u32_e32 vcc, 4, v96
	v_cndmask_b32_e64 v102, v102, v38, s[2:3]
	v_cmp_eq_u32_e64 s[0:1], 5, v96
	v_cndmask_b32_e32 v98, v98, v41, vcc
	v_cndmask_b32_e32 v102, v102, v40, vcc
	v_cndmask_b32_e64 v98, v98, v43, s[0:1]
	v_cmp_eq_u32_e32 vcc, 6, v96
	v_cndmask_b32_e64 v102, v102, v42, s[0:1]
	v_cmp_eq_u32_e64 s[0:1], 7, v96
	v_cndmask_b32_e32 v98, v98, v45, vcc
	v_cndmask_b32_e32 v102, v102, v44, vcc
	;; [unrolled: 6-line block ×3, first 2 shown]
	v_cndmask_b32_e64 v98, v98, v51, s[0:1]
	v_cmp_eq_u32_e32 vcc, 10, v96
	v_cndmask_b32_e64 v102, v102, v50, s[0:1]
	v_cmp_eq_u32_e64 s[0:1], 11, v96
	v_cndmask_b32_e32 v98, v98, v53, vcc
	ds_read_b64 v[100:101], v63
	v_cndmask_b32_e64 v98, v98, v55, s[0:1]
	v_cndmask_b32_e32 v102, v102, v52, vcc
	v_cmp_eq_u32_e32 vcc, 12, v96
	v_cndmask_b32_e64 v102, v102, v54, s[0:1]
	v_cmp_eq_u32_e64 s[0:1], 13, v96
	v_cndmask_b32_e32 v98, v98, v57, vcc
	v_cmp_eq_u32_e64 s[2:3], 14, v96
	v_cndmask_b32_e64 v98, v98, v59, s[0:1]
	v_cndmask_b32_e32 v102, v102, v56, vcc
	v_cndmask_b32_e64 v103, v98, v61, s[2:3]
	v_cndmask_b32_e64 v98, v102, v58, s[0:1]
	;; [unrolled: 1-line block ×3, first 2 shown]
	v_add_u32_e32 v63, 8, v63
	v_lshl_add_u64 v[96:97], v[96:97], 0, 1
	s_waitcnt lgkmcnt(0)
	v_fmac_f64_e32 v[94:95], v[102:103], v[100:101]
	s_andn2_b64 exec, exec, s[8:9]
	s_cbranch_execnz .LBB14_205
; %bb.206:
	s_or_b64 exec, exec, s[8:9]
.LBB14_207:
	s_or_b64 exec, exec, s[6:7]
.LBB14_208:
	s_or_b64 exec, exec, s[4:5]
	v_mov_b32_e32 v32, 0
	ds_read_b64 v[32:33], v32
	s_waitcnt lgkmcnt(0)
	v_mul_f64 v[32:33], v[94:95], v[32:33]
.LBB14_209:
	s_or_b64 exec, exec, s[28:29]
	s_branch .LBB14_353
.LBB14_210:
	v_cmp_eq_u32_e64 s[2:3], 0, v0
	s_waitcnt vmcnt(14)
	ds_write_b64 v99, v[4:5]
	s_waitcnt lgkmcnt(0)
	; wave barrier
	s_and_saveexec_b64 s[28:29], s[2:3]
	s_cbranch_execz .LBB14_216
; %bb.211:
	s_and_b64 vcc, exec, s[30:31]
	s_cbranch_vccz .LBB14_213
; %bb.212:
	v_cmp_eq_u32_e32 vcc, 1, v0
	v_cmp_eq_u32_e64 s[0:1], 2, v0
	v_cmp_eq_u32_e64 s[4:5], 3, v0
	s_waitcnt vmcnt(2)
	v_cndmask_b32_e32 v5, v3, v5, vcc
	v_cndmask_b32_e32 v4, v2, v4, vcc
	v_cndmask_b32_e64 v5, v5, v7, s[0:1]
	v_cndmask_b32_e64 v4, v4, v6, s[0:1]
	v_cndmask_b32_e64 v5, v5, v9, s[4:5]
	v_cmp_eq_u32_e64 s[6:7], 4, v0
	v_cndmask_b32_e64 v4, v4, v8, s[4:5]
	v_cmp_eq_u32_e64 s[8:9], 5, v0
	v_cndmask_b32_e64 v5, v5, v11, s[6:7]
	v_cndmask_b32_e64 v4, v4, v10, s[6:7]
	v_cndmask_b32_e64 v5, v5, v13, s[8:9]
	v_cmp_eq_u32_e64 s[10:11], 6, v0
	v_cndmask_b32_e64 v4, v4, v12, s[8:9]
	v_cmp_eq_u32_e64 s[12:13], 7, v0
	;; [unrolled: 6-line block ×4, first 2 shown]
	v_cndmask_b32_e64 v5, v5, v23, s[18:19]
	v_cndmask_b32_e64 v4, v4, v22, s[18:19]
	ds_read_b64 v[32:33], v99
	v_cndmask_b32_e64 v5, v5, v25, s[20:21]
	v_cmp_eq_u32_e64 s[22:23], 12, v0
	v_cndmask_b32_e64 v4, v4, v24, s[20:21]
	v_cmp_eq_u32_e64 s[24:25], 13, v0
	v_cndmask_b32_e64 v5, v5, v27, s[22:23]
	v_cndmask_b32_e64 v4, v4, v26, s[22:23]
	s_waitcnt vmcnt(1)
	v_cndmask_b32_e64 v5, v5, v29, s[24:25]
	v_cmp_eq_u32_e64 s[26:27], 14, v0
	v_cndmask_b32_e64 v4, v4, v28, s[24:25]
	s_waitcnt vmcnt(0)
	v_cndmask_b32_e64 v5, v5, v31, s[26:27]
	v_cndmask_b32_e64 v4, v4, v30, s[26:27]
	s_waitcnt lgkmcnt(0)
	v_mul_f64 v[4:5], v[4:5], v[32:33]
	s_cbranch_execz .LBB14_214
	s_branch .LBB14_215
.LBB14_213:
                                        ; implicit-def: $vgpr4_vgpr5
.LBB14_214:
	ds_read_b64 v[4:5], v99
.LBB14_215:
	v_mov_b32_e32 v32, 0
	ds_read_b64 v[32:33], v32 offset:8
	s_waitcnt lgkmcnt(0)
	v_mul_f64 v[4:5], v[4:5], v[32:33]
.LBB14_216:
	s_or_b64 exec, exec, s[28:29]
	v_cndmask_b32_e64 v32, 0, 1, s[30:31]
	v_cmp_gt_u32_e32 vcc, 2, v0
	v_cmp_ne_u32_e64 s[0:1], 1, v32
	s_waitcnt vmcnt(13)
	ds_write_b64 v99, v[6:7]
	s_waitcnt lgkmcnt(0)
	; wave barrier
	s_and_saveexec_b64 s[30:31], vcc
	s_cbranch_execz .LBB14_222
; %bb.217:
	s_and_b64 vcc, exec, s[0:1]
	s_cbranch_vccnz .LBB14_219
; %bb.218:
	v_cmp_eq_u32_e32 vcc, 1, v0
	v_cmp_eq_u32_e64 s[4:5], 2, v0
	v_cmp_eq_u32_e64 s[6:7], 3, v0
	s_waitcnt vmcnt(2)
	v_cndmask_b32_e32 v32, v3, v5, vcc
	v_cndmask_b32_e64 v7, v32, v7, s[4:5]
	v_cndmask_b32_e32 v32, v2, v4, vcc
	v_cndmask_b32_e64 v6, v32, v6, s[4:5]
	v_cndmask_b32_e64 v7, v7, v9, s[6:7]
	v_cmp_eq_u32_e64 s[8:9], 4, v0
	v_cndmask_b32_e64 v6, v6, v8, s[6:7]
	v_cmp_eq_u32_e64 s[10:11], 5, v0
	v_cndmask_b32_e64 v7, v7, v11, s[8:9]
	v_cndmask_b32_e64 v6, v6, v10, s[8:9]
	v_cndmask_b32_e64 v7, v7, v13, s[10:11]
	v_cmp_eq_u32_e64 s[12:13], 6, v0
	v_cndmask_b32_e64 v6, v6, v12, s[10:11]
	v_cmp_eq_u32_e64 s[14:15], 7, v0
	v_cndmask_b32_e64 v7, v7, v15, s[12:13]
	;; [unrolled: 6-line block ×4, first 2 shown]
	v_cndmask_b32_e64 v6, v6, v22, s[20:21]
	ds_read_b64 v[32:33], v99
	v_cndmask_b32_e64 v7, v7, v25, s[22:23]
	v_cmp_eq_u32_e64 s[24:25], 12, v0
	v_cndmask_b32_e64 v6, v6, v24, s[22:23]
	v_cmp_eq_u32_e64 s[26:27], 13, v0
	v_cndmask_b32_e64 v7, v7, v27, s[24:25]
	v_cndmask_b32_e64 v6, v6, v26, s[24:25]
	s_waitcnt vmcnt(1)
	v_cndmask_b32_e64 v7, v7, v29, s[26:27]
	v_cmp_eq_u32_e64 s[28:29], 14, v0
	v_cndmask_b32_e64 v6, v6, v28, s[26:27]
	s_waitcnt vmcnt(0)
	v_cndmask_b32_e64 v7, v7, v31, s[28:29]
	v_cndmask_b32_e64 v6, v6, v30, s[28:29]
	s_waitcnt lgkmcnt(0)
	v_mul_f64 v[6:7], v[6:7], v[32:33]
	s_cbranch_execz .LBB14_220
	s_branch .LBB14_221
.LBB14_219:
                                        ; implicit-def: $vgpr6_vgpr7
.LBB14_220:
	ds_read_b64 v[6:7], v99
.LBB14_221:
	v_mov_b32_e32 v32, 0
	ds_read2_b64 v[32:35], v32 offset0:2 offset1:17
	s_waitcnt lgkmcnt(0)
	v_fma_f64 v[34:35], v[4:5], v[34:35], v[6:7]
	v_cndmask_b32_e64 v7, v7, v35, s[2:3]
	v_cndmask_b32_e64 v6, v6, v34, s[2:3]
	v_mul_f64 v[6:7], v[6:7], v[32:33]
.LBB14_222:
	s_or_b64 exec, exec, s[30:31]
	v_add_u32_e32 v36, 1, v0
	v_cmp_gt_u32_e64 s[4:5], 3, v0
	s_waitcnt vmcnt(12)
	ds_write_b64 v99, v[8:9]
	s_waitcnt lgkmcnt(0)
	; wave barrier
	s_and_saveexec_b64 s[34:35], s[4:5]
	s_cbranch_execz .LBB14_230
; %bb.223:
	s_and_b64 vcc, exec, s[0:1]
	s_cbranch_vccnz .LBB14_225
; %bb.224:
	v_cmp_eq_u32_e32 vcc, 1, v0
	v_cmp_eq_u32_e64 s[6:7], 2, v0
	v_cmp_eq_u32_e64 s[8:9], 3, v0
	s_waitcnt vmcnt(2)
	v_cndmask_b32_e32 v32, v3, v5, vcc
	v_cndmask_b32_e64 v32, v32, v7, s[6:7]
	v_cndmask_b32_e64 v32, v32, v9, s[8:9]
	v_cmp_eq_u32_e64 s[10:11], 4, v0
	v_cmp_eq_u32_e64 s[12:13], 5, v0
	v_cmp_eq_u32_e64 s[14:15], 6, v0
	v_cndmask_b32_e64 v32, v32, v11, s[10:11]
	v_cndmask_b32_e64 v32, v32, v13, s[12:13]
	v_cndmask_b32_e64 v32, v32, v15, s[14:15]
	v_cmp_eq_u32_e64 s[16:17], 7, v0
	v_cmp_eq_u32_e64 s[18:19], 8, v0
	v_cmp_eq_u32_e64 s[20:21], 9, v0
	v_cndmask_b32_e64 v32, v32, v17, s[16:17]
	;; [unrolled: 6-line block ×3, first 2 shown]
	v_cndmask_b32_e64 v32, v32, v25, s[24:25]
	v_cndmask_b32_e64 v32, v32, v27, s[26:27]
	v_cmp_eq_u32_e64 s[28:29], 13, v0
	v_cmp_eq_u32_e64 s[30:31], 14, v0
	ds_read_b64 v[34:35], v99
	s_waitcnt vmcnt(1)
	v_cndmask_b32_e64 v32, v32, v29, s[28:29]
	s_waitcnt vmcnt(0)
	v_cndmask_b32_e64 v33, v32, v31, s[30:31]
	v_cndmask_b32_e32 v32, v2, v4, vcc
	v_cndmask_b32_e64 v32, v32, v6, s[6:7]
	v_cndmask_b32_e64 v32, v32, v8, s[8:9]
	;; [unrolled: 1-line block ×13, first 2 shown]
	s_waitcnt lgkmcnt(0)
	v_mul_f64 v[32:33], v[32:33], v[34:35]
	s_cbranch_execz .LBB14_226
	s_branch .LBB14_227
.LBB14_225:
                                        ; implicit-def: $vgpr32_vgpr33
.LBB14_226:
	ds_read_b64 v[32:33], v99
.LBB14_227:
	v_cmp_ne_u32_e32 vcc, 2, v0
	s_and_saveexec_b64 s[36:37], vcc
	s_cbranch_execz .LBB14_229
; %bb.228:
	v_cmp_eq_u32_e32 vcc, 1, v36
	v_cmp_eq_u32_e64 s[6:7], 2, v36
	v_cmp_eq_u32_e64 s[8:9], 3, v36
	s_waitcnt vmcnt(2)
	v_cndmask_b32_e32 v34, v3, v5, vcc
	v_cndmask_b32_e64 v34, v34, v7, s[6:7]
	v_cndmask_b32_e64 v9, v34, v9, s[8:9]
	v_cndmask_b32_e32 v34, v2, v4, vcc
	v_cndmask_b32_e64 v34, v34, v6, s[6:7]
	v_cmp_eq_u32_e64 s[10:11], 4, v36
	v_cndmask_b32_e64 v8, v34, v8, s[8:9]
	v_cmp_eq_u32_e64 s[12:13], 5, v36
	v_cndmask_b32_e64 v9, v9, v11, s[10:11]
	v_cndmask_b32_e64 v8, v8, v10, s[10:11]
	v_cndmask_b32_e64 v9, v9, v13, s[12:13]
	v_cmp_eq_u32_e64 s[14:15], 6, v36
	v_cndmask_b32_e64 v8, v8, v12, s[12:13]
	v_cmp_eq_u32_e64 s[16:17], 7, v36
	v_cndmask_b32_e64 v9, v9, v15, s[14:15]
	v_cndmask_b32_e64 v8, v8, v14, s[14:15]
	;; [unrolled: 6-line block ×4, first 2 shown]
	v_cndmask_b32_e64 v9, v9, v25, s[24:25]
	v_cmp_eq_u32_e64 s[26:27], 12, v36
	v_cndmask_b32_e64 v8, v8, v24, s[24:25]
	v_mov_b32_e32 v37, 0
	ds_read_b64 v[34:35], v99 offset:8
	ds_read_b64 v[38:39], v37 offset:144
	v_cndmask_b32_e64 v9, v9, v27, s[26:27]
	v_cmp_eq_u32_e64 s[28:29], 13, v36
	v_cndmask_b32_e64 v8, v8, v26, s[26:27]
	v_cmp_eq_u32_e64 s[30:31], 14, v36
	s_waitcnt vmcnt(1)
	v_cndmask_b32_e64 v9, v9, v29, s[28:29]
	v_cndmask_b32_e64 v8, v8, v28, s[28:29]
	s_waitcnt vmcnt(0)
	v_cndmask_b32_e64 v9, v9, v31, s[30:31]
	v_cndmask_b32_e64 v8, v8, v30, s[30:31]
	s_waitcnt lgkmcnt(1)
	v_fmac_f64_e32 v[32:33], v[8:9], v[34:35]
	s_waitcnt lgkmcnt(0)
	v_fma_f64 v[8:9], v[6:7], v[38:39], v[32:33]
	v_cndmask_b32_e64 v33, v33, v9, s[2:3]
	v_cndmask_b32_e64 v32, v32, v8, s[2:3]
.LBB14_229:
	s_or_b64 exec, exec, s[36:37]
	v_mov_b32_e32 v8, 0
	ds_read_b64 v[8:9], v8 offset:24
	s_waitcnt lgkmcnt(0)
	v_mul_f64 v[8:9], v[32:33], v[8:9]
.LBB14_230:
	s_or_b64 exec, exec, s[34:35]
	v_cmp_gt_u32_e32 vcc, 4, v0
	s_waitcnt vmcnt(11)
	ds_write_b64 v99, v[10:11]
	s_waitcnt lgkmcnt(0)
	; wave barrier
	s_and_saveexec_b64 s[34:35], vcc
	s_cbranch_execz .LBB14_240
; %bb.231:
	s_and_b64 vcc, exec, s[0:1]
	s_cbranch_vccnz .LBB14_233
; %bb.232:
	v_cmp_eq_u32_e32 vcc, 1, v0
	v_cmp_eq_u32_e64 s[6:7], 2, v0
	v_cmp_eq_u32_e64 s[8:9], 3, v0
	s_waitcnt vmcnt(2)
	v_cndmask_b32_e32 v32, v3, v5, vcc
	v_cndmask_b32_e64 v32, v32, v7, s[6:7]
	v_cndmask_b32_e64 v32, v32, v9, s[8:9]
	v_cmp_eq_u32_e64 s[10:11], 4, v0
	v_cmp_eq_u32_e64 s[12:13], 5, v0
	v_cmp_eq_u32_e64 s[14:15], 6, v0
	v_cndmask_b32_e64 v32, v32, v11, s[10:11]
	v_cndmask_b32_e64 v32, v32, v13, s[12:13]
	v_cndmask_b32_e64 v32, v32, v15, s[14:15]
	v_cmp_eq_u32_e64 s[16:17], 7, v0
	v_cmp_eq_u32_e64 s[18:19], 8, v0
	v_cmp_eq_u32_e64 s[20:21], 9, v0
	v_cndmask_b32_e64 v32, v32, v17, s[16:17]
	;; [unrolled: 6-line block ×3, first 2 shown]
	v_cndmask_b32_e64 v32, v32, v25, s[24:25]
	v_cndmask_b32_e64 v32, v32, v27, s[26:27]
	v_cmp_eq_u32_e64 s[28:29], 13, v0
	v_cmp_eq_u32_e64 s[30:31], 14, v0
	ds_read_b64 v[34:35], v99
	s_waitcnt vmcnt(1)
	v_cndmask_b32_e64 v32, v32, v29, s[28:29]
	s_waitcnt vmcnt(0)
	v_cndmask_b32_e64 v33, v32, v31, s[30:31]
	v_cndmask_b32_e32 v32, v2, v4, vcc
	v_cndmask_b32_e64 v32, v32, v6, s[6:7]
	v_cndmask_b32_e64 v32, v32, v8, s[8:9]
	;; [unrolled: 1-line block ×13, first 2 shown]
	s_waitcnt lgkmcnt(0)
	v_mul_f64 v[32:33], v[32:33], v[34:35]
	s_cbranch_execz .LBB14_234
	s_branch .LBB14_235
.LBB14_233:
                                        ; implicit-def: $vgpr32_vgpr33
.LBB14_234:
	ds_read_b64 v[32:33], v99
.LBB14_235:
	v_cmp_ne_u32_e32 vcc, 3, v0
	s_and_saveexec_b64 s[10:11], vcc
	s_cbranch_execz .LBB14_239
; %bb.236:
	v_mov_b32_e32 v34, 0x88
	v_lshl_add_u32 v37, v0, 3, v34
	s_mov_b64 s[12:13], 0
	v_mov_b64_e32 v[34:35], v[0:1]
.LBB14_237:                             ; =>This Inner Loop Header: Depth=1
	v_lshl_add_u64 v[34:35], v[34:35], 0, 1
	v_cmp_eq_u32_e32 vcc, 1, v34
	v_cmp_eq_u32_e64 s[8:9], 2, v34
	v_cmp_lt_u32_e64 s[6:7], 2, v34
	s_waitcnt vmcnt(2)
	v_cndmask_b32_e32 v40, v3, v5, vcc
	v_cndmask_b32_e64 v40, v40, v7, s[8:9]
	v_cndmask_b32_e32 v41, v2, v4, vcc
	v_cmp_eq_u32_e32 vcc, 3, v34
	s_or_b64 s[12:13], s[6:7], s[12:13]
	v_cndmask_b32_e64 v41, v41, v6, s[8:9]
	v_cndmask_b32_e32 v40, v40, v9, vcc
	v_cmp_eq_u32_e64 s[6:7], 4, v34
	v_cndmask_b32_e32 v41, v41, v8, vcc
	v_cmp_eq_u32_e32 vcc, 5, v34
	v_cndmask_b32_e64 v40, v40, v11, s[6:7]
	v_cndmask_b32_e64 v41, v41, v10, s[6:7]
	v_cndmask_b32_e32 v40, v40, v13, vcc
	v_cmp_eq_u32_e64 s[6:7], 6, v34
	v_cndmask_b32_e32 v41, v41, v12, vcc
	v_cmp_eq_u32_e32 vcc, 7, v34
	v_cndmask_b32_e64 v40, v40, v15, s[6:7]
	;; [unrolled: 6-line block ×4, first 2 shown]
	ds_read_b64 v[38:39], v37
	v_cndmask_b32_e32 v40, v40, v25, vcc
	v_cndmask_b32_e64 v41, v41, v22, s[6:7]
	v_cmp_eq_u32_e64 s[6:7], 12, v34
	v_cndmask_b32_e32 v41, v41, v24, vcc
	v_cmp_eq_u32_e32 vcc, 13, v34
	v_cndmask_b32_e64 v40, v40, v27, s[6:7]
	v_cndmask_b32_e64 v42, v41, v26, s[6:7]
	s_waitcnt vmcnt(1)
	v_cndmask_b32_e32 v40, v40, v29, vcc
	v_cmp_eq_u32_e64 s[6:7], 14, v34
	v_add_u32_e32 v37, 8, v37
	s_waitcnt vmcnt(0)
	v_cndmask_b32_e64 v41, v40, v31, s[6:7]
	v_cndmask_b32_e32 v40, v42, v28, vcc
	v_cndmask_b32_e64 v40, v40, v30, s[6:7]
	s_waitcnt lgkmcnt(0)
	v_fmac_f64_e32 v[32:33], v[40:41], v[38:39]
	s_andn2_b64 exec, exec, s[12:13]
	s_cbranch_execnz .LBB14_237
; %bb.238:
	s_or_b64 exec, exec, s[12:13]
.LBB14_239:
	s_or_b64 exec, exec, s[10:11]
	v_mov_b32_e32 v10, 0
	ds_read_b64 v[10:11], v10 offset:32
	s_waitcnt lgkmcnt(0)
	v_mul_f64 v[10:11], v[32:33], v[10:11]
.LBB14_240:
	s_or_b64 exec, exec, s[34:35]
	v_cmp_gt_u32_e64 s[6:7], 5, v0
	s_waitcnt vmcnt(10)
	ds_write_b64 v99, v[12:13]
	s_waitcnt lgkmcnt(0)
	; wave barrier
	s_and_saveexec_b64 s[36:37], s[6:7]
	s_cbranch_execz .LBB14_250
; %bb.241:
	s_and_b64 vcc, exec, s[0:1]
	s_cbranch_vccnz .LBB14_243
; %bb.242:
	v_cmp_eq_u32_e32 vcc, 1, v0
	v_cmp_eq_u32_e64 s[8:9], 2, v0
	v_cmp_eq_u32_e64 s[10:11], 3, v0
	s_waitcnt vmcnt(2)
	v_cndmask_b32_e32 v32, v3, v5, vcc
	v_cndmask_b32_e64 v32, v32, v7, s[8:9]
	v_cndmask_b32_e64 v32, v32, v9, s[10:11]
	v_cmp_eq_u32_e64 s[12:13], 4, v0
	v_cmp_eq_u32_e64 s[14:15], 5, v0
	v_cmp_eq_u32_e64 s[16:17], 6, v0
	v_cndmask_b32_e64 v32, v32, v11, s[12:13]
	v_cndmask_b32_e64 v32, v32, v13, s[14:15]
	v_cndmask_b32_e64 v32, v32, v15, s[16:17]
	v_cmp_eq_u32_e64 s[18:19], 7, v0
	v_cmp_eq_u32_e64 s[20:21], 8, v0
	v_cmp_eq_u32_e64 s[22:23], 9, v0
	v_cndmask_b32_e64 v32, v32, v17, s[18:19]
	;; [unrolled: 6-line block ×3, first 2 shown]
	v_cndmask_b32_e64 v32, v32, v25, s[26:27]
	v_cndmask_b32_e64 v32, v32, v27, s[28:29]
	v_cmp_eq_u32_e64 s[30:31], 13, v0
	v_cmp_eq_u32_e64 s[34:35], 14, v0
	ds_read_b64 v[34:35], v99
	s_waitcnt vmcnt(1)
	v_cndmask_b32_e64 v32, v32, v29, s[30:31]
	s_waitcnt vmcnt(0)
	v_cndmask_b32_e64 v33, v32, v31, s[34:35]
	v_cndmask_b32_e32 v32, v2, v4, vcc
	v_cndmask_b32_e64 v32, v32, v6, s[8:9]
	v_cndmask_b32_e64 v32, v32, v8, s[10:11]
	v_cndmask_b32_e64 v32, v32, v10, s[12:13]
	v_cndmask_b32_e64 v32, v32, v12, s[14:15]
	v_cndmask_b32_e64 v32, v32, v14, s[16:17]
	v_cndmask_b32_e64 v32, v32, v16, s[18:19]
	v_cndmask_b32_e64 v32, v32, v18, s[20:21]
	v_cndmask_b32_e64 v32, v32, v20, s[22:23]
	v_cndmask_b32_e64 v32, v32, v22, s[24:25]
	v_cndmask_b32_e64 v32, v32, v24, s[26:27]
	v_cndmask_b32_e64 v32, v32, v26, s[28:29]
	v_cndmask_b32_e64 v32, v32, v28, s[30:31]
	v_cndmask_b32_e64 v32, v32, v30, s[34:35]
	s_waitcnt lgkmcnt(0)
	v_mul_f64 v[32:33], v[32:33], v[34:35]
	s_cbranch_execz .LBB14_244
	s_branch .LBB14_245
.LBB14_243:
                                        ; implicit-def: $vgpr32_vgpr33
.LBB14_244:
	ds_read_b64 v[32:33], v99
.LBB14_245:
	v_cmp_ne_u32_e32 vcc, 4, v0
	s_and_saveexec_b64 s[12:13], vcc
	s_cbranch_execz .LBB14_249
; %bb.246:
	v_mov_b32_e32 v34, 0x88
	v_lshl_add_u32 v37, v0, 3, v34
	s_mov_b64 s[14:15], 0
	v_mov_b64_e32 v[34:35], v[0:1]
.LBB14_247:                             ; =>This Inner Loop Header: Depth=1
	v_lshl_add_u64 v[34:35], v[34:35], 0, 1
	v_cmp_eq_u32_e32 vcc, 1, v34
	v_cmp_eq_u32_e64 s[10:11], 2, v34
	v_cmp_lt_u32_e64 s[8:9], 3, v34
	s_waitcnt vmcnt(2)
	v_cndmask_b32_e32 v40, v3, v5, vcc
	v_cndmask_b32_e64 v40, v40, v7, s[10:11]
	v_cndmask_b32_e32 v41, v2, v4, vcc
	v_cmp_eq_u32_e32 vcc, 3, v34
	s_or_b64 s[14:15], s[8:9], s[14:15]
	v_cndmask_b32_e64 v41, v41, v6, s[10:11]
	v_cndmask_b32_e32 v40, v40, v9, vcc
	v_cmp_eq_u32_e64 s[8:9], 4, v34
	v_cndmask_b32_e32 v41, v41, v8, vcc
	v_cmp_eq_u32_e32 vcc, 5, v34
	v_cndmask_b32_e64 v40, v40, v11, s[8:9]
	v_cndmask_b32_e64 v41, v41, v10, s[8:9]
	v_cndmask_b32_e32 v40, v40, v13, vcc
	v_cmp_eq_u32_e64 s[8:9], 6, v34
	v_cndmask_b32_e32 v41, v41, v12, vcc
	v_cmp_eq_u32_e32 vcc, 7, v34
	v_cndmask_b32_e64 v40, v40, v15, s[8:9]
	;; [unrolled: 6-line block ×4, first 2 shown]
	ds_read_b64 v[38:39], v37
	v_cndmask_b32_e32 v40, v40, v25, vcc
	v_cndmask_b32_e64 v41, v41, v22, s[8:9]
	v_cmp_eq_u32_e64 s[8:9], 12, v34
	v_cndmask_b32_e32 v41, v41, v24, vcc
	v_cmp_eq_u32_e32 vcc, 13, v34
	v_cndmask_b32_e64 v40, v40, v27, s[8:9]
	v_cndmask_b32_e64 v42, v41, v26, s[8:9]
	s_waitcnt vmcnt(1)
	v_cndmask_b32_e32 v40, v40, v29, vcc
	v_cmp_eq_u32_e64 s[8:9], 14, v34
	v_add_u32_e32 v37, 8, v37
	s_waitcnt vmcnt(0)
	v_cndmask_b32_e64 v41, v40, v31, s[8:9]
	v_cndmask_b32_e32 v40, v42, v28, vcc
	v_cndmask_b32_e64 v40, v40, v30, s[8:9]
	s_waitcnt lgkmcnt(0)
	v_fmac_f64_e32 v[32:33], v[40:41], v[38:39]
	s_andn2_b64 exec, exec, s[14:15]
	s_cbranch_execnz .LBB14_247
; %bb.248:
	s_or_b64 exec, exec, s[14:15]
.LBB14_249:
	s_or_b64 exec, exec, s[12:13]
	v_mov_b32_e32 v12, 0
	ds_read_b64 v[12:13], v12 offset:40
	s_waitcnt lgkmcnt(0)
	v_mul_f64 v[12:13], v[32:33], v[12:13]
.LBB14_250:
	s_or_b64 exec, exec, s[36:37]
	v_cmp_gt_u32_e32 vcc, 6, v0
	s_waitcnt vmcnt(9)
	ds_write_b64 v99, v[14:15]
	s_waitcnt lgkmcnt(0)
	; wave barrier
	s_and_saveexec_b64 s[36:37], vcc
	s_cbranch_execz .LBB14_260
; %bb.251:
	s_and_b64 vcc, exec, s[0:1]
	s_cbranch_vccnz .LBB14_253
; %bb.252:
	v_cmp_eq_u32_e32 vcc, 1, v0
	v_cmp_eq_u32_e64 s[8:9], 2, v0
	v_cmp_eq_u32_e64 s[10:11], 3, v0
	s_waitcnt vmcnt(2)
	v_cndmask_b32_e32 v32, v3, v5, vcc
	v_cndmask_b32_e64 v32, v32, v7, s[8:9]
	v_cndmask_b32_e64 v32, v32, v9, s[10:11]
	v_cmp_eq_u32_e64 s[12:13], 4, v0
	v_cmp_eq_u32_e64 s[14:15], 5, v0
	v_cmp_eq_u32_e64 s[16:17], 6, v0
	v_cndmask_b32_e64 v32, v32, v11, s[12:13]
	v_cndmask_b32_e64 v32, v32, v13, s[14:15]
	v_cndmask_b32_e64 v32, v32, v15, s[16:17]
	v_cmp_eq_u32_e64 s[18:19], 7, v0
	v_cmp_eq_u32_e64 s[20:21], 8, v0
	v_cmp_eq_u32_e64 s[22:23], 9, v0
	v_cndmask_b32_e64 v32, v32, v17, s[18:19]
	;; [unrolled: 6-line block ×3, first 2 shown]
	v_cndmask_b32_e64 v32, v32, v25, s[26:27]
	v_cndmask_b32_e64 v32, v32, v27, s[28:29]
	v_cmp_eq_u32_e64 s[30:31], 13, v0
	v_cmp_eq_u32_e64 s[34:35], 14, v0
	ds_read_b64 v[34:35], v99
	s_waitcnt vmcnt(1)
	v_cndmask_b32_e64 v32, v32, v29, s[30:31]
	s_waitcnt vmcnt(0)
	v_cndmask_b32_e64 v33, v32, v31, s[34:35]
	v_cndmask_b32_e32 v32, v2, v4, vcc
	v_cndmask_b32_e64 v32, v32, v6, s[8:9]
	v_cndmask_b32_e64 v32, v32, v8, s[10:11]
	;; [unrolled: 1-line block ×13, first 2 shown]
	s_waitcnt lgkmcnt(0)
	v_mul_f64 v[32:33], v[32:33], v[34:35]
	s_cbranch_execz .LBB14_254
	s_branch .LBB14_255
.LBB14_253:
                                        ; implicit-def: $vgpr32_vgpr33
.LBB14_254:
	ds_read_b64 v[32:33], v99
.LBB14_255:
	v_cmp_ne_u32_e32 vcc, 5, v0
	s_and_saveexec_b64 s[12:13], vcc
	s_cbranch_execz .LBB14_259
; %bb.256:
	v_mov_b32_e32 v34, 0x88
	v_lshl_add_u32 v37, v0, 3, v34
	s_mov_b64 s[14:15], 0
	v_mov_b64_e32 v[34:35], v[0:1]
.LBB14_257:                             ; =>This Inner Loop Header: Depth=1
	v_lshl_add_u64 v[34:35], v[34:35], 0, 1
	v_cmp_eq_u32_e32 vcc, 1, v34
	v_cmp_eq_u32_e64 s[10:11], 2, v34
	v_cmp_lt_u32_e64 s[8:9], 4, v34
	s_waitcnt vmcnt(2)
	v_cndmask_b32_e32 v40, v3, v5, vcc
	v_cndmask_b32_e64 v40, v40, v7, s[10:11]
	v_cndmask_b32_e32 v41, v2, v4, vcc
	v_cmp_eq_u32_e32 vcc, 3, v34
	s_or_b64 s[14:15], s[8:9], s[14:15]
	v_cndmask_b32_e64 v41, v41, v6, s[10:11]
	v_cndmask_b32_e32 v40, v40, v9, vcc
	v_cmp_eq_u32_e64 s[8:9], 4, v34
	v_cndmask_b32_e32 v41, v41, v8, vcc
	v_cmp_eq_u32_e32 vcc, 5, v34
	v_cndmask_b32_e64 v40, v40, v11, s[8:9]
	v_cndmask_b32_e64 v41, v41, v10, s[8:9]
	v_cndmask_b32_e32 v40, v40, v13, vcc
	v_cmp_eq_u32_e64 s[8:9], 6, v34
	v_cndmask_b32_e32 v41, v41, v12, vcc
	v_cmp_eq_u32_e32 vcc, 7, v34
	v_cndmask_b32_e64 v40, v40, v15, s[8:9]
	;; [unrolled: 6-line block ×4, first 2 shown]
	ds_read_b64 v[38:39], v37
	v_cndmask_b32_e32 v40, v40, v25, vcc
	v_cndmask_b32_e64 v41, v41, v22, s[8:9]
	v_cmp_eq_u32_e64 s[8:9], 12, v34
	v_cndmask_b32_e32 v41, v41, v24, vcc
	v_cmp_eq_u32_e32 vcc, 13, v34
	v_cndmask_b32_e64 v40, v40, v27, s[8:9]
	v_cndmask_b32_e64 v42, v41, v26, s[8:9]
	s_waitcnt vmcnt(1)
	v_cndmask_b32_e32 v40, v40, v29, vcc
	v_cmp_eq_u32_e64 s[8:9], 14, v34
	v_add_u32_e32 v37, 8, v37
	s_waitcnt vmcnt(0)
	v_cndmask_b32_e64 v41, v40, v31, s[8:9]
	v_cndmask_b32_e32 v40, v42, v28, vcc
	v_cndmask_b32_e64 v40, v40, v30, s[8:9]
	s_waitcnt lgkmcnt(0)
	v_fmac_f64_e32 v[32:33], v[40:41], v[38:39]
	s_andn2_b64 exec, exec, s[14:15]
	s_cbranch_execnz .LBB14_257
; %bb.258:
	s_or_b64 exec, exec, s[14:15]
.LBB14_259:
	s_or_b64 exec, exec, s[12:13]
	v_mov_b32_e32 v14, 0
	ds_read_b64 v[14:15], v14 offset:48
	s_waitcnt lgkmcnt(0)
	v_mul_f64 v[14:15], v[32:33], v[14:15]
.LBB14_260:
	s_or_b64 exec, exec, s[36:37]
	v_cmp_gt_u32_e64 s[8:9], 7, v0
	s_waitcnt vmcnt(8)
	ds_write_b64 v99, v[16:17]
	s_waitcnt lgkmcnt(0)
	; wave barrier
	s_and_saveexec_b64 s[38:39], s[8:9]
	s_cbranch_execz .LBB14_270
; %bb.261:
	s_and_b64 vcc, exec, s[0:1]
	s_cbranch_vccnz .LBB14_263
; %bb.262:
	v_cmp_eq_u32_e32 vcc, 1, v0
	v_cmp_eq_u32_e64 s[10:11], 2, v0
	v_cmp_eq_u32_e64 s[12:13], 3, v0
	s_waitcnt vmcnt(2)
	v_cndmask_b32_e32 v32, v3, v5, vcc
	v_cndmask_b32_e64 v32, v32, v7, s[10:11]
	v_cndmask_b32_e64 v32, v32, v9, s[12:13]
	v_cmp_eq_u32_e64 s[14:15], 4, v0
	v_cmp_eq_u32_e64 s[16:17], 5, v0
	v_cmp_eq_u32_e64 s[18:19], 6, v0
	v_cndmask_b32_e64 v32, v32, v11, s[14:15]
	v_cndmask_b32_e64 v32, v32, v13, s[16:17]
	v_cndmask_b32_e64 v32, v32, v15, s[18:19]
	v_cmp_eq_u32_e64 s[20:21], 7, v0
	v_cmp_eq_u32_e64 s[22:23], 8, v0
	v_cmp_eq_u32_e64 s[24:25], 9, v0
	v_cndmask_b32_e64 v32, v32, v17, s[20:21]
	;; [unrolled: 6-line block ×3, first 2 shown]
	v_cndmask_b32_e64 v32, v32, v25, s[28:29]
	v_cndmask_b32_e64 v32, v32, v27, s[30:31]
	v_cmp_eq_u32_e64 s[34:35], 13, v0
	v_cmp_eq_u32_e64 s[36:37], 14, v0
	ds_read_b64 v[34:35], v99
	s_waitcnt vmcnt(1)
	v_cndmask_b32_e64 v32, v32, v29, s[34:35]
	s_waitcnt vmcnt(0)
	v_cndmask_b32_e64 v33, v32, v31, s[36:37]
	v_cndmask_b32_e32 v32, v2, v4, vcc
	v_cndmask_b32_e64 v32, v32, v6, s[10:11]
	v_cndmask_b32_e64 v32, v32, v8, s[12:13]
	;; [unrolled: 1-line block ×13, first 2 shown]
	s_waitcnt lgkmcnt(0)
	v_mul_f64 v[32:33], v[32:33], v[34:35]
	s_cbranch_execz .LBB14_264
	s_branch .LBB14_265
.LBB14_263:
                                        ; implicit-def: $vgpr32_vgpr33
.LBB14_264:
	ds_read_b64 v[32:33], v99
.LBB14_265:
	v_cmp_ne_u32_e32 vcc, 6, v0
	s_and_saveexec_b64 s[14:15], vcc
	s_cbranch_execz .LBB14_269
; %bb.266:
	v_mov_b32_e32 v34, 0x88
	v_lshl_add_u32 v37, v0, 3, v34
	s_mov_b64 s[16:17], 0
	v_mov_b64_e32 v[34:35], v[0:1]
.LBB14_267:                             ; =>This Inner Loop Header: Depth=1
	v_lshl_add_u64 v[34:35], v[34:35], 0, 1
	v_cmp_eq_u32_e32 vcc, 1, v34
	v_cmp_eq_u32_e64 s[12:13], 2, v34
	v_cmp_lt_u32_e64 s[10:11], 5, v34
	s_waitcnt vmcnt(2)
	v_cndmask_b32_e32 v40, v3, v5, vcc
	v_cndmask_b32_e64 v40, v40, v7, s[12:13]
	v_cndmask_b32_e32 v41, v2, v4, vcc
	v_cmp_eq_u32_e32 vcc, 3, v34
	s_or_b64 s[16:17], s[10:11], s[16:17]
	v_cndmask_b32_e64 v41, v41, v6, s[12:13]
	v_cndmask_b32_e32 v40, v40, v9, vcc
	v_cmp_eq_u32_e64 s[10:11], 4, v34
	v_cndmask_b32_e32 v41, v41, v8, vcc
	v_cmp_eq_u32_e32 vcc, 5, v34
	v_cndmask_b32_e64 v40, v40, v11, s[10:11]
	v_cndmask_b32_e64 v41, v41, v10, s[10:11]
	v_cndmask_b32_e32 v40, v40, v13, vcc
	v_cmp_eq_u32_e64 s[10:11], 6, v34
	v_cndmask_b32_e32 v41, v41, v12, vcc
	v_cmp_eq_u32_e32 vcc, 7, v34
	v_cndmask_b32_e64 v40, v40, v15, s[10:11]
	;; [unrolled: 6-line block ×4, first 2 shown]
	ds_read_b64 v[38:39], v37
	v_cndmask_b32_e32 v40, v40, v25, vcc
	v_cndmask_b32_e64 v41, v41, v22, s[10:11]
	v_cmp_eq_u32_e64 s[10:11], 12, v34
	v_cndmask_b32_e32 v41, v41, v24, vcc
	v_cmp_eq_u32_e32 vcc, 13, v34
	v_cndmask_b32_e64 v40, v40, v27, s[10:11]
	v_cndmask_b32_e64 v42, v41, v26, s[10:11]
	s_waitcnt vmcnt(1)
	v_cndmask_b32_e32 v40, v40, v29, vcc
	v_cmp_eq_u32_e64 s[10:11], 14, v34
	v_add_u32_e32 v37, 8, v37
	s_waitcnt vmcnt(0)
	v_cndmask_b32_e64 v41, v40, v31, s[10:11]
	v_cndmask_b32_e32 v40, v42, v28, vcc
	v_cndmask_b32_e64 v40, v40, v30, s[10:11]
	s_waitcnt lgkmcnt(0)
	v_fmac_f64_e32 v[32:33], v[40:41], v[38:39]
	s_andn2_b64 exec, exec, s[16:17]
	s_cbranch_execnz .LBB14_267
; %bb.268:
	s_or_b64 exec, exec, s[16:17]
.LBB14_269:
	s_or_b64 exec, exec, s[14:15]
	v_mov_b32_e32 v16, 0
	ds_read_b64 v[16:17], v16 offset:56
	s_waitcnt lgkmcnt(0)
	v_mul_f64 v[16:17], v[32:33], v[16:17]
.LBB14_270:
	s_or_b64 exec, exec, s[38:39]
	v_cmp_gt_u32_e32 vcc, 8, v0
	s_waitcnt vmcnt(7)
	ds_write_b64 v99, v[18:19]
	s_waitcnt lgkmcnt(0)
	; wave barrier
	s_and_saveexec_b64 s[38:39], vcc
	s_cbranch_execz .LBB14_280
; %bb.271:
	s_and_b64 vcc, exec, s[0:1]
	s_cbranch_vccnz .LBB14_273
; %bb.272:
	v_cmp_eq_u32_e32 vcc, 1, v0
	v_cmp_eq_u32_e64 s[10:11], 2, v0
	v_cmp_eq_u32_e64 s[12:13], 3, v0
	s_waitcnt vmcnt(2)
	v_cndmask_b32_e32 v32, v3, v5, vcc
	v_cndmask_b32_e64 v32, v32, v7, s[10:11]
	v_cndmask_b32_e64 v32, v32, v9, s[12:13]
	v_cmp_eq_u32_e64 s[14:15], 4, v0
	v_cmp_eq_u32_e64 s[16:17], 5, v0
	v_cmp_eq_u32_e64 s[18:19], 6, v0
	v_cndmask_b32_e64 v32, v32, v11, s[14:15]
	v_cndmask_b32_e64 v32, v32, v13, s[16:17]
	v_cndmask_b32_e64 v32, v32, v15, s[18:19]
	v_cmp_eq_u32_e64 s[20:21], 7, v0
	v_cmp_eq_u32_e64 s[22:23], 8, v0
	v_cmp_eq_u32_e64 s[24:25], 9, v0
	v_cndmask_b32_e64 v32, v32, v17, s[20:21]
	;; [unrolled: 6-line block ×3, first 2 shown]
	v_cndmask_b32_e64 v32, v32, v25, s[28:29]
	v_cndmask_b32_e64 v32, v32, v27, s[30:31]
	v_cmp_eq_u32_e64 s[34:35], 13, v0
	v_cmp_eq_u32_e64 s[36:37], 14, v0
	ds_read_b64 v[34:35], v99
	s_waitcnt vmcnt(1)
	v_cndmask_b32_e64 v32, v32, v29, s[34:35]
	s_waitcnt vmcnt(0)
	v_cndmask_b32_e64 v33, v32, v31, s[36:37]
	v_cndmask_b32_e32 v32, v2, v4, vcc
	v_cndmask_b32_e64 v32, v32, v6, s[10:11]
	v_cndmask_b32_e64 v32, v32, v8, s[12:13]
	v_cndmask_b32_e64 v32, v32, v10, s[14:15]
	v_cndmask_b32_e64 v32, v32, v12, s[16:17]
	v_cndmask_b32_e64 v32, v32, v14, s[18:19]
	v_cndmask_b32_e64 v32, v32, v16, s[20:21]
	v_cndmask_b32_e64 v32, v32, v18, s[22:23]
	v_cndmask_b32_e64 v32, v32, v20, s[24:25]
	v_cndmask_b32_e64 v32, v32, v22, s[26:27]
	v_cndmask_b32_e64 v32, v32, v24, s[28:29]
	v_cndmask_b32_e64 v32, v32, v26, s[30:31]
	v_cndmask_b32_e64 v32, v32, v28, s[34:35]
	v_cndmask_b32_e64 v32, v32, v30, s[36:37]
	s_waitcnt lgkmcnt(0)
	v_mul_f64 v[32:33], v[32:33], v[34:35]
	s_cbranch_execz .LBB14_274
	s_branch .LBB14_275
.LBB14_273:
                                        ; implicit-def: $vgpr32_vgpr33
.LBB14_274:
	ds_read_b64 v[32:33], v99
.LBB14_275:
	v_cmp_ne_u32_e32 vcc, 7, v0
	s_and_saveexec_b64 s[14:15], vcc
	s_cbranch_execz .LBB14_279
; %bb.276:
	v_mov_b32_e32 v34, 0x88
	v_lshl_add_u32 v37, v0, 3, v34
	s_mov_b64 s[16:17], 0
	v_mov_b64_e32 v[34:35], v[0:1]
.LBB14_277:                             ; =>This Inner Loop Header: Depth=1
	v_lshl_add_u64 v[34:35], v[34:35], 0, 1
	v_cmp_eq_u32_e32 vcc, 1, v34
	v_cmp_eq_u32_e64 s[12:13], 2, v34
	v_cmp_lt_u32_e64 s[10:11], 6, v34
	s_waitcnt vmcnt(2)
	v_cndmask_b32_e32 v40, v3, v5, vcc
	v_cndmask_b32_e64 v40, v40, v7, s[12:13]
	v_cndmask_b32_e32 v41, v2, v4, vcc
	v_cmp_eq_u32_e32 vcc, 3, v34
	s_or_b64 s[16:17], s[10:11], s[16:17]
	v_cndmask_b32_e64 v41, v41, v6, s[12:13]
	v_cndmask_b32_e32 v40, v40, v9, vcc
	v_cmp_eq_u32_e64 s[10:11], 4, v34
	v_cndmask_b32_e32 v41, v41, v8, vcc
	v_cmp_eq_u32_e32 vcc, 5, v34
	v_cndmask_b32_e64 v40, v40, v11, s[10:11]
	v_cndmask_b32_e64 v41, v41, v10, s[10:11]
	v_cndmask_b32_e32 v40, v40, v13, vcc
	v_cmp_eq_u32_e64 s[10:11], 6, v34
	v_cndmask_b32_e32 v41, v41, v12, vcc
	v_cmp_eq_u32_e32 vcc, 7, v34
	v_cndmask_b32_e64 v40, v40, v15, s[10:11]
	;; [unrolled: 6-line block ×4, first 2 shown]
	ds_read_b64 v[38:39], v37
	v_cndmask_b32_e32 v40, v40, v25, vcc
	v_cndmask_b32_e64 v41, v41, v22, s[10:11]
	v_cmp_eq_u32_e64 s[10:11], 12, v34
	v_cndmask_b32_e32 v41, v41, v24, vcc
	v_cmp_eq_u32_e32 vcc, 13, v34
	v_cndmask_b32_e64 v40, v40, v27, s[10:11]
	v_cndmask_b32_e64 v42, v41, v26, s[10:11]
	s_waitcnt vmcnt(1)
	v_cndmask_b32_e32 v40, v40, v29, vcc
	v_cmp_eq_u32_e64 s[10:11], 14, v34
	v_add_u32_e32 v37, 8, v37
	s_waitcnt vmcnt(0)
	v_cndmask_b32_e64 v41, v40, v31, s[10:11]
	v_cndmask_b32_e32 v40, v42, v28, vcc
	v_cndmask_b32_e64 v40, v40, v30, s[10:11]
	s_waitcnt lgkmcnt(0)
	v_fmac_f64_e32 v[32:33], v[40:41], v[38:39]
	s_andn2_b64 exec, exec, s[16:17]
	s_cbranch_execnz .LBB14_277
; %bb.278:
	s_or_b64 exec, exec, s[16:17]
.LBB14_279:
	s_or_b64 exec, exec, s[14:15]
	v_mov_b32_e32 v18, 0
	ds_read_b64 v[18:19], v18 offset:64
	s_waitcnt lgkmcnt(0)
	v_mul_f64 v[18:19], v[32:33], v[18:19]
.LBB14_280:
	s_or_b64 exec, exec, s[38:39]
	v_cmp_gt_u32_e32 vcc, 9, v0
	s_waitcnt vmcnt(6)
	ds_write_b64 v99, v[20:21]
	s_waitcnt lgkmcnt(0)
	; wave barrier
	s_and_saveexec_b64 s[38:39], vcc
	s_cbranch_execz .LBB14_302
; %bb.281:
	s_and_b64 vcc, exec, s[0:1]
	s_cbranch_vccnz .LBB14_283
; %bb.282:
	v_cmp_eq_u32_e32 vcc, 1, v0
	v_cmp_eq_u32_e64 s[10:11], 2, v0
	v_cmp_eq_u32_e64 s[12:13], 3, v0
	s_waitcnt vmcnt(2)
	v_cndmask_b32_e32 v32, v3, v5, vcc
	v_cndmask_b32_e64 v32, v32, v7, s[10:11]
	v_cndmask_b32_e64 v32, v32, v9, s[12:13]
	v_cmp_eq_u32_e64 s[14:15], 4, v0
	v_cmp_eq_u32_e64 s[16:17], 5, v0
	v_cmp_eq_u32_e64 s[18:19], 6, v0
	v_cndmask_b32_e64 v32, v32, v11, s[14:15]
	v_cndmask_b32_e64 v32, v32, v13, s[16:17]
	v_cndmask_b32_e64 v32, v32, v15, s[18:19]
	v_cmp_eq_u32_e64 s[20:21], 7, v0
	v_cmp_eq_u32_e64 s[22:23], 8, v0
	v_cmp_eq_u32_e64 s[24:25], 9, v0
	v_cndmask_b32_e64 v32, v32, v17, s[20:21]
	;; [unrolled: 6-line block ×3, first 2 shown]
	v_cndmask_b32_e64 v32, v32, v25, s[28:29]
	v_cndmask_b32_e64 v32, v32, v27, s[30:31]
	v_cmp_eq_u32_e64 s[34:35], 13, v0
	v_cmp_eq_u32_e64 s[36:37], 14, v0
	ds_read_b64 v[34:35], v99
	s_waitcnt vmcnt(1)
	v_cndmask_b32_e64 v32, v32, v29, s[34:35]
	s_waitcnt vmcnt(0)
	v_cndmask_b32_e64 v33, v32, v31, s[36:37]
	v_cndmask_b32_e32 v32, v2, v4, vcc
	v_cndmask_b32_e64 v32, v32, v6, s[10:11]
	v_cndmask_b32_e64 v32, v32, v8, s[12:13]
	;; [unrolled: 1-line block ×13, first 2 shown]
	s_waitcnt lgkmcnt(0)
	v_mul_f64 v[32:33], v[32:33], v[34:35]
	s_cbranch_execz .LBB14_284
	s_branch .LBB14_285
.LBB14_283:
                                        ; implicit-def: $vgpr32_vgpr33
.LBB14_284:
	ds_read_b64 v[32:33], v99
.LBB14_285:
	v_cmp_ne_u32_e32 vcc, 8, v0
	s_and_saveexec_b64 s[40:41], vcc
	s_cbranch_execz .LBB14_301
; %bb.286:
	v_cmp_eq_u32_e32 vcc, 1, v36
	v_cmp_eq_u32_e64 s[10:11], 2, v36
	v_cmp_eq_u32_e64 s[12:13], 3, v36
	s_waitcnt vmcnt(2)
	v_cndmask_b32_e32 v34, v3, v5, vcc
	v_cndmask_b32_e64 v34, v34, v7, s[10:11]
	v_cndmask_b32_e64 v34, v34, v9, s[12:13]
	v_cmp_eq_u32_e64 s[14:15], 4, v36
	v_cmp_eq_u32_e64 s[16:17], 5, v36
	v_cmp_eq_u32_e64 s[18:19], 6, v36
	v_cndmask_b32_e64 v34, v34, v11, s[14:15]
	v_cndmask_b32_e64 v34, v34, v13, s[16:17]
	v_cndmask_b32_e64 v34, v34, v15, s[18:19]
	v_cmp_eq_u32_e64 s[20:21], 7, v36
	v_cmp_eq_u32_e64 s[22:23], 8, v36
	v_cmp_eq_u32_e64 s[24:25], 9, v36
	v_cndmask_b32_e64 v34, v34, v17, s[20:21]
	;; [unrolled: 6-line block ×3, first 2 shown]
	v_cndmask_b32_e64 v34, v34, v25, s[28:29]
	v_cndmask_b32_e64 v34, v34, v27, s[30:31]
	v_cmp_eq_u32_e64 s[34:35], 13, v36
	v_cmp_eq_u32_e64 s[36:37], 14, v36
	ds_read_b64 v[36:37], v99 offset:8
	s_waitcnt vmcnt(1)
	v_cndmask_b32_e64 v34, v34, v29, s[34:35]
	s_waitcnt vmcnt(0)
	v_cndmask_b32_e64 v35, v34, v31, s[36:37]
	v_cndmask_b32_e32 v34, v2, v4, vcc
	v_cndmask_b32_e64 v34, v34, v6, s[10:11]
	v_cndmask_b32_e64 v34, v34, v8, s[12:13]
	;; [unrolled: 1-line block ×13, first 2 shown]
	s_waitcnt lgkmcnt(0)
	v_fmac_f64_e32 v[32:33], v[34:35], v[36:37]
	s_and_saveexec_b64 s[36:37], s[8:9]
	s_cbranch_execz .LBB14_300
; %bb.287:
	v_add_u32_e32 v34, 2, v0
	v_cmp_eq_u32_e32 vcc, 1, v34
	v_cmp_eq_u32_e64 s[8:9], 2, v34
	v_cmp_eq_u32_e64 s[10:11], 3, v34
	v_cndmask_b32_e32 v35, v3, v5, vcc
	v_cmp_eq_u32_e64 s[12:13], 4, v34
	v_cmp_eq_u32_e64 s[14:15], 5, v34
	;; [unrolled: 1-line block ×11, first 2 shown]
	v_cndmask_b32_e32 v34, v2, v4, vcc
	v_cndmask_b32_e64 v35, v35, v7, s[8:9]
	v_cndmask_b32_e64 v34, v34, v6, s[8:9]
	;; [unrolled: 1-line block ×18, first 2 shown]
	ds_read_b64 v[36:37], v99 offset:16
	v_cndmask_b32_e64 v35, v35, v25, s[26:27]
	v_cndmask_b32_e64 v34, v34, v24, s[26:27]
	;; [unrolled: 1-line block ×8, first 2 shown]
	s_waitcnt lgkmcnt(0)
	v_fmac_f64_e32 v[32:33], v[34:35], v[36:37]
	v_cmp_ne_u32_e32 vcc, 6, v0
	s_and_saveexec_b64 s[42:43], vcc
	s_cbranch_execz .LBB14_299
; %bb.288:
	v_add_u32_e32 v34, 3, v0
	v_cmp_eq_u32_e32 vcc, 1, v34
	v_cmp_eq_u32_e64 s[8:9], 2, v34
	v_cmp_eq_u32_e64 s[10:11], 3, v34
	v_cndmask_b32_e32 v35, v3, v5, vcc
	v_cmp_eq_u32_e64 s[12:13], 4, v34
	v_cmp_eq_u32_e64 s[14:15], 5, v34
	;; [unrolled: 1-line block ×11, first 2 shown]
	v_cndmask_b32_e32 v34, v2, v4, vcc
	v_cndmask_b32_e64 v35, v35, v7, s[8:9]
	v_cndmask_b32_e64 v34, v34, v6, s[8:9]
	;; [unrolled: 1-line block ×18, first 2 shown]
	ds_read_b64 v[36:37], v99 offset:24
	v_cndmask_b32_e64 v35, v35, v25, s[26:27]
	v_cndmask_b32_e64 v34, v34, v24, s[26:27]
	;; [unrolled: 1-line block ×8, first 2 shown]
	s_waitcnt lgkmcnt(0)
	v_fmac_f64_e32 v[32:33], v[34:35], v[36:37]
	s_and_saveexec_b64 s[34:35], s[6:7]
	s_cbranch_execz .LBB14_298
; %bb.289:
	v_add_u32_e32 v34, 4, v0
	v_cmp_eq_u32_e32 vcc, 1, v34
	v_cmp_eq_u32_e64 s[6:7], 2, v34
	v_cmp_eq_u32_e64 s[8:9], 3, v34
	v_cndmask_b32_e32 v35, v3, v5, vcc
	v_cmp_eq_u32_e64 s[10:11], 4, v34
	v_cmp_eq_u32_e64 s[12:13], 5, v34
	;; [unrolled: 1-line block ×11, first 2 shown]
	v_cndmask_b32_e32 v34, v2, v4, vcc
	v_cndmask_b32_e64 v35, v35, v7, s[6:7]
	v_cndmask_b32_e64 v34, v34, v6, s[6:7]
	;; [unrolled: 1-line block ×18, first 2 shown]
	ds_read_b64 v[36:37], v99 offset:32
	v_cndmask_b32_e64 v35, v35, v25, s[24:25]
	v_cndmask_b32_e64 v34, v34, v24, s[24:25]
	;; [unrolled: 1-line block ×8, first 2 shown]
	s_waitcnt lgkmcnt(0)
	v_fmac_f64_e32 v[32:33], v[34:35], v[36:37]
	v_cmp_ne_u32_e32 vcc, 4, v0
	s_and_saveexec_b64 s[44:45], vcc
	s_cbranch_execz .LBB14_297
; %bb.290:
	v_add_u32_e32 v34, 5, v0
	v_cmp_eq_u32_e32 vcc, 1, v34
	v_cmp_eq_u32_e64 s[6:7], 2, v34
	v_cmp_eq_u32_e64 s[8:9], 3, v34
	v_cndmask_b32_e32 v35, v3, v5, vcc
	v_cmp_eq_u32_e64 s[10:11], 4, v34
	v_cmp_eq_u32_e64 s[12:13], 5, v34
	;; [unrolled: 1-line block ×11, first 2 shown]
	v_cndmask_b32_e32 v34, v2, v4, vcc
	v_cndmask_b32_e64 v35, v35, v7, s[6:7]
	v_cndmask_b32_e64 v34, v34, v6, s[6:7]
	;; [unrolled: 1-line block ×18, first 2 shown]
	ds_read_b64 v[36:37], v99 offset:40
	v_cndmask_b32_e64 v35, v35, v25, s[24:25]
	v_cndmask_b32_e64 v34, v34, v24, s[24:25]
	;; [unrolled: 1-line block ×8, first 2 shown]
	s_waitcnt lgkmcnt(0)
	v_fmac_f64_e32 v[32:33], v[34:35], v[36:37]
	s_and_saveexec_b64 s[30:31], s[4:5]
	s_cbranch_execz .LBB14_296
; %bb.291:
	v_add_u32_e32 v34, 6, v0
	v_cmp_eq_u32_e32 vcc, 1, v34
	v_cmp_eq_u32_e64 s[4:5], 2, v34
	v_cmp_eq_u32_e64 s[6:7], 3, v34
	v_cndmask_b32_e32 v35, v3, v5, vcc
	v_cmp_eq_u32_e64 s[8:9], 4, v34
	v_cmp_eq_u32_e64 s[10:11], 5, v34
	;; [unrolled: 1-line block ×11, first 2 shown]
	v_cndmask_b32_e32 v34, v2, v4, vcc
	v_cndmask_b32_e64 v35, v35, v7, s[4:5]
	v_cndmask_b32_e64 v34, v34, v6, s[4:5]
	;; [unrolled: 1-line block ×18, first 2 shown]
	ds_read_b64 v[36:37], v99 offset:48
	v_cndmask_b32_e64 v35, v35, v25, s[22:23]
	v_cndmask_b32_e64 v34, v34, v24, s[22:23]
	;; [unrolled: 1-line block ×8, first 2 shown]
	s_waitcnt lgkmcnt(0)
	v_fmac_f64_e32 v[32:33], v[34:35], v[36:37]
	v_cmp_ne_u32_e32 vcc, 2, v0
	s_and_saveexec_b64 s[46:47], vcc
	s_cbranch_execz .LBB14_295
; %bb.292:
	v_add_u32_e32 v34, 7, v0
	v_cmp_eq_u32_e32 vcc, 1, v34
	v_cmp_eq_u32_e64 s[4:5], 2, v34
	v_cmp_eq_u32_e64 s[6:7], 3, v34
	v_cndmask_b32_e32 v35, v3, v5, vcc
	v_cmp_eq_u32_e64 s[8:9], 4, v34
	v_cmp_eq_u32_e64 s[10:11], 5, v34
	;; [unrolled: 1-line block ×11, first 2 shown]
	v_cndmask_b32_e32 v34, v2, v4, vcc
	v_cndmask_b32_e64 v35, v35, v7, s[4:5]
	v_cndmask_b32_e64 v34, v34, v6, s[4:5]
	;; [unrolled: 1-line block ×18, first 2 shown]
	ds_read_b64 v[34:35], v99 offset:56
	v_cndmask_b32_e64 v21, v21, v25, s[22:23]
	v_cndmask_b32_e64 v20, v20, v24, s[22:23]
	;; [unrolled: 1-line block ×8, first 2 shown]
	s_waitcnt lgkmcnt(0)
	v_fmac_f64_e32 v[32:33], v[20:21], v[34:35]
	s_and_saveexec_b64 s[4:5], s[2:3]
	s_cbranch_execz .LBB14_294
; %bb.293:
	ds_read_b64 v[20:21], v99 offset:64
	s_waitcnt lgkmcnt(0)
	v_fmac_f64_e32 v[32:33], v[18:19], v[20:21]
.LBB14_294:
	s_or_b64 exec, exec, s[4:5]
.LBB14_295:
	s_or_b64 exec, exec, s[46:47]
.LBB14_296:
	s_or_b64 exec, exec, s[30:31]
.LBB14_297:
	s_or_b64 exec, exec, s[44:45]
.LBB14_298:
	s_or_b64 exec, exec, s[34:35]
.LBB14_299:
	s_or_b64 exec, exec, s[42:43]
.LBB14_300:
	s_or_b64 exec, exec, s[36:37]
.LBB14_301:
	s_or_b64 exec, exec, s[40:41]
	v_mov_b32_e32 v20, 0
	ds_read_b64 v[20:21], v20 offset:72
	s_waitcnt lgkmcnt(0)
	v_mul_f64 v[20:21], v[32:33], v[20:21]
.LBB14_302:
	s_or_b64 exec, exec, s[38:39]
	v_cmp_gt_u32_e32 vcc, 10, v0
	s_waitcnt vmcnt(5)
	ds_write_b64 v99, v[22:23]
	s_waitcnt lgkmcnt(0)
	; wave barrier
	s_and_saveexec_b64 s[28:29], vcc
	s_cbranch_execz .LBB14_312
; %bb.303:
	s_and_b64 vcc, exec, s[0:1]
	s_cbranch_vccnz .LBB14_305
; %bb.304:
	v_cmp_eq_u32_e32 vcc, 1, v0
	v_cmp_eq_u32_e64 s[2:3], 2, v0
	v_cmp_eq_u32_e64 s[4:5], 3, v0
	s_waitcnt vmcnt(2)
	v_cndmask_b32_e32 v32, v3, v5, vcc
	v_cndmask_b32_e64 v32, v32, v7, s[2:3]
	v_cndmask_b32_e64 v32, v32, v9, s[4:5]
	v_cmp_eq_u32_e64 s[6:7], 4, v0
	v_cmp_eq_u32_e64 s[8:9], 5, v0
	v_cmp_eq_u32_e64 s[10:11], 6, v0
	v_cndmask_b32_e64 v32, v32, v11, s[6:7]
	v_cndmask_b32_e64 v32, v32, v13, s[8:9]
	v_cndmask_b32_e64 v32, v32, v15, s[10:11]
	v_cmp_eq_u32_e64 s[12:13], 7, v0
	v_cmp_eq_u32_e64 s[14:15], 8, v0
	v_cmp_eq_u32_e64 s[16:17], 9, v0
	v_cndmask_b32_e64 v32, v32, v17, s[12:13]
	;; [unrolled: 6-line block ×3, first 2 shown]
	v_cndmask_b32_e64 v32, v32, v25, s[20:21]
	v_cndmask_b32_e64 v32, v32, v27, s[22:23]
	v_cmp_eq_u32_e64 s[24:25], 13, v0
	v_cmp_eq_u32_e64 s[26:27], 14, v0
	ds_read_b64 v[34:35], v99
	s_waitcnt vmcnt(1)
	v_cndmask_b32_e64 v32, v32, v29, s[24:25]
	s_waitcnt vmcnt(0)
	v_cndmask_b32_e64 v33, v32, v31, s[26:27]
	v_cndmask_b32_e32 v32, v2, v4, vcc
	v_cndmask_b32_e64 v32, v32, v6, s[2:3]
	v_cndmask_b32_e64 v32, v32, v8, s[4:5]
	;; [unrolled: 1-line block ×13, first 2 shown]
	s_waitcnt lgkmcnt(0)
	v_mul_f64 v[32:33], v[32:33], v[34:35]
	s_cbranch_execz .LBB14_306
	s_branch .LBB14_307
.LBB14_305:
                                        ; implicit-def: $vgpr32_vgpr33
.LBB14_306:
	ds_read_b64 v[32:33], v99
.LBB14_307:
	v_cmp_ne_u32_e32 vcc, 9, v0
	s_and_saveexec_b64 s[6:7], vcc
	s_cbranch_execz .LBB14_311
; %bb.308:
	v_mov_b32_e32 v34, 0x88
	v_lshl_add_u32 v36, v0, 3, v34
	s_mov_b64 s[8:9], 0
	v_mov_b64_e32 v[34:35], v[0:1]
.LBB14_309:                             ; =>This Inner Loop Header: Depth=1
	v_lshl_add_u64 v[34:35], v[34:35], 0, 1
	v_cmp_eq_u32_e32 vcc, 1, v34
	v_cmp_eq_u32_e64 s[4:5], 2, v34
	v_cmp_lt_u32_e64 s[2:3], 8, v34
	s_waitcnt vmcnt(2)
	v_cndmask_b32_e32 v37, v3, v5, vcc
	v_cndmask_b32_e64 v37, v37, v7, s[4:5]
	v_cndmask_b32_e32 v40, v2, v4, vcc
	v_cmp_eq_u32_e32 vcc, 3, v34
	s_or_b64 s[8:9], s[2:3], s[8:9]
	v_cndmask_b32_e64 v40, v40, v6, s[4:5]
	v_cndmask_b32_e32 v37, v37, v9, vcc
	v_cmp_eq_u32_e64 s[2:3], 4, v34
	v_cndmask_b32_e32 v40, v40, v8, vcc
	v_cmp_eq_u32_e32 vcc, 5, v34
	v_cndmask_b32_e64 v37, v37, v11, s[2:3]
	v_cndmask_b32_e64 v40, v40, v10, s[2:3]
	v_cndmask_b32_e32 v37, v37, v13, vcc
	v_cmp_eq_u32_e64 s[2:3], 6, v34
	v_cndmask_b32_e32 v40, v40, v12, vcc
	v_cmp_eq_u32_e32 vcc, 7, v34
	v_cndmask_b32_e64 v37, v37, v15, s[2:3]
	v_cndmask_b32_e64 v40, v40, v14, s[2:3]
	v_cndmask_b32_e32 v37, v37, v17, vcc
	v_cmp_eq_u32_e64 s[2:3], 8, v34
	v_cndmask_b32_e32 v40, v40, v16, vcc
	v_cmp_eq_u32_e32 vcc, 9, v34
	v_cndmask_b32_e64 v37, v37, v19, s[2:3]
	v_cndmask_b32_e64 v40, v40, v18, s[2:3]
	v_cndmask_b32_e32 v37, v37, v21, vcc
	v_cmp_eq_u32_e64 s[2:3], 10, v34
	v_cndmask_b32_e32 v40, v40, v20, vcc
	v_cmp_eq_u32_e32 vcc, 11, v34
	v_cndmask_b32_e64 v37, v37, v23, s[2:3]
	ds_read_b64 v[38:39], v36
	v_cndmask_b32_e32 v37, v37, v25, vcc
	v_cndmask_b32_e64 v40, v40, v22, s[2:3]
	v_cmp_eq_u32_e64 s[2:3], 12, v34
	v_cndmask_b32_e32 v40, v40, v24, vcc
	v_cmp_eq_u32_e32 vcc, 13, v34
	v_cndmask_b32_e64 v37, v37, v27, s[2:3]
	v_cndmask_b32_e64 v40, v40, v26, s[2:3]
	s_waitcnt vmcnt(1)
	v_cndmask_b32_e32 v37, v37, v29, vcc
	v_cmp_eq_u32_e64 s[2:3], 14, v34
	v_add_u32_e32 v36, 8, v36
	s_waitcnt vmcnt(0)
	v_cndmask_b32_e64 v41, v37, v31, s[2:3]
	v_cndmask_b32_e32 v37, v40, v28, vcc
	v_cndmask_b32_e64 v40, v37, v30, s[2:3]
	s_waitcnt lgkmcnt(0)
	v_fmac_f64_e32 v[32:33], v[40:41], v[38:39]
	s_andn2_b64 exec, exec, s[8:9]
	s_cbranch_execnz .LBB14_309
; %bb.310:
	s_or_b64 exec, exec, s[8:9]
.LBB14_311:
	s_or_b64 exec, exec, s[6:7]
	v_mov_b32_e32 v22, 0
	ds_read_b64 v[22:23], v22 offset:80
	s_waitcnt lgkmcnt(0)
	v_mul_f64 v[22:23], v[32:33], v[22:23]
.LBB14_312:
	s_or_b64 exec, exec, s[28:29]
	v_cmp_gt_u32_e32 vcc, 11, v0
	s_waitcnt vmcnt(4)
	ds_write_b64 v99, v[24:25]
	s_waitcnt lgkmcnt(0)
	; wave barrier
	s_and_saveexec_b64 s[28:29], vcc
	s_cbranch_execz .LBB14_322
; %bb.313:
	s_and_b64 vcc, exec, s[0:1]
	s_cbranch_vccnz .LBB14_315
; %bb.314:
	v_cmp_eq_u32_e32 vcc, 1, v0
	v_cmp_eq_u32_e64 s[2:3], 2, v0
	v_cmp_eq_u32_e64 s[4:5], 3, v0
	s_waitcnt vmcnt(2)
	v_cndmask_b32_e32 v32, v3, v5, vcc
	v_cndmask_b32_e64 v32, v32, v7, s[2:3]
	v_cndmask_b32_e64 v32, v32, v9, s[4:5]
	v_cmp_eq_u32_e64 s[6:7], 4, v0
	v_cmp_eq_u32_e64 s[8:9], 5, v0
	v_cmp_eq_u32_e64 s[10:11], 6, v0
	v_cndmask_b32_e64 v32, v32, v11, s[6:7]
	v_cndmask_b32_e64 v32, v32, v13, s[8:9]
	v_cndmask_b32_e64 v32, v32, v15, s[10:11]
	v_cmp_eq_u32_e64 s[12:13], 7, v0
	v_cmp_eq_u32_e64 s[14:15], 8, v0
	v_cmp_eq_u32_e64 s[16:17], 9, v0
	v_cndmask_b32_e64 v32, v32, v17, s[12:13]
	;; [unrolled: 6-line block ×3, first 2 shown]
	v_cndmask_b32_e64 v32, v32, v25, s[20:21]
	v_cndmask_b32_e64 v32, v32, v27, s[22:23]
	v_cmp_eq_u32_e64 s[24:25], 13, v0
	v_cmp_eq_u32_e64 s[26:27], 14, v0
	ds_read_b64 v[34:35], v99
	s_waitcnt vmcnt(1)
	v_cndmask_b32_e64 v32, v32, v29, s[24:25]
	s_waitcnt vmcnt(0)
	v_cndmask_b32_e64 v33, v32, v31, s[26:27]
	v_cndmask_b32_e32 v32, v2, v4, vcc
	v_cndmask_b32_e64 v32, v32, v6, s[2:3]
	v_cndmask_b32_e64 v32, v32, v8, s[4:5]
	;; [unrolled: 1-line block ×13, first 2 shown]
	s_waitcnt lgkmcnt(0)
	v_mul_f64 v[32:33], v[32:33], v[34:35]
	s_cbranch_execz .LBB14_316
	s_branch .LBB14_317
.LBB14_315:
                                        ; implicit-def: $vgpr32_vgpr33
.LBB14_316:
	ds_read_b64 v[32:33], v99
.LBB14_317:
	v_cmp_ne_u32_e32 vcc, 10, v0
	s_and_saveexec_b64 s[6:7], vcc
	s_cbranch_execz .LBB14_321
; %bb.318:
	v_mov_b32_e32 v34, 0x88
	v_lshl_add_u32 v36, v0, 3, v34
	s_mov_b64 s[8:9], 0
	v_mov_b64_e32 v[34:35], v[0:1]
.LBB14_319:                             ; =>This Inner Loop Header: Depth=1
	v_lshl_add_u64 v[34:35], v[34:35], 0, 1
	v_cmp_eq_u32_e32 vcc, 1, v34
	v_cmp_eq_u32_e64 s[4:5], 2, v34
	v_cmp_lt_u32_e64 s[2:3], 9, v34
	s_waitcnt vmcnt(2)
	v_cndmask_b32_e32 v37, v3, v5, vcc
	v_cndmask_b32_e64 v37, v37, v7, s[4:5]
	v_cndmask_b32_e32 v40, v2, v4, vcc
	v_cmp_eq_u32_e32 vcc, 3, v34
	s_or_b64 s[8:9], s[2:3], s[8:9]
	v_cndmask_b32_e64 v40, v40, v6, s[4:5]
	v_cndmask_b32_e32 v37, v37, v9, vcc
	v_cmp_eq_u32_e64 s[2:3], 4, v34
	v_cndmask_b32_e32 v40, v40, v8, vcc
	v_cmp_eq_u32_e32 vcc, 5, v34
	v_cndmask_b32_e64 v37, v37, v11, s[2:3]
	v_cndmask_b32_e64 v40, v40, v10, s[2:3]
	v_cndmask_b32_e32 v37, v37, v13, vcc
	v_cmp_eq_u32_e64 s[2:3], 6, v34
	v_cndmask_b32_e32 v40, v40, v12, vcc
	v_cmp_eq_u32_e32 vcc, 7, v34
	v_cndmask_b32_e64 v37, v37, v15, s[2:3]
	;; [unrolled: 6-line block ×4, first 2 shown]
	ds_read_b64 v[38:39], v36
	v_cndmask_b32_e32 v37, v37, v25, vcc
	v_cndmask_b32_e64 v40, v40, v22, s[2:3]
	v_cmp_eq_u32_e64 s[2:3], 12, v34
	v_cndmask_b32_e32 v40, v40, v24, vcc
	v_cmp_eq_u32_e32 vcc, 13, v34
	v_cndmask_b32_e64 v37, v37, v27, s[2:3]
	v_cndmask_b32_e64 v40, v40, v26, s[2:3]
	s_waitcnt vmcnt(1)
	v_cndmask_b32_e32 v37, v37, v29, vcc
	v_cmp_eq_u32_e64 s[2:3], 14, v34
	v_add_u32_e32 v36, 8, v36
	s_waitcnt vmcnt(0)
	v_cndmask_b32_e64 v41, v37, v31, s[2:3]
	v_cndmask_b32_e32 v37, v40, v28, vcc
	v_cndmask_b32_e64 v40, v37, v30, s[2:3]
	s_waitcnt lgkmcnt(0)
	v_fmac_f64_e32 v[32:33], v[40:41], v[38:39]
	s_andn2_b64 exec, exec, s[8:9]
	s_cbranch_execnz .LBB14_319
; %bb.320:
	s_or_b64 exec, exec, s[8:9]
.LBB14_321:
	s_or_b64 exec, exec, s[6:7]
	v_mov_b32_e32 v24, 0
	ds_read_b64 v[24:25], v24 offset:88
	s_waitcnt lgkmcnt(0)
	v_mul_f64 v[24:25], v[32:33], v[24:25]
.LBB14_322:
	s_or_b64 exec, exec, s[28:29]
	v_cmp_gt_u32_e32 vcc, 12, v0
	s_waitcnt vmcnt(3)
	ds_write_b64 v99, v[26:27]
	s_waitcnt lgkmcnt(0)
	; wave barrier
	s_and_saveexec_b64 s[28:29], vcc
	s_cbranch_execz .LBB14_332
; %bb.323:
	s_and_b64 vcc, exec, s[0:1]
	s_cbranch_vccnz .LBB14_325
; %bb.324:
	v_cmp_eq_u32_e32 vcc, 1, v0
	v_cmp_eq_u32_e64 s[2:3], 2, v0
	v_cmp_eq_u32_e64 s[4:5], 3, v0
	s_waitcnt vmcnt(2)
	v_cndmask_b32_e32 v32, v3, v5, vcc
	v_cndmask_b32_e64 v32, v32, v7, s[2:3]
	v_cndmask_b32_e64 v32, v32, v9, s[4:5]
	v_cmp_eq_u32_e64 s[6:7], 4, v0
	v_cmp_eq_u32_e64 s[8:9], 5, v0
	v_cmp_eq_u32_e64 s[10:11], 6, v0
	v_cndmask_b32_e64 v32, v32, v11, s[6:7]
	v_cndmask_b32_e64 v32, v32, v13, s[8:9]
	v_cndmask_b32_e64 v32, v32, v15, s[10:11]
	v_cmp_eq_u32_e64 s[12:13], 7, v0
	v_cmp_eq_u32_e64 s[14:15], 8, v0
	v_cmp_eq_u32_e64 s[16:17], 9, v0
	v_cndmask_b32_e64 v32, v32, v17, s[12:13]
	;; [unrolled: 6-line block ×3, first 2 shown]
	v_cndmask_b32_e64 v32, v32, v25, s[20:21]
	v_cndmask_b32_e64 v32, v32, v27, s[22:23]
	v_cmp_eq_u32_e64 s[24:25], 13, v0
	v_cmp_eq_u32_e64 s[26:27], 14, v0
	ds_read_b64 v[34:35], v99
	s_waitcnt vmcnt(1)
	v_cndmask_b32_e64 v32, v32, v29, s[24:25]
	s_waitcnt vmcnt(0)
	v_cndmask_b32_e64 v33, v32, v31, s[26:27]
	v_cndmask_b32_e32 v32, v2, v4, vcc
	v_cndmask_b32_e64 v32, v32, v6, s[2:3]
	v_cndmask_b32_e64 v32, v32, v8, s[4:5]
	;; [unrolled: 1-line block ×13, first 2 shown]
	s_waitcnt lgkmcnt(0)
	v_mul_f64 v[32:33], v[32:33], v[34:35]
	s_cbranch_execz .LBB14_326
	s_branch .LBB14_327
.LBB14_325:
                                        ; implicit-def: $vgpr32_vgpr33
.LBB14_326:
	ds_read_b64 v[32:33], v99
.LBB14_327:
	v_cmp_ne_u32_e32 vcc, 11, v0
	s_and_saveexec_b64 s[6:7], vcc
	s_cbranch_execz .LBB14_331
; %bb.328:
	v_mov_b32_e32 v34, 0x88
	v_lshl_add_u32 v36, v0, 3, v34
	s_mov_b64 s[8:9], 0
	v_mov_b64_e32 v[34:35], v[0:1]
.LBB14_329:                             ; =>This Inner Loop Header: Depth=1
	v_lshl_add_u64 v[34:35], v[34:35], 0, 1
	v_cmp_eq_u32_e32 vcc, 1, v34
	v_cmp_eq_u32_e64 s[4:5], 2, v34
	v_cmp_lt_u32_e64 s[2:3], 10, v34
	s_waitcnt vmcnt(2)
	v_cndmask_b32_e32 v37, v3, v5, vcc
	v_cndmask_b32_e64 v37, v37, v7, s[4:5]
	v_cndmask_b32_e32 v40, v2, v4, vcc
	v_cmp_eq_u32_e32 vcc, 3, v34
	s_or_b64 s[8:9], s[2:3], s[8:9]
	v_cndmask_b32_e64 v40, v40, v6, s[4:5]
	v_cndmask_b32_e32 v37, v37, v9, vcc
	v_cmp_eq_u32_e64 s[2:3], 4, v34
	v_cndmask_b32_e32 v40, v40, v8, vcc
	v_cmp_eq_u32_e32 vcc, 5, v34
	v_cndmask_b32_e64 v37, v37, v11, s[2:3]
	v_cndmask_b32_e64 v40, v40, v10, s[2:3]
	v_cndmask_b32_e32 v37, v37, v13, vcc
	v_cmp_eq_u32_e64 s[2:3], 6, v34
	v_cndmask_b32_e32 v40, v40, v12, vcc
	v_cmp_eq_u32_e32 vcc, 7, v34
	v_cndmask_b32_e64 v37, v37, v15, s[2:3]
	;; [unrolled: 6-line block ×4, first 2 shown]
	ds_read_b64 v[38:39], v36
	v_cndmask_b32_e32 v37, v37, v25, vcc
	v_cndmask_b32_e64 v40, v40, v22, s[2:3]
	v_cmp_eq_u32_e64 s[2:3], 12, v34
	v_cndmask_b32_e32 v40, v40, v24, vcc
	v_cmp_eq_u32_e32 vcc, 13, v34
	v_cndmask_b32_e64 v37, v37, v27, s[2:3]
	v_cndmask_b32_e64 v40, v40, v26, s[2:3]
	s_waitcnt vmcnt(1)
	v_cndmask_b32_e32 v37, v37, v29, vcc
	v_cmp_eq_u32_e64 s[2:3], 14, v34
	v_add_u32_e32 v36, 8, v36
	s_waitcnt vmcnt(0)
	v_cndmask_b32_e64 v41, v37, v31, s[2:3]
	v_cndmask_b32_e32 v37, v40, v28, vcc
	v_cndmask_b32_e64 v40, v37, v30, s[2:3]
	s_waitcnt lgkmcnt(0)
	v_fmac_f64_e32 v[32:33], v[40:41], v[38:39]
	s_andn2_b64 exec, exec, s[8:9]
	s_cbranch_execnz .LBB14_329
; %bb.330:
	s_or_b64 exec, exec, s[8:9]
.LBB14_331:
	s_or_b64 exec, exec, s[6:7]
	v_mov_b32_e32 v26, 0
	ds_read_b64 v[26:27], v26 offset:96
	s_waitcnt lgkmcnt(0)
	v_mul_f64 v[26:27], v[32:33], v[26:27]
.LBB14_332:
	s_or_b64 exec, exec, s[28:29]
	v_cmp_gt_u32_e64 s[2:3], 13, v0
	s_waitcnt vmcnt(1)
	ds_write_b64 v99, v[28:29]
	s_waitcnt lgkmcnt(0)
	; wave barrier
	s_and_saveexec_b64 s[30:31], s[2:3]
	s_cbranch_execz .LBB14_342
; %bb.333:
	s_and_b64 vcc, exec, s[0:1]
	s_cbranch_vccnz .LBB14_335
; %bb.334:
	v_cmp_eq_u32_e32 vcc, 1, v0
	v_cmp_eq_u32_e64 s[4:5], 2, v0
	v_cmp_eq_u32_e64 s[6:7], 3, v0
	v_cndmask_b32_e32 v32, v3, v5, vcc
	v_cndmask_b32_e64 v32, v32, v7, s[4:5]
	v_cndmask_b32_e64 v32, v32, v9, s[6:7]
	v_cmp_eq_u32_e64 s[8:9], 4, v0
	v_cmp_eq_u32_e64 s[10:11], 5, v0
	v_cmp_eq_u32_e64 s[12:13], 6, v0
	v_cndmask_b32_e64 v32, v32, v11, s[8:9]
	v_cndmask_b32_e64 v32, v32, v13, s[10:11]
	v_cndmask_b32_e64 v32, v32, v15, s[12:13]
	v_cmp_eq_u32_e64 s[14:15], 7, v0
	v_cmp_eq_u32_e64 s[16:17], 8, v0
	v_cmp_eq_u32_e64 s[18:19], 9, v0
	v_cndmask_b32_e64 v32, v32, v17, s[14:15]
	;; [unrolled: 6-line block ×3, first 2 shown]
	v_cndmask_b32_e64 v32, v32, v25, s[22:23]
	v_cndmask_b32_e64 v32, v32, v27, s[24:25]
	v_cmp_eq_u32_e64 s[26:27], 13, v0
	v_cmp_eq_u32_e64 s[28:29], 14, v0
	ds_read_b64 v[34:35], v99
	v_cndmask_b32_e64 v32, v32, v29, s[26:27]
	s_waitcnt vmcnt(0)
	v_cndmask_b32_e64 v33, v32, v31, s[28:29]
	v_cndmask_b32_e32 v32, v2, v4, vcc
	v_cndmask_b32_e64 v32, v32, v6, s[4:5]
	v_cndmask_b32_e64 v32, v32, v8, s[6:7]
	;; [unrolled: 1-line block ×13, first 2 shown]
	s_waitcnt lgkmcnt(0)
	v_mul_f64 v[32:33], v[32:33], v[34:35]
	s_cbranch_execz .LBB14_336
	s_branch .LBB14_337
.LBB14_335:
                                        ; implicit-def: $vgpr32_vgpr33
.LBB14_336:
	ds_read_b64 v[32:33], v99
.LBB14_337:
	v_cmp_ne_u32_e32 vcc, 12, v0
	s_and_saveexec_b64 s[8:9], vcc
	s_cbranch_execz .LBB14_341
; %bb.338:
	v_mov_b32_e32 v34, 0x88
	v_lshl_add_u32 v36, v0, 3, v34
	s_mov_b64 s[10:11], 0
	v_mov_b64_e32 v[34:35], v[0:1]
.LBB14_339:                             ; =>This Inner Loop Header: Depth=1
	v_lshl_add_u64 v[34:35], v[34:35], 0, 1
	v_cmp_eq_u32_e32 vcc, 1, v34
	v_cmp_eq_u32_e64 s[6:7], 2, v34
	v_cmp_lt_u32_e64 s[4:5], 11, v34
	v_cndmask_b32_e32 v37, v3, v5, vcc
	v_cndmask_b32_e64 v37, v37, v7, s[6:7]
	v_cndmask_b32_e32 v40, v2, v4, vcc
	v_cmp_eq_u32_e32 vcc, 3, v34
	s_or_b64 s[10:11], s[4:5], s[10:11]
	v_cndmask_b32_e64 v40, v40, v6, s[6:7]
	v_cndmask_b32_e32 v37, v37, v9, vcc
	v_cmp_eq_u32_e64 s[4:5], 4, v34
	v_cndmask_b32_e32 v40, v40, v8, vcc
	v_cmp_eq_u32_e32 vcc, 5, v34
	v_cndmask_b32_e64 v37, v37, v11, s[4:5]
	v_cndmask_b32_e64 v40, v40, v10, s[4:5]
	v_cndmask_b32_e32 v37, v37, v13, vcc
	v_cmp_eq_u32_e64 s[4:5], 6, v34
	v_cndmask_b32_e32 v40, v40, v12, vcc
	v_cmp_eq_u32_e32 vcc, 7, v34
	v_cndmask_b32_e64 v37, v37, v15, s[4:5]
	;; [unrolled: 6-line block ×4, first 2 shown]
	ds_read_b64 v[38:39], v36
	v_cndmask_b32_e32 v37, v37, v25, vcc
	v_cndmask_b32_e64 v40, v40, v22, s[4:5]
	v_cmp_eq_u32_e64 s[4:5], 12, v34
	v_cndmask_b32_e32 v40, v40, v24, vcc
	v_cmp_eq_u32_e32 vcc, 13, v34
	v_cndmask_b32_e64 v37, v37, v27, s[4:5]
	v_cndmask_b32_e64 v40, v40, v26, s[4:5]
	v_cndmask_b32_e32 v37, v37, v29, vcc
	v_cmp_eq_u32_e64 s[4:5], 14, v34
	v_add_u32_e32 v36, 8, v36
	s_waitcnt vmcnt(0)
	v_cndmask_b32_e64 v41, v37, v31, s[4:5]
	v_cndmask_b32_e32 v37, v40, v28, vcc
	v_cndmask_b32_e64 v40, v37, v30, s[4:5]
	s_waitcnt lgkmcnt(0)
	v_fmac_f64_e32 v[32:33], v[40:41], v[38:39]
	s_andn2_b64 exec, exec, s[10:11]
	s_cbranch_execnz .LBB14_339
; %bb.340:
	s_or_b64 exec, exec, s[10:11]
.LBB14_341:
	s_or_b64 exec, exec, s[8:9]
	v_mov_b32_e32 v28, 0
	ds_read_b64 v[28:29], v28 offset:104
	s_waitcnt lgkmcnt(0)
	v_mul_f64 v[28:29], v[32:33], v[28:29]
.LBB14_342:
	s_or_b64 exec, exec, s[30:31]
	v_cmp_ne_u32_e32 vcc, 14, v0
	s_waitcnt vmcnt(0)
	ds_write_b64 v99, v[30:31]
	s_waitcnt lgkmcnt(0)
	; wave barrier
	s_and_saveexec_b64 s[28:29], vcc
	s_cbranch_execz .LBB14_352
; %bb.343:
	s_and_b64 vcc, exec, s[0:1]
	s_cbranch_vccnz .LBB14_345
; %bb.344:
	v_cmp_eq_u32_e32 vcc, 1, v0
	v_cmp_eq_u32_e64 s[0:1], 2, v0
	v_cmp_eq_u32_e64 s[4:5], 3, v0
	v_cndmask_b32_e32 v32, v3, v5, vcc
	v_cndmask_b32_e64 v32, v32, v7, s[0:1]
	v_cndmask_b32_e64 v32, v32, v9, s[4:5]
	v_cmp_eq_u32_e64 s[6:7], 4, v0
	v_cmp_eq_u32_e64 s[8:9], 5, v0
	v_cmp_eq_u32_e64 s[10:11], 6, v0
	v_cndmask_b32_e64 v32, v32, v11, s[6:7]
	v_cndmask_b32_e64 v32, v32, v13, s[8:9]
	v_cndmask_b32_e64 v32, v32, v15, s[10:11]
	v_cmp_eq_u32_e64 s[12:13], 7, v0
	v_cmp_eq_u32_e64 s[14:15], 8, v0
	v_cmp_eq_u32_e64 s[16:17], 9, v0
	v_cndmask_b32_e64 v32, v32, v17, s[12:13]
	;; [unrolled: 6-line block ×3, first 2 shown]
	v_cndmask_b32_e64 v32, v32, v25, s[20:21]
	v_cndmask_b32_e64 v32, v32, v27, s[22:23]
	v_cmp_eq_u32_e64 s[24:25], 13, v0
	v_cmp_eq_u32_e64 s[26:27], 14, v0
	ds_read_b64 v[34:35], v99
	v_cndmask_b32_e64 v32, v32, v29, s[24:25]
	v_cndmask_b32_e64 v33, v32, v31, s[26:27]
	v_cndmask_b32_e32 v32, v2, v4, vcc
	v_cndmask_b32_e64 v32, v32, v6, s[0:1]
	v_cndmask_b32_e64 v32, v32, v8, s[4:5]
	;; [unrolled: 1-line block ×13, first 2 shown]
	s_waitcnt lgkmcnt(0)
	v_mul_f64 v[32:33], v[32:33], v[34:35]
	s_cbranch_execz .LBB14_346
	s_branch .LBB14_347
.LBB14_345:
                                        ; implicit-def: $vgpr32_vgpr33
.LBB14_346:
	ds_read_b64 v[32:33], v99
.LBB14_347:
	s_and_saveexec_b64 s[4:5], s[2:3]
	s_cbranch_execz .LBB14_351
; %bb.348:
	v_mov_b32_e32 v34, 0x88
	v_lshl_add_u32 v34, v0, 3, v34
	s_mov_b64 s[6:7], 0
.LBB14_349:                             ; =>This Inner Loop Header: Depth=1
	v_lshl_add_u64 v[0:1], v[0:1], 0, 1
	v_cmp_eq_u32_e32 vcc, 1, v0
	v_cmp_eq_u32_e64 s[2:3], 2, v0
	v_cmp_lt_u32_e64 s[0:1], 12, v0
	v_cndmask_b32_e32 v35, v3, v5, vcc
	v_cndmask_b32_e64 v35, v35, v7, s[2:3]
	v_cndmask_b32_e32 v38, v2, v4, vcc
	v_cmp_eq_u32_e32 vcc, 3, v0
	s_or_b64 s[6:7], s[0:1], s[6:7]
	v_cndmask_b32_e64 v38, v38, v6, s[2:3]
	v_cndmask_b32_e32 v35, v35, v9, vcc
	v_cmp_eq_u32_e64 s[0:1], 4, v0
	v_cndmask_b32_e32 v38, v38, v8, vcc
	v_cmp_eq_u32_e32 vcc, 5, v0
	v_cndmask_b32_e64 v35, v35, v11, s[0:1]
	v_cndmask_b32_e64 v38, v38, v10, s[0:1]
	v_cndmask_b32_e32 v35, v35, v13, vcc
	v_cmp_eq_u32_e64 s[0:1], 6, v0
	v_cndmask_b32_e32 v38, v38, v12, vcc
	v_cmp_eq_u32_e32 vcc, 7, v0
	v_cndmask_b32_e64 v35, v35, v15, s[0:1]
	;; [unrolled: 6-line block ×4, first 2 shown]
	ds_read_b64 v[36:37], v34
	v_cndmask_b32_e32 v35, v35, v25, vcc
	v_cndmask_b32_e64 v38, v38, v22, s[0:1]
	v_cmp_eq_u32_e64 s[0:1], 12, v0
	v_cndmask_b32_e32 v38, v38, v24, vcc
	v_cmp_eq_u32_e32 vcc, 13, v0
	v_cndmask_b32_e64 v35, v35, v27, s[0:1]
	v_cndmask_b32_e64 v38, v38, v26, s[0:1]
	v_cndmask_b32_e32 v35, v35, v29, vcc
	v_cmp_eq_u32_e64 s[0:1], 14, v0
	v_add_u32_e32 v34, 8, v34
	s_nop 0
	v_cndmask_b32_e64 v39, v35, v31, s[0:1]
	v_cndmask_b32_e32 v35, v38, v28, vcc
	v_cndmask_b32_e64 v38, v35, v30, s[0:1]
	s_waitcnt lgkmcnt(0)
	v_fmac_f64_e32 v[32:33], v[38:39], v[36:37]
	s_andn2_b64 exec, exec, s[6:7]
	s_cbranch_execnz .LBB14_349
; %bb.350:
	s_or_b64 exec, exec, s[6:7]
.LBB14_351:
	s_or_b64 exec, exec, s[4:5]
	v_mov_b32_e32 v0, 0
	ds_read_b64 v[0:1], v0 offset:112
	s_waitcnt lgkmcnt(0)
	v_mul_f64 v[30:31], v[32:33], v[0:1]
.LBB14_352:
	s_or_b64 exec, exec, s[28:29]
	v_mov_b64_e32 v[62:63], v[32:33]
	v_mov_b64_e32 v[60:61], v[30:31]
	;; [unrolled: 1-line block ×16, first 2 shown]
.LBB14_353:
	global_store_dwordx2 v[64:65], v[32:33], off
	global_store_dwordx2 v[66:67], v[34:35], off
	;; [unrolled: 1-line block ×15, first 2 shown]
.LBB14_354:
	s_endpgm
	.section	.rodata,"a",@progbits
	.p2align	6, 0x0
	.amdhsa_kernel _ZN9rocsolver6v33100L18trti2_kernel_smallILi15EdPdEEv13rocblas_fill_17rocblas_diagonal_T1_iil
		.amdhsa_group_segment_fixed_size 248
		.amdhsa_private_segment_fixed_size 0
		.amdhsa_kernarg_size 32
		.amdhsa_user_sgpr_count 2
		.amdhsa_user_sgpr_dispatch_ptr 0
		.amdhsa_user_sgpr_queue_ptr 0
		.amdhsa_user_sgpr_kernarg_segment_ptr 1
		.amdhsa_user_sgpr_dispatch_id 0
		.amdhsa_user_sgpr_kernarg_preload_length 0
		.amdhsa_user_sgpr_kernarg_preload_offset 0
		.amdhsa_user_sgpr_private_segment_size 0
		.amdhsa_uses_dynamic_stack 0
		.amdhsa_enable_private_segment 0
		.amdhsa_system_sgpr_workgroup_id_x 1
		.amdhsa_system_sgpr_workgroup_id_y 0
		.amdhsa_system_sgpr_workgroup_id_z 0
		.amdhsa_system_sgpr_workgroup_info 0
		.amdhsa_system_vgpr_workitem_id 0
		.amdhsa_next_free_vgpr 122
		.amdhsa_next_free_sgpr 48
		.amdhsa_accum_offset 124
		.amdhsa_reserve_vcc 1
		.amdhsa_float_round_mode_32 0
		.amdhsa_float_round_mode_16_64 0
		.amdhsa_float_denorm_mode_32 3
		.amdhsa_float_denorm_mode_16_64 3
		.amdhsa_dx10_clamp 1
		.amdhsa_ieee_mode 1
		.amdhsa_fp16_overflow 0
		.amdhsa_tg_split 0
		.amdhsa_exception_fp_ieee_invalid_op 0
		.amdhsa_exception_fp_denorm_src 0
		.amdhsa_exception_fp_ieee_div_zero 0
		.amdhsa_exception_fp_ieee_overflow 0
		.amdhsa_exception_fp_ieee_underflow 0
		.amdhsa_exception_fp_ieee_inexact 0
		.amdhsa_exception_int_div_zero 0
	.end_amdhsa_kernel
	.section	.text._ZN9rocsolver6v33100L18trti2_kernel_smallILi15EdPdEEv13rocblas_fill_17rocblas_diagonal_T1_iil,"axG",@progbits,_ZN9rocsolver6v33100L18trti2_kernel_smallILi15EdPdEEv13rocblas_fill_17rocblas_diagonal_T1_iil,comdat
.Lfunc_end14:
	.size	_ZN9rocsolver6v33100L18trti2_kernel_smallILi15EdPdEEv13rocblas_fill_17rocblas_diagonal_T1_iil, .Lfunc_end14-_ZN9rocsolver6v33100L18trti2_kernel_smallILi15EdPdEEv13rocblas_fill_17rocblas_diagonal_T1_iil
                                        ; -- End function
	.set _ZN9rocsolver6v33100L18trti2_kernel_smallILi15EdPdEEv13rocblas_fill_17rocblas_diagonal_T1_iil.num_vgpr, 122
	.set _ZN9rocsolver6v33100L18trti2_kernel_smallILi15EdPdEEv13rocblas_fill_17rocblas_diagonal_T1_iil.num_agpr, 0
	.set _ZN9rocsolver6v33100L18trti2_kernel_smallILi15EdPdEEv13rocblas_fill_17rocblas_diagonal_T1_iil.numbered_sgpr, 48
	.set _ZN9rocsolver6v33100L18trti2_kernel_smallILi15EdPdEEv13rocblas_fill_17rocblas_diagonal_T1_iil.num_named_barrier, 0
	.set _ZN9rocsolver6v33100L18trti2_kernel_smallILi15EdPdEEv13rocblas_fill_17rocblas_diagonal_T1_iil.private_seg_size, 0
	.set _ZN9rocsolver6v33100L18trti2_kernel_smallILi15EdPdEEv13rocblas_fill_17rocblas_diagonal_T1_iil.uses_vcc, 1
	.set _ZN9rocsolver6v33100L18trti2_kernel_smallILi15EdPdEEv13rocblas_fill_17rocblas_diagonal_T1_iil.uses_flat_scratch, 0
	.set _ZN9rocsolver6v33100L18trti2_kernel_smallILi15EdPdEEv13rocblas_fill_17rocblas_diagonal_T1_iil.has_dyn_sized_stack, 0
	.set _ZN9rocsolver6v33100L18trti2_kernel_smallILi15EdPdEEv13rocblas_fill_17rocblas_diagonal_T1_iil.has_recursion, 0
	.set _ZN9rocsolver6v33100L18trti2_kernel_smallILi15EdPdEEv13rocblas_fill_17rocblas_diagonal_T1_iil.has_indirect_call, 0
	.section	.AMDGPU.csdata,"",@progbits
; Kernel info:
; codeLenInByte = 29732
; TotalNumSgprs: 54
; NumVgprs: 122
; NumAgprs: 0
; TotalNumVgprs: 122
; ScratchSize: 0
; MemoryBound: 0
; FloatMode: 240
; IeeeMode: 1
; LDSByteSize: 248 bytes/workgroup (compile time only)
; SGPRBlocks: 6
; VGPRBlocks: 15
; NumSGPRsForWavesPerEU: 54
; NumVGPRsForWavesPerEU: 122
; AccumOffset: 124
; Occupancy: 4
; WaveLimiterHint : 0
; COMPUTE_PGM_RSRC2:SCRATCH_EN: 0
; COMPUTE_PGM_RSRC2:USER_SGPR: 2
; COMPUTE_PGM_RSRC2:TRAP_HANDLER: 0
; COMPUTE_PGM_RSRC2:TGID_X_EN: 1
; COMPUTE_PGM_RSRC2:TGID_Y_EN: 0
; COMPUTE_PGM_RSRC2:TGID_Z_EN: 0
; COMPUTE_PGM_RSRC2:TIDIG_COMP_CNT: 0
; COMPUTE_PGM_RSRC3_GFX90A:ACCUM_OFFSET: 30
; COMPUTE_PGM_RSRC3_GFX90A:TG_SPLIT: 0
	.section	.text._ZN9rocsolver6v33100L18trti2_kernel_smallILi16EdPdEEv13rocblas_fill_17rocblas_diagonal_T1_iil,"axG",@progbits,_ZN9rocsolver6v33100L18trti2_kernel_smallILi16EdPdEEv13rocblas_fill_17rocblas_diagonal_T1_iil,comdat
	.globl	_ZN9rocsolver6v33100L18trti2_kernel_smallILi16EdPdEEv13rocblas_fill_17rocblas_diagonal_T1_iil ; -- Begin function _ZN9rocsolver6v33100L18trti2_kernel_smallILi16EdPdEEv13rocblas_fill_17rocblas_diagonal_T1_iil
	.p2align	8
	.type	_ZN9rocsolver6v33100L18trti2_kernel_smallILi16EdPdEEv13rocblas_fill_17rocblas_diagonal_T1_iil,@function
_ZN9rocsolver6v33100L18trti2_kernel_smallILi16EdPdEEv13rocblas_fill_17rocblas_diagonal_T1_iil: ; @_ZN9rocsolver6v33100L18trti2_kernel_smallILi16EdPdEEv13rocblas_fill_17rocblas_diagonal_T1_iil
; %bb.0:
	v_cmp_gt_u32_e32 vcc, 16, v0
	s_and_saveexec_b64 s[4:5], vcc
	s_cbranch_execz .LBB15_380
; %bb.1:
	s_load_dwordx8 s[36:43], s[0:1], 0x0
	s_ashr_i32 s3, s2, 31
	v_mov_b32_e32 v1, 0
	v_lshlrev_b32_e32 v34, 3, v0
	v_mov_b32_e32 v35, v1
	s_waitcnt lgkmcnt(0)
	s_mul_hi_u32 s4, s42, s2
	s_mul_i32 s3, s42, s3
	s_add_i32 s3, s4, s3
	s_mul_i32 s4, s43, s2
	s_add_i32 s3, s3, s4
	s_mul_i32 s2, s42, s2
	s_ashr_i32 s1, s40, 31
	s_lshl_b64 s[2:3], s[2:3], 3
	s_mov_b32 s0, s40
	s_add_u32 s2, s38, s2
	s_addc_u32 s3, s39, s3
	s_lshl_b64 s[0:1], s[0:1], 3
	s_add_u32 s0, s2, s0
	s_addc_u32 s1, s3, s1
	v_lshl_add_u64 v[66:67], s[0:1], 0, v[34:35]
	s_ashr_i32 s3, s41, 31
	s_mov_b32 s2, s41
	v_lshl_add_u64 v[68:69], s[2:3], 3, v[66:67]
	s_add_i32 s2, s41, s41
	v_add_u32_e32 v2, s2, v0
	v_ashrrev_i32_e32 v3, 31, v2
	v_lshl_add_u64 v[70:71], v[2:3], 3, s[0:1]
	v_add_u32_e32 v2, s41, v2
	v_ashrrev_i32_e32 v3, 31, v2
	v_lshl_add_u64 v[72:73], v[2:3], 3, s[0:1]
	;; [unrolled: 3-line block ×13, first 2 shown]
	v_add_u32_e32 v2, s41, v2
	v_ashrrev_i32_e32 v3, 31, v2
	global_load_dwordx2 v[4:5], v[68:69], off
	global_load_dwordx2 v[6:7], v[70:71], off
	;; [unrolled: 1-line block ×12, first 2 shown]
	v_lshl_add_u64 v[96:97], v[2:3], 3, s[0:1]
	global_load_dwordx2 v[2:3], v34, s[0:1]
	global_load_dwordx2 v[28:29], v[92:93], off
	global_load_dwordx2 v[30:31], v[94:95], off
	;; [unrolled: 1-line block ×3, first 2 shown]
	s_cmpk_lg_i32 s37, 0x84
	s_cselect_b64 s[34:35], -1, 0
	s_cmpk_eq_i32 s37, 0x84
	v_mov_b64_e32 v[36:37], -1.0
	s_cbranch_scc1 .LBB15_3
; %bb.2:
	v_cmp_eq_u32_e64 s[0:1], 1, v0
	v_cmp_eq_u32_e64 s[2:3], 2, v0
	;; [unrolled: 1-line block ×3, first 2 shown]
	s_waitcnt vmcnt(3)
	v_cndmask_b32_e64 v35, v3, v5, s[0:1]
	v_cndmask_b32_e64 v35, v35, v7, s[2:3]
	v_cndmask_b32_e64 v35, v35, v9, s[4:5]
	v_cmp_eq_u32_e64 s[6:7], 4, v0
	v_cmp_eq_u32_e64 s[8:9], 5, v0
	v_cmp_eq_u32_e64 s[10:11], 6, v0
	v_cndmask_b32_e64 v35, v35, v11, s[6:7]
	v_cndmask_b32_e64 v35, v35, v13, s[8:9]
	v_cndmask_b32_e64 v35, v35, v15, s[10:11]
	v_cmp_eq_u32_e64 s[12:13], 7, v0
	v_cmp_eq_u32_e64 s[14:15], 8, v0
	v_cmp_eq_u32_e64 s[16:17], 9, v0
	v_cndmask_b32_e64 v35, v35, v17, s[12:13]
	v_cndmask_b32_e64 v35, v35, v19, s[14:15]
	v_cndmask_b32_e64 v35, v35, v21, s[16:17]
	v_cmp_eq_u32_e64 s[18:19], 10, v0
	v_cmp_eq_u32_e64 s[20:21], 11, v0
	v_cmp_eq_u32_e64 s[22:23], 12, v0
	v_cndmask_b32_e64 v35, v35, v23, s[18:19]
	v_cndmask_b32_e64 v35, v35, v25, s[20:21]
	v_cndmask_b32_e64 v35, v35, v27, s[22:23]
	v_cmp_eq_u32_e64 s[24:25], 13, v0
	v_cmp_eq_u32_e64 s[26:27], 14, v0
	v_cmp_eq_u32_e64 s[28:29], 15, v0
	s_waitcnt vmcnt(2)
	v_cndmask_b32_e64 v35, v35, v29, s[24:25]
	s_waitcnt vmcnt(1)
	v_cndmask_b32_e64 v35, v35, v31, s[26:27]
	;; [unrolled: 2-line block ×3, first 2 shown]
	v_cndmask_b32_e64 v35, v2, v4, s[0:1]
	v_cndmask_b32_e64 v35, v35, v6, s[2:3]
	;; [unrolled: 1-line block ×15, first 2 shown]
	v_div_scale_f64 v[38:39], s[30:31], v[36:37], v[36:37], 1.0
	v_rcp_f64_e32 v[40:41], v[38:39]
	s_nop 0
	v_fma_f64 v[42:43], -v[38:39], v[40:41], 1.0
	v_fmac_f64_e32 v[40:41], v[40:41], v[42:43]
	v_fma_f64 v[42:43], -v[38:39], v[40:41], 1.0
	v_fmac_f64_e32 v[40:41], v[40:41], v[42:43]
	v_div_scale_f64 v[42:43], vcc, 1.0, v[36:37], 1.0
	v_mul_f64 v[44:45], v[42:43], v[40:41]
	v_fma_f64 v[38:39], -v[38:39], v[44:45], v[42:43]
	s_nop 1
	v_div_fmas_f64 v[38:39], v[38:39], v[40:41], v[44:45]
	v_div_fixup_f64 v[36:37], v[38:39], v[36:37], 1.0
	v_cmp_eq_u32_e32 vcc, 0, v0
	v_cndmask_b32_e64 v33, v33, v37, s[28:29]
	v_cndmask_b32_e64 v32, v32, v36, s[28:29]
	;; [unrolled: 1-line block ×30, first 2 shown]
	v_cndmask_b32_e32 v3, v3, v37, vcc
	v_cndmask_b32_e32 v2, v2, v36, vcc
	v_xor_b32_e32 v37, 0x80000000, v37
.LBB15_3:
	s_cmpk_eq_i32 s36, 0x79
	v_add_u32_e32 v103, 0x80, v34
	ds_write_b64 v34, v[36:37]
	s_cbranch_scc1 .LBB15_7
; %bb.4:
	s_waitcnt vmcnt(0)
	v_mov_b64_e32 v[64:65], v[32:33]
	v_cmp_eq_u32_e64 s[0:1], 15, v0
	v_mov_b64_e32 v[62:63], v[30:31]
	v_mov_b64_e32 v[60:61], v[28:29]
	;; [unrolled: 1-line block ×15, first 2 shown]
	ds_write_b64 v103, v[30:31]
	s_waitcnt lgkmcnt(0)
	; wave barrier
	s_and_saveexec_b64 s[30:31], s[0:1]
	s_cbranch_execz .LBB15_11
; %bb.5:
	s_and_b64 vcc, exec, s[34:35]
	s_cbranch_vccz .LBB15_8
; %bb.6:
	v_cmp_eq_u32_e32 vcc, 1, v0
	v_cmp_eq_u32_e64 s[2:3], 2, v0
	v_cmp_eq_u32_e64 s[4:5], 3, v0
	v_cndmask_b32_e32 v34, v3, v5, vcc
	v_cndmask_b32_e64 v34, v34, v7, s[2:3]
	v_cndmask_b32_e64 v34, v34, v9, s[4:5]
	v_cmp_eq_u32_e64 s[6:7], 4, v0
	v_cmp_eq_u32_e64 s[8:9], 5, v0
	v_cmp_eq_u32_e64 s[10:11], 6, v0
	v_cndmask_b32_e64 v34, v34, v11, s[6:7]
	v_cndmask_b32_e64 v34, v34, v13, s[8:9]
	v_cndmask_b32_e64 v34, v34, v15, s[10:11]
	v_cmp_eq_u32_e64 s[12:13], 7, v0
	v_cmp_eq_u32_e64 s[14:15], 8, v0
	v_cmp_eq_u32_e64 s[16:17], 9, v0
	v_cndmask_b32_e64 v34, v34, v17, s[12:13]
	v_cndmask_b32_e64 v34, v34, v19, s[14:15]
	v_cndmask_b32_e64 v34, v34, v21, s[16:17]
	v_cmp_eq_u32_e64 s[18:19], 10, v0
	v_cmp_eq_u32_e64 s[20:21], 11, v0
	v_cmp_eq_u32_e64 s[22:23], 12, v0
	v_cndmask_b32_e64 v34, v34, v23, s[18:19]
	v_cndmask_b32_e64 v34, v34, v25, s[20:21]
	v_cndmask_b32_e64 v34, v34, v27, s[22:23]
	v_cmp_eq_u32_e64 s[24:25], 13, v0
	v_cmp_eq_u32_e64 s[26:27], 14, v0
	v_cmp_eq_u32_e64 s[28:29], 15, v0
	v_cndmask_b32_e64 v34, v34, v29, s[24:25]
	v_cndmask_b32_e64 v34, v34, v31, s[26:27]
	v_cndmask_b32_e64 v35, v34, v33, s[28:29]
	v_cndmask_b32_e32 v34, v2, v4, vcc
	v_cndmask_b32_e64 v34, v34, v6, s[2:3]
	v_cndmask_b32_e64 v34, v34, v8, s[4:5]
	v_cndmask_b32_e64 v34, v34, v10, s[6:7]
	v_cndmask_b32_e64 v34, v34, v12, s[8:9]
	v_cndmask_b32_e64 v34, v34, v14, s[10:11]
	v_cndmask_b32_e64 v34, v34, v16, s[12:13]
	v_cndmask_b32_e64 v34, v34, v18, s[14:15]
	v_cndmask_b32_e64 v34, v34, v20, s[16:17]
	v_cndmask_b32_e64 v34, v34, v22, s[18:19]
	v_cndmask_b32_e64 v34, v34, v24, s[20:21]
	ds_read_b64 v[36:37], v103
	v_cndmask_b32_e64 v34, v34, v26, s[22:23]
	v_cndmask_b32_e64 v34, v34, v28, s[24:25]
	;; [unrolled: 1-line block ×4, first 2 shown]
	s_waitcnt lgkmcnt(0)
	v_mul_f64 v[98:99], v[34:35], v[36:37]
	s_cbranch_execz .LBB15_9
	s_branch .LBB15_10
.LBB15_7:
                                        ; implicit-def: $vgpr34_vgpr35_vgpr36_vgpr37_vgpr38_vgpr39_vgpr40_vgpr41_vgpr42_vgpr43_vgpr44_vgpr45_vgpr46_vgpr47_vgpr48_vgpr49_vgpr50_vgpr51_vgpr52_vgpr53_vgpr54_vgpr55_vgpr56_vgpr57_vgpr58_vgpr59_vgpr60_vgpr61_vgpr62_vgpr63_vgpr64_vgpr65
	s_cbranch_execnz .LBB15_226
	s_branch .LBB15_379
.LBB15_8:
                                        ; implicit-def: $vgpr98_vgpr99
.LBB15_9:
	ds_read_b64 v[98:99], v103
.LBB15_10:
	v_mov_b32_e32 v34, 0
	ds_read_b64 v[100:101], v34 offset:112
	v_mov_b64_e32 v[64:65], v[32:33]
	v_mov_b64_e32 v[62:63], v[30:31]
	;; [unrolled: 1-line block ×16, first 2 shown]
	s_waitcnt lgkmcnt(0)
	v_mul_f64 v[62:63], v[98:99], v[100:101]
.LBB15_11:
	s_or_b64 exec, exec, s[30:31]
	v_cmp_lt_u32_e64 s[2:3], 13, v0
	ds_write_b64 v103, v[60:61]
	s_waitcnt lgkmcnt(0)
	; wave barrier
	s_and_saveexec_b64 s[36:37], s[2:3]
	s_cbranch_execz .LBB15_17
; %bb.12:
	s_andn2_b64 vcc, exec, s[34:35]
	s_cbranch_vccnz .LBB15_14
; %bb.13:
	v_cmp_eq_u32_e32 vcc, 1, v0
	v_cmp_eq_u32_e64 s[4:5], 2, v0
	v_cmp_eq_u32_e64 s[6:7], 3, v0
	v_cndmask_b32_e32 v98, v35, v37, vcc
	v_cndmask_b32_e64 v98, v98, v39, s[4:5]
	v_cndmask_b32_e64 v98, v98, v41, s[6:7]
	v_cmp_eq_u32_e64 s[8:9], 4, v0
	v_cmp_eq_u32_e64 s[10:11], 5, v0
	v_cmp_eq_u32_e64 s[12:13], 6, v0
	v_cndmask_b32_e64 v98, v98, v43, s[8:9]
	v_cndmask_b32_e64 v98, v98, v45, s[10:11]
	v_cndmask_b32_e64 v98, v98, v47, s[12:13]
	v_cmp_eq_u32_e64 s[14:15], 7, v0
	v_cmp_eq_u32_e64 s[16:17], 8, v0
	v_cmp_eq_u32_e64 s[18:19], 9, v0
	v_cndmask_b32_e64 v98, v98, v49, s[14:15]
	;; [unrolled: 6-line block ×4, first 2 shown]
	v_cndmask_b32_e32 v98, v34, v36, vcc
	v_cndmask_b32_e64 v98, v98, v38, s[4:5]
	v_cndmask_b32_e64 v98, v98, v40, s[6:7]
	;; [unrolled: 1-line block ×10, first 2 shown]
	ds_read_b64 v[98:99], v103
	v_cndmask_b32_e64 v100, v100, v58, s[24:25]
	v_cndmask_b32_e64 v60, v100, v60, s[26:27]
	;; [unrolled: 1-line block ×6, first 2 shown]
	s_waitcnt lgkmcnt(0)
	v_mul_f64 v[60:61], v[60:61], v[98:99]
	s_cbranch_execz .LBB15_15
	s_branch .LBB15_16
.LBB15_14:
                                        ; implicit-def: $vgpr60_vgpr61
.LBB15_15:
	ds_read_b64 v[60:61], v103
.LBB15_16:
	v_mov_b32_e32 v98, 0
	ds_read2_b64 v[98:101], v98 offset0:13 offset1:30
	s_waitcnt lgkmcnt(0)
	v_fma_f64 v[100:101], v[62:63], v[100:101], v[60:61]
	v_cndmask_b32_e64 v61, v61, v101, s[0:1]
	v_cndmask_b32_e64 v60, v60, v100, s[0:1]
	v_mul_f64 v[60:61], v[60:61], v[98:99]
.LBB15_17:
	s_or_b64 exec, exec, s[36:37]
	v_cmp_lt_u32_e64 s[0:1], 12, v0
	ds_write_b64 v103, v[58:59]
	s_waitcnt lgkmcnt(0)
	; wave barrier
	s_and_saveexec_b64 s[36:37], s[0:1]
	s_cbranch_execz .LBB15_33
; %bb.18:
	s_andn2_b64 vcc, exec, s[34:35]
	s_cbranch_vccnz .LBB15_20
; %bb.19:
	v_cmp_eq_u32_e32 vcc, 1, v0
	v_cmp_eq_u32_e64 s[4:5], 2, v0
	v_cmp_eq_u32_e64 s[6:7], 3, v0
	v_cndmask_b32_e32 v98, v35, v37, vcc
	v_cndmask_b32_e64 v98, v98, v39, s[4:5]
	v_cndmask_b32_e64 v98, v98, v41, s[6:7]
	v_cmp_eq_u32_e64 s[8:9], 4, v0
	v_cmp_eq_u32_e64 s[10:11], 5, v0
	v_cmp_eq_u32_e64 s[12:13], 6, v0
	v_cndmask_b32_e64 v98, v98, v43, s[8:9]
	v_cndmask_b32_e64 v98, v98, v45, s[10:11]
	v_cndmask_b32_e64 v98, v98, v47, s[12:13]
	v_cmp_eq_u32_e64 s[14:15], 7, v0
	v_cmp_eq_u32_e64 s[16:17], 8, v0
	v_cmp_eq_u32_e64 s[18:19], 9, v0
	v_cndmask_b32_e64 v98, v98, v49, s[14:15]
	;; [unrolled: 6-line block ×4, first 2 shown]
	v_cndmask_b32_e64 v98, v98, v63, s[28:29]
	v_cndmask_b32_e64 v99, v98, v65, s[30:31]
	v_cndmask_b32_e32 v98, v34, v36, vcc
	v_cndmask_b32_e64 v98, v98, v38, s[4:5]
	v_cndmask_b32_e64 v98, v98, v40, s[6:7]
	;; [unrolled: 1-line block ×10, first 2 shown]
	ds_read_b64 v[100:101], v103
	v_cndmask_b32_e64 v98, v98, v58, s[24:25]
	v_cndmask_b32_e64 v98, v98, v60, s[26:27]
	v_cndmask_b32_e64 v98, v98, v62, s[28:29]
	v_cndmask_b32_e64 v98, v98, v64, s[30:31]
	s_waitcnt lgkmcnt(0)
	v_mul_f64 v[98:99], v[98:99], v[100:101]
	s_cbranch_execz .LBB15_21
	s_branch .LBB15_22
.LBB15_20:
                                        ; implicit-def: $vgpr98_vgpr99
.LBB15_21:
	ds_read_b64 v[98:99], v103
.LBB15_22:
	s_and_saveexec_b64 s[6:7], s[2:3]
	s_cbranch_execz .LBB15_32
; %bb.23:
	v_add_u32_e32 v100, -14, v0
	v_add_u32_e32 v101, -13, v0
	v_cmp_lt_u32_e32 vcc, 6, v100
	v_mov_b32_e32 v100, 13
	s_and_saveexec_b64 s[2:3], vcc
	s_cbranch_execz .LBB15_27
; %bb.24:
	v_and_b32_e32 v100, -8, v101
	v_sub_u32_e32 v102, 0, v100
	s_mov_b64 s[4:5], 20
	s_movk_i32 s10, 0xe8
	s_mov_b64 s[8:9], 0
.LBB15_25:                              ; =>This Inner Loop Header: Depth=1
	s_lshl_b32 s11, s4, 1
	s_add_i32 s12, s11, -13
	v_mov_b32_e32 v118, s10
	s_add_i32 s13, s11, -14
	s_set_gpr_idx_on s12, gpr_idx(SRC0)
	v_mov_b32_e32 v113, v34
	s_set_gpr_idx_off
	s_add_i32 s14, s11, -11
	s_set_gpr_idx_on s13, gpr_idx(SRC0)
	v_mov_b32_e32 v112, v34
	s_set_gpr_idx_off
	ds_read2_b64 v[104:107], v118 offset1:1
	s_add_i32 s15, s11, -12
	s_set_gpr_idx_on s14, gpr_idx(SRC0)
	v_mov_b32_e32 v115, v34
	s_set_gpr_idx_off
	s_add_i32 s16, s11, -9
	s_set_gpr_idx_on s15, gpr_idx(SRC0)
	v_mov_b32_e32 v114, v34
	s_set_gpr_idx_off
	;; [unrolled: 4-line block ×4, first 2 shown]
	ds_read2_b64 v[108:111], v118 offset0:2 offset1:3
	s_add_i32 s19, s11, -8
	s_waitcnt lgkmcnt(1)
	v_fmac_f64_e32 v[98:99], v[112:113], v[104:105]
	s_set_gpr_idx_on s18, gpr_idx(SRC0)
	v_mov_b32_e32 v113, v34
	s_set_gpr_idx_off
	s_add_i32 s20, s11, -5
	v_fmac_f64_e32 v[98:99], v[114:115], v[106:107]
	s_set_gpr_idx_on s19, gpr_idx(SRC0)
	v_mov_b32_e32 v112, v34
	s_set_gpr_idx_off
	s_add_i32 s21, s11, -6
	s_set_gpr_idx_on s20, gpr_idx(SRC0)
	v_mov_b32_e32 v115, v34
	s_set_gpr_idx_off
	s_add_i32 s22, s11, -3
	;; [unrolled: 4-line block ×3, first 2 shown]
	ds_read2_b64 v[104:107], v118 offset0:4 offset1:5
	s_waitcnt lgkmcnt(1)
	v_fmac_f64_e32 v[98:99], v[116:117], v[108:109]
	s_set_gpr_idx_on s22, gpr_idx(SRC0)
	v_mov_b32_e32 v117, v34
	s_set_gpr_idx_off
	s_add_i32 s24, s11, -1
	v_fmac_f64_e32 v[98:99], v[112:113], v[110:111]
	s_set_gpr_idx_on s23, gpr_idx(SRC0)
	v_mov_b32_e32 v116, v34
	s_set_gpr_idx_off
	s_add_i32 s25, s11, -2
	s_set_gpr_idx_on s24, gpr_idx(SRC0)
	v_mov_b32_e32 v113, v34
	s_set_gpr_idx_off
	s_set_gpr_idx_on s25, gpr_idx(SRC0)
	v_mov_b32_e32 v112, v34
	s_set_gpr_idx_off
	ds_read2_b64 v[108:111], v118 offset0:6 offset1:7
	s_add_u32 s4, s4, 8
	s_waitcnt lgkmcnt(1)
	v_fmac_f64_e32 v[98:99], v[114:115], v[104:105]
	s_set_gpr_idx_on s11, gpr_idx(SRC0)
	v_mov_b32_e32 v105, v35
	s_set_gpr_idx_off
	v_add_u32_e32 v100, s4, v102
	v_fmac_f64_e32 v[98:99], v[116:117], v[106:107]
	s_set_gpr_idx_on s11, gpr_idx(SRC0)
	v_mov_b32_e32 v104, v34
	s_set_gpr_idx_off
	s_addc_u32 s5, s5, 0
	s_add_i32 s10, s10, 64
	s_add_i32 s12, s4, -7
	v_cmp_eq_u32_e32 vcc, 20, v100
	s_waitcnt lgkmcnt(0)
	v_fmac_f64_e32 v[98:99], v[112:113], v[108:109]
	v_mov_b32_e32 v100, s12
	s_or_b64 s[8:9], vcc, s[8:9]
	v_fmac_f64_e32 v[98:99], v[104:105], v[110:111]
	s_andn2_b64 exec, exec, s[8:9]
	s_cbranch_execnz .LBB15_25
; %bb.26:
	s_or_b64 exec, exec, s[8:9]
.LBB15_27:
	s_or_b64 exec, exec, s[2:3]
	v_and_b32_e32 v102, 7, v101
	v_cmp_ne_u32_e32 vcc, 0, v102
	s_and_saveexec_b64 s[8:9], vcc
	s_cbranch_execz .LBB15_31
; %bb.28:
	v_mov_b32_e32 v101, 0x80
	v_lshl_add_u32 v104, v100, 3, v101
	v_mov_b32_e32 v101, 0
	s_mov_b64 s[10:11], 0
.LBB15_29:                              ; =>This Inner Loop Header: Depth=1
	v_cmp_eq_u32_e32 vcc, 1, v100
	v_add_u32_e32 v102, -1, v102
	v_cmp_eq_u32_e64 s[2:3], 2, v100
	v_cndmask_b32_e32 v105, v35, v37, vcc
	v_cndmask_b32_e32 v108, v34, v36, vcc
	v_cndmask_b32_e64 v105, v105, v39, s[2:3]
	v_cmp_eq_u32_e32 vcc, 0, v102
	v_cmp_eq_u32_e64 s[4:5], 3, v100
	v_cndmask_b32_e64 v108, v108, v38, s[2:3]
	s_or_b64 s[10:11], vcc, s[10:11]
	v_cndmask_b32_e64 v105, v105, v41, s[4:5]
	v_cmp_eq_u32_e32 vcc, 4, v100
	v_cndmask_b32_e64 v108, v108, v40, s[4:5]
	v_cmp_eq_u32_e64 s[2:3], 5, v100
	v_cndmask_b32_e32 v105, v105, v43, vcc
	v_cndmask_b32_e32 v108, v108, v42, vcc
	v_cndmask_b32_e64 v105, v105, v45, s[2:3]
	v_cmp_eq_u32_e32 vcc, 6, v100
	v_cndmask_b32_e64 v108, v108, v44, s[2:3]
	v_cmp_eq_u32_e64 s[2:3], 7, v100
	v_cndmask_b32_e32 v105, v105, v47, vcc
	v_cndmask_b32_e32 v108, v108, v46, vcc
	;; [unrolled: 6-line block ×4, first 2 shown]
	v_cndmask_b32_e64 v105, v105, v57, s[2:3]
	v_cmp_eq_u32_e32 vcc, 12, v100
	ds_read_b64 v[106:107], v104
	v_cndmask_b32_e64 v108, v108, v56, s[2:3]
	v_cndmask_b32_e32 v105, v105, v59, vcc
	v_cmp_eq_u32_e64 s[2:3], 13, v100
	v_cndmask_b32_e32 v108, v108, v58, vcc
	v_cmp_eq_u32_e32 vcc, 14, v100
	v_cndmask_b32_e64 v105, v105, v61, s[2:3]
	v_cmp_eq_u32_e64 s[4:5], 15, v100
	v_cndmask_b32_e32 v105, v105, v63, vcc
	v_cndmask_b32_e64 v108, v108, v60, s[2:3]
	v_cndmask_b32_e64 v109, v105, v65, s[4:5]
	v_cndmask_b32_e32 v105, v108, v62, vcc
	v_cndmask_b32_e64 v108, v105, v64, s[4:5]
	v_add_u32_e32 v104, 8, v104
	v_lshl_add_u64 v[100:101], v[100:101], 0, 1
	s_waitcnt lgkmcnt(0)
	v_fmac_f64_e32 v[98:99], v[108:109], v[106:107]
	s_andn2_b64 exec, exec, s[10:11]
	s_cbranch_execnz .LBB15_29
; %bb.30:
	s_or_b64 exec, exec, s[10:11]
.LBB15_31:
	s_or_b64 exec, exec, s[8:9]
.LBB15_32:
	s_or_b64 exec, exec, s[6:7]
	v_mov_b32_e32 v58, 0
	ds_read_b64 v[58:59], v58 offset:96
	s_waitcnt lgkmcnt(0)
	v_mul_f64 v[58:59], v[98:99], v[58:59]
.LBB15_33:
	s_or_b64 exec, exec, s[36:37]
	v_cmp_lt_u32_e64 s[2:3], 11, v0
	ds_write_b64 v103, v[56:57]
	s_waitcnt lgkmcnt(0)
	; wave barrier
	s_and_saveexec_b64 s[36:37], s[2:3]
	s_cbranch_execz .LBB15_49
; %bb.34:
	s_andn2_b64 vcc, exec, s[34:35]
	s_cbranch_vccnz .LBB15_36
; %bb.35:
	v_cmp_eq_u32_e32 vcc, 1, v0
	v_cmp_eq_u32_e64 s[4:5], 2, v0
	v_cmp_eq_u32_e64 s[6:7], 3, v0
	v_cndmask_b32_e32 v98, v35, v37, vcc
	v_cndmask_b32_e64 v98, v98, v39, s[4:5]
	v_cndmask_b32_e64 v98, v98, v41, s[6:7]
	v_cmp_eq_u32_e64 s[8:9], 4, v0
	v_cmp_eq_u32_e64 s[10:11], 5, v0
	v_cmp_eq_u32_e64 s[12:13], 6, v0
	v_cndmask_b32_e64 v98, v98, v43, s[8:9]
	v_cndmask_b32_e64 v98, v98, v45, s[10:11]
	v_cndmask_b32_e64 v98, v98, v47, s[12:13]
	v_cmp_eq_u32_e64 s[14:15], 7, v0
	v_cmp_eq_u32_e64 s[16:17], 8, v0
	v_cmp_eq_u32_e64 s[18:19], 9, v0
	v_cndmask_b32_e64 v98, v98, v49, s[14:15]
	;; [unrolled: 6-line block ×4, first 2 shown]
	v_cndmask_b32_e64 v98, v98, v63, s[28:29]
	v_cndmask_b32_e64 v99, v98, v65, s[30:31]
	v_cndmask_b32_e32 v98, v34, v36, vcc
	v_cndmask_b32_e64 v98, v98, v38, s[4:5]
	v_cndmask_b32_e64 v98, v98, v40, s[6:7]
	;; [unrolled: 1-line block ×10, first 2 shown]
	ds_read_b64 v[100:101], v103
	v_cndmask_b32_e64 v98, v98, v58, s[24:25]
	v_cndmask_b32_e64 v98, v98, v60, s[26:27]
	;; [unrolled: 1-line block ×4, first 2 shown]
	s_waitcnt lgkmcnt(0)
	v_mul_f64 v[98:99], v[98:99], v[100:101]
	s_cbranch_execz .LBB15_37
	s_branch .LBB15_38
.LBB15_36:
                                        ; implicit-def: $vgpr98_vgpr99
.LBB15_37:
	ds_read_b64 v[98:99], v103
.LBB15_38:
	s_and_saveexec_b64 s[6:7], s[0:1]
	s_cbranch_execz .LBB15_48
; %bb.39:
	v_add_u32_e32 v100, -13, v0
	v_add_u32_e32 v101, -12, v0
	v_cmp_lt_u32_e32 vcc, 6, v100
	v_mov_b32_e32 v100, 12
	s_and_saveexec_b64 s[0:1], vcc
	s_cbranch_execz .LBB15_43
; %bb.40:
	v_and_b32_e32 v100, -8, v101
	v_sub_u32_e32 v102, 0, v100
	s_mov_b64 s[4:5], 19
	s_movk_i32 s10, 0xe0
	s_mov_b64 s[8:9], 0
.LBB15_41:                              ; =>This Inner Loop Header: Depth=1
	s_lshl_b32 s11, s4, 1
	s_add_i32 s12, s11, -13
	s_add_i32 s13, s11, -14
	s_set_gpr_idx_on s12, gpr_idx(SRC0)
	v_mov_b32_e32 v121, v34
	s_set_gpr_idx_off
	v_mov_b32_e32 v100, s10
	s_add_i32 s14, s11, -11
	s_set_gpr_idx_on s13, gpr_idx(SRC0)
	v_mov_b32_e32 v120, v34
	s_set_gpr_idx_off
	s_add_i32 s15, s11, -12
	ds_read_b128 v[104:107], v100
	ds_read_b128 v[108:111], v100 offset:16
	ds_read_b128 v[112:115], v100 offset:32
	;; [unrolled: 1-line block ×3, first 2 shown]
	s_set_gpr_idx_on s14, gpr_idx(SRC0)
	v_mov_b32_e32 v123, v34
	s_set_gpr_idx_off
	s_add_i32 s16, s11, -9
	s_set_gpr_idx_on s15, gpr_idx(SRC0)
	v_mov_b32_e32 v122, v34
	s_set_gpr_idx_off
	s_add_i32 s17, s11, -10
	s_set_gpr_idx_on s16, gpr_idx(SRC0)
	v_mov_b32_e32 v125, v34
	s_set_gpr_idx_off
	s_add_i32 s18, s11, -7
	s_set_gpr_idx_on s17, gpr_idx(SRC0)
	v_mov_b32_e32 v124, v34
	s_set_gpr_idx_off
	s_add_i32 s19, s11, -8
	s_waitcnt lgkmcnt(3)
	v_fmac_f64_e32 v[98:99], v[120:121], v[104:105]
	s_set_gpr_idx_on s18, gpr_idx(SRC0)
	v_mov_b32_e32 v105, v34
	s_set_gpr_idx_off
	s_add_i32 s20, s11, -5
	v_fmac_f64_e32 v[98:99], v[122:123], v[106:107]
	s_set_gpr_idx_on s19, gpr_idx(SRC0)
	v_mov_b32_e32 v104, v34
	s_set_gpr_idx_off
	s_add_i32 s21, s11, -6
	s_waitcnt lgkmcnt(2)
	v_fmac_f64_e32 v[98:99], v[124:125], v[108:109]
	s_set_gpr_idx_on s20, gpr_idx(SRC0)
	v_mov_b32_e32 v107, v34
	s_set_gpr_idx_off
	s_add_i32 s22, s11, -3
	v_fmac_f64_e32 v[98:99], v[104:105], v[110:111]
	s_set_gpr_idx_on s21, gpr_idx(SRC0)
	v_mov_b32_e32 v106, v34
	s_set_gpr_idx_off
	s_add_i32 s23, s11, -4
	s_waitcnt lgkmcnt(1)
	v_fmac_f64_e32 v[98:99], v[106:107], v[112:113]
	s_set_gpr_idx_on s22, gpr_idx(SRC0)
	v_mov_b32_e32 v105, v34
	s_set_gpr_idx_off
	s_add_i32 s24, s11, -1
	s_set_gpr_idx_on s23, gpr_idx(SRC0)
	v_mov_b32_e32 v104, v34
	s_set_gpr_idx_off
	s_add_i32 s25, s11, -2
	v_fmac_f64_e32 v[98:99], v[104:105], v[114:115]
	s_set_gpr_idx_on s24, gpr_idx(SRC0)
	v_mov_b32_e32 v105, v34
	s_set_gpr_idx_off
	s_add_u32 s4, s4, 8
	s_set_gpr_idx_on s25, gpr_idx(SRC0)
	v_mov_b32_e32 v104, v34
	s_set_gpr_idx_off
	v_add_u32_e32 v100, s4, v102
	s_waitcnt lgkmcnt(0)
	v_fmac_f64_e32 v[98:99], v[104:105], v[116:117]
	s_set_gpr_idx_on s11, gpr_idx(SRC0)
	v_mov_b32_e32 v105, v35
	s_set_gpr_idx_off
	s_addc_u32 s5, s5, 0
	s_add_i32 s10, s10, 64
	s_add_i32 s12, s4, -7
	v_cmp_eq_u32_e32 vcc, 19, v100
	s_set_gpr_idx_on s11, gpr_idx(SRC0)
	v_mov_b32_e32 v104, v34
	s_set_gpr_idx_off
	v_mov_b32_e32 v100, s12
	s_or_b64 s[8:9], vcc, s[8:9]
	v_fmac_f64_e32 v[98:99], v[104:105], v[118:119]
	s_andn2_b64 exec, exec, s[8:9]
	s_cbranch_execnz .LBB15_41
; %bb.42:
	s_or_b64 exec, exec, s[8:9]
.LBB15_43:
	s_or_b64 exec, exec, s[0:1]
	v_and_b32_e32 v102, 7, v101
	v_cmp_ne_u32_e32 vcc, 0, v102
	s_and_saveexec_b64 s[8:9], vcc
	s_cbranch_execz .LBB15_47
; %bb.44:
	v_mov_b32_e32 v101, 0x80
	v_lshl_add_u32 v104, v100, 3, v101
	v_mov_b32_e32 v101, 0
	s_mov_b64 s[10:11], 0
.LBB15_45:                              ; =>This Inner Loop Header: Depth=1
	v_cmp_eq_u32_e32 vcc, 1, v100
	v_add_u32_e32 v102, -1, v102
	v_cmp_eq_u32_e64 s[0:1], 2, v100
	v_cndmask_b32_e32 v105, v35, v37, vcc
	v_cndmask_b32_e32 v108, v34, v36, vcc
	v_cndmask_b32_e64 v105, v105, v39, s[0:1]
	v_cmp_eq_u32_e32 vcc, 0, v102
	v_cmp_eq_u32_e64 s[4:5], 3, v100
	v_cndmask_b32_e64 v108, v108, v38, s[0:1]
	s_or_b64 s[10:11], vcc, s[10:11]
	v_cndmask_b32_e64 v105, v105, v41, s[4:5]
	v_cmp_eq_u32_e32 vcc, 4, v100
	v_cndmask_b32_e64 v108, v108, v40, s[4:5]
	v_cmp_eq_u32_e64 s[0:1], 5, v100
	v_cndmask_b32_e32 v105, v105, v43, vcc
	v_cndmask_b32_e32 v108, v108, v42, vcc
	v_cndmask_b32_e64 v105, v105, v45, s[0:1]
	v_cmp_eq_u32_e32 vcc, 6, v100
	v_cndmask_b32_e64 v108, v108, v44, s[0:1]
	v_cmp_eq_u32_e64 s[0:1], 7, v100
	v_cndmask_b32_e32 v105, v105, v47, vcc
	v_cndmask_b32_e32 v108, v108, v46, vcc
	;; [unrolled: 6-line block ×4, first 2 shown]
	v_cndmask_b32_e64 v105, v105, v57, s[0:1]
	v_cmp_eq_u32_e32 vcc, 12, v100
	ds_read_b64 v[106:107], v104
	v_cndmask_b32_e64 v108, v108, v56, s[0:1]
	v_cndmask_b32_e32 v105, v105, v59, vcc
	v_cmp_eq_u32_e64 s[0:1], 13, v100
	v_cndmask_b32_e32 v108, v108, v58, vcc
	v_cmp_eq_u32_e32 vcc, 14, v100
	v_cndmask_b32_e64 v105, v105, v61, s[0:1]
	v_cmp_eq_u32_e64 s[4:5], 15, v100
	v_cndmask_b32_e32 v105, v105, v63, vcc
	v_cndmask_b32_e64 v108, v108, v60, s[0:1]
	v_cndmask_b32_e64 v109, v105, v65, s[4:5]
	v_cndmask_b32_e32 v105, v108, v62, vcc
	v_cndmask_b32_e64 v108, v105, v64, s[4:5]
	v_add_u32_e32 v104, 8, v104
	v_lshl_add_u64 v[100:101], v[100:101], 0, 1
	s_waitcnt lgkmcnt(0)
	v_fmac_f64_e32 v[98:99], v[108:109], v[106:107]
	s_andn2_b64 exec, exec, s[10:11]
	s_cbranch_execnz .LBB15_45
; %bb.46:
	s_or_b64 exec, exec, s[10:11]
.LBB15_47:
	s_or_b64 exec, exec, s[8:9]
.LBB15_48:
	s_or_b64 exec, exec, s[6:7]
	v_mov_b32_e32 v56, 0
	ds_read_b64 v[56:57], v56 offset:88
	s_waitcnt lgkmcnt(0)
	v_mul_f64 v[56:57], v[98:99], v[56:57]
.LBB15_49:
	s_or_b64 exec, exec, s[36:37]
	v_cmp_lt_u32_e64 s[0:1], 10, v0
	ds_write_b64 v103, v[54:55]
	s_waitcnt lgkmcnt(0)
	; wave barrier
	s_and_saveexec_b64 s[36:37], s[0:1]
	s_cbranch_execz .LBB15_65
; %bb.50:
	s_andn2_b64 vcc, exec, s[34:35]
	s_cbranch_vccnz .LBB15_52
; %bb.51:
	v_cmp_eq_u32_e32 vcc, 1, v0
	v_cmp_eq_u32_e64 s[4:5], 2, v0
	v_cmp_eq_u32_e64 s[6:7], 3, v0
	v_cndmask_b32_e32 v98, v35, v37, vcc
	v_cndmask_b32_e64 v98, v98, v39, s[4:5]
	v_cndmask_b32_e64 v98, v98, v41, s[6:7]
	v_cmp_eq_u32_e64 s[8:9], 4, v0
	v_cmp_eq_u32_e64 s[10:11], 5, v0
	v_cmp_eq_u32_e64 s[12:13], 6, v0
	v_cndmask_b32_e64 v98, v98, v43, s[8:9]
	v_cndmask_b32_e64 v98, v98, v45, s[10:11]
	v_cndmask_b32_e64 v98, v98, v47, s[12:13]
	v_cmp_eq_u32_e64 s[14:15], 7, v0
	v_cmp_eq_u32_e64 s[16:17], 8, v0
	v_cmp_eq_u32_e64 s[18:19], 9, v0
	v_cndmask_b32_e64 v98, v98, v49, s[14:15]
	;; [unrolled: 6-line block ×4, first 2 shown]
	v_cndmask_b32_e64 v98, v98, v63, s[28:29]
	v_cndmask_b32_e64 v99, v98, v65, s[30:31]
	v_cndmask_b32_e32 v98, v34, v36, vcc
	v_cndmask_b32_e64 v98, v98, v38, s[4:5]
	v_cndmask_b32_e64 v98, v98, v40, s[6:7]
	;; [unrolled: 1-line block ×10, first 2 shown]
	ds_read_b64 v[100:101], v103
	v_cndmask_b32_e64 v98, v98, v58, s[24:25]
	v_cndmask_b32_e64 v98, v98, v60, s[26:27]
	;; [unrolled: 1-line block ×4, first 2 shown]
	s_waitcnt lgkmcnt(0)
	v_mul_f64 v[98:99], v[98:99], v[100:101]
	s_cbranch_execz .LBB15_53
	s_branch .LBB15_54
.LBB15_52:
                                        ; implicit-def: $vgpr98_vgpr99
.LBB15_53:
	ds_read_b64 v[98:99], v103
.LBB15_54:
	s_and_saveexec_b64 s[6:7], s[2:3]
	s_cbranch_execz .LBB15_64
; %bb.55:
	v_add_u32_e32 v100, -12, v0
	v_add_u32_e32 v101, -11, v0
	v_cmp_lt_u32_e32 vcc, 6, v100
	v_mov_b32_e32 v100, 11
	s_and_saveexec_b64 s[2:3], vcc
	s_cbranch_execz .LBB15_59
; %bb.56:
	v_and_b32_e32 v100, -8, v101
	v_sub_u32_e32 v102, 0, v100
	s_mov_b64 s[4:5], 18
	s_movk_i32 s10, 0xd8
	s_mov_b64 s[8:9], 0
.LBB15_57:                              ; =>This Inner Loop Header: Depth=1
	s_lshl_b32 s11, s4, 1
	s_add_i32 s12, s11, -13
	v_mov_b32_e32 v118, s10
	s_add_i32 s13, s11, -14
	s_set_gpr_idx_on s12, gpr_idx(SRC0)
	v_mov_b32_e32 v113, v34
	s_set_gpr_idx_off
	s_add_i32 s14, s11, -11
	s_set_gpr_idx_on s13, gpr_idx(SRC0)
	v_mov_b32_e32 v112, v34
	s_set_gpr_idx_off
	ds_read2_b64 v[104:107], v118 offset1:1
	s_add_i32 s15, s11, -12
	s_set_gpr_idx_on s14, gpr_idx(SRC0)
	v_mov_b32_e32 v115, v34
	s_set_gpr_idx_off
	s_add_i32 s16, s11, -9
	s_set_gpr_idx_on s15, gpr_idx(SRC0)
	v_mov_b32_e32 v114, v34
	s_set_gpr_idx_off
	s_add_i32 s17, s11, -10
	s_set_gpr_idx_on s16, gpr_idx(SRC0)
	v_mov_b32_e32 v117, v34
	s_set_gpr_idx_off
	s_add_i32 s18, s11, -7
	s_set_gpr_idx_on s17, gpr_idx(SRC0)
	v_mov_b32_e32 v116, v34
	s_set_gpr_idx_off
	ds_read2_b64 v[108:111], v118 offset0:2 offset1:3
	s_add_i32 s19, s11, -8
	s_waitcnt lgkmcnt(1)
	v_fmac_f64_e32 v[98:99], v[112:113], v[104:105]
	s_set_gpr_idx_on s18, gpr_idx(SRC0)
	v_mov_b32_e32 v113, v34
	s_set_gpr_idx_off
	s_add_i32 s20, s11, -5
	v_fmac_f64_e32 v[98:99], v[114:115], v[106:107]
	s_set_gpr_idx_on s19, gpr_idx(SRC0)
	v_mov_b32_e32 v112, v34
	s_set_gpr_idx_off
	s_add_i32 s21, s11, -6
	s_set_gpr_idx_on s20, gpr_idx(SRC0)
	v_mov_b32_e32 v115, v34
	s_set_gpr_idx_off
	s_add_i32 s22, s11, -3
	;; [unrolled: 4-line block ×3, first 2 shown]
	ds_read2_b64 v[104:107], v118 offset0:4 offset1:5
	s_waitcnt lgkmcnt(1)
	v_fmac_f64_e32 v[98:99], v[116:117], v[108:109]
	s_set_gpr_idx_on s22, gpr_idx(SRC0)
	v_mov_b32_e32 v117, v34
	s_set_gpr_idx_off
	s_add_i32 s24, s11, -1
	v_fmac_f64_e32 v[98:99], v[112:113], v[110:111]
	s_set_gpr_idx_on s23, gpr_idx(SRC0)
	v_mov_b32_e32 v116, v34
	s_set_gpr_idx_off
	s_add_i32 s25, s11, -2
	s_set_gpr_idx_on s24, gpr_idx(SRC0)
	v_mov_b32_e32 v113, v34
	s_set_gpr_idx_off
	s_set_gpr_idx_on s25, gpr_idx(SRC0)
	v_mov_b32_e32 v112, v34
	s_set_gpr_idx_off
	ds_read2_b64 v[108:111], v118 offset0:6 offset1:7
	s_add_u32 s4, s4, 8
	s_waitcnt lgkmcnt(1)
	v_fmac_f64_e32 v[98:99], v[114:115], v[104:105]
	s_set_gpr_idx_on s11, gpr_idx(SRC0)
	v_mov_b32_e32 v105, v35
	s_set_gpr_idx_off
	v_add_u32_e32 v100, s4, v102
	v_fmac_f64_e32 v[98:99], v[116:117], v[106:107]
	s_set_gpr_idx_on s11, gpr_idx(SRC0)
	v_mov_b32_e32 v104, v34
	s_set_gpr_idx_off
	s_addc_u32 s5, s5, 0
	s_add_i32 s10, s10, 64
	s_add_i32 s12, s4, -7
	v_cmp_eq_u32_e32 vcc, 18, v100
	s_waitcnt lgkmcnt(0)
	v_fmac_f64_e32 v[98:99], v[112:113], v[108:109]
	v_mov_b32_e32 v100, s12
	s_or_b64 s[8:9], vcc, s[8:9]
	v_fmac_f64_e32 v[98:99], v[104:105], v[110:111]
	s_andn2_b64 exec, exec, s[8:9]
	s_cbranch_execnz .LBB15_57
; %bb.58:
	s_or_b64 exec, exec, s[8:9]
.LBB15_59:
	s_or_b64 exec, exec, s[2:3]
	v_and_b32_e32 v102, 7, v101
	v_cmp_ne_u32_e32 vcc, 0, v102
	s_and_saveexec_b64 s[8:9], vcc
	s_cbranch_execz .LBB15_63
; %bb.60:
	v_mov_b32_e32 v101, 0x80
	v_lshl_add_u32 v104, v100, 3, v101
	v_mov_b32_e32 v101, 0
	s_mov_b64 s[10:11], 0
.LBB15_61:                              ; =>This Inner Loop Header: Depth=1
	v_cmp_eq_u32_e32 vcc, 1, v100
	v_add_u32_e32 v102, -1, v102
	v_cmp_eq_u32_e64 s[2:3], 2, v100
	v_cndmask_b32_e32 v105, v35, v37, vcc
	v_cndmask_b32_e32 v108, v34, v36, vcc
	v_cndmask_b32_e64 v105, v105, v39, s[2:3]
	v_cmp_eq_u32_e32 vcc, 0, v102
	v_cmp_eq_u32_e64 s[4:5], 3, v100
	v_cndmask_b32_e64 v108, v108, v38, s[2:3]
	s_or_b64 s[10:11], vcc, s[10:11]
	v_cndmask_b32_e64 v105, v105, v41, s[4:5]
	v_cmp_eq_u32_e32 vcc, 4, v100
	v_cndmask_b32_e64 v108, v108, v40, s[4:5]
	v_cmp_eq_u32_e64 s[2:3], 5, v100
	v_cndmask_b32_e32 v105, v105, v43, vcc
	v_cndmask_b32_e32 v108, v108, v42, vcc
	v_cndmask_b32_e64 v105, v105, v45, s[2:3]
	v_cmp_eq_u32_e32 vcc, 6, v100
	v_cndmask_b32_e64 v108, v108, v44, s[2:3]
	v_cmp_eq_u32_e64 s[2:3], 7, v100
	v_cndmask_b32_e32 v105, v105, v47, vcc
	v_cndmask_b32_e32 v108, v108, v46, vcc
	;; [unrolled: 6-line block ×4, first 2 shown]
	v_cndmask_b32_e64 v105, v105, v57, s[2:3]
	v_cmp_eq_u32_e32 vcc, 12, v100
	ds_read_b64 v[106:107], v104
	v_cndmask_b32_e64 v108, v108, v56, s[2:3]
	v_cndmask_b32_e32 v105, v105, v59, vcc
	v_cmp_eq_u32_e64 s[2:3], 13, v100
	v_cndmask_b32_e32 v108, v108, v58, vcc
	v_cmp_eq_u32_e32 vcc, 14, v100
	v_cndmask_b32_e64 v105, v105, v61, s[2:3]
	v_cmp_eq_u32_e64 s[4:5], 15, v100
	v_cndmask_b32_e32 v105, v105, v63, vcc
	v_cndmask_b32_e64 v108, v108, v60, s[2:3]
	v_cndmask_b32_e64 v109, v105, v65, s[4:5]
	v_cndmask_b32_e32 v105, v108, v62, vcc
	v_cndmask_b32_e64 v108, v105, v64, s[4:5]
	v_add_u32_e32 v104, 8, v104
	v_lshl_add_u64 v[100:101], v[100:101], 0, 1
	s_waitcnt lgkmcnt(0)
	v_fmac_f64_e32 v[98:99], v[108:109], v[106:107]
	s_andn2_b64 exec, exec, s[10:11]
	s_cbranch_execnz .LBB15_61
; %bb.62:
	s_or_b64 exec, exec, s[10:11]
.LBB15_63:
	s_or_b64 exec, exec, s[8:9]
.LBB15_64:
	s_or_b64 exec, exec, s[6:7]
	v_mov_b32_e32 v54, 0
	ds_read_b64 v[54:55], v54 offset:80
	s_waitcnt lgkmcnt(0)
	v_mul_f64 v[54:55], v[98:99], v[54:55]
.LBB15_65:
	s_or_b64 exec, exec, s[36:37]
	v_cmp_lt_u32_e64 s[2:3], 9, v0
	ds_write_b64 v103, v[52:53]
	s_waitcnt lgkmcnt(0)
	; wave barrier
	s_and_saveexec_b64 s[36:37], s[2:3]
	s_cbranch_execz .LBB15_81
; %bb.66:
	s_andn2_b64 vcc, exec, s[34:35]
	s_cbranch_vccnz .LBB15_68
; %bb.67:
	v_cmp_eq_u32_e32 vcc, 1, v0
	v_cmp_eq_u32_e64 s[4:5], 2, v0
	v_cmp_eq_u32_e64 s[6:7], 3, v0
	v_cndmask_b32_e32 v98, v35, v37, vcc
	v_cndmask_b32_e64 v98, v98, v39, s[4:5]
	v_cndmask_b32_e64 v98, v98, v41, s[6:7]
	v_cmp_eq_u32_e64 s[8:9], 4, v0
	v_cmp_eq_u32_e64 s[10:11], 5, v0
	v_cmp_eq_u32_e64 s[12:13], 6, v0
	v_cndmask_b32_e64 v98, v98, v43, s[8:9]
	v_cndmask_b32_e64 v98, v98, v45, s[10:11]
	v_cndmask_b32_e64 v98, v98, v47, s[12:13]
	v_cmp_eq_u32_e64 s[14:15], 7, v0
	v_cmp_eq_u32_e64 s[16:17], 8, v0
	v_cmp_eq_u32_e64 s[18:19], 9, v0
	v_cndmask_b32_e64 v98, v98, v49, s[14:15]
	;; [unrolled: 6-line block ×4, first 2 shown]
	v_cndmask_b32_e64 v98, v98, v63, s[28:29]
	v_cndmask_b32_e64 v99, v98, v65, s[30:31]
	v_cndmask_b32_e32 v98, v34, v36, vcc
	v_cndmask_b32_e64 v98, v98, v38, s[4:5]
	v_cndmask_b32_e64 v98, v98, v40, s[6:7]
	;; [unrolled: 1-line block ×10, first 2 shown]
	ds_read_b64 v[100:101], v103
	v_cndmask_b32_e64 v98, v98, v58, s[24:25]
	v_cndmask_b32_e64 v98, v98, v60, s[26:27]
	;; [unrolled: 1-line block ×4, first 2 shown]
	s_waitcnt lgkmcnt(0)
	v_mul_f64 v[98:99], v[98:99], v[100:101]
	s_cbranch_execz .LBB15_69
	s_branch .LBB15_70
.LBB15_68:
                                        ; implicit-def: $vgpr98_vgpr99
.LBB15_69:
	ds_read_b64 v[98:99], v103
.LBB15_70:
	s_and_saveexec_b64 s[6:7], s[0:1]
	s_cbranch_execz .LBB15_80
; %bb.71:
	v_add_u32_e32 v100, -11, v0
	v_add_u32_e32 v101, -10, v0
	v_cmp_lt_u32_e32 vcc, 6, v100
	v_mov_b32_e32 v100, 10
	s_and_saveexec_b64 s[0:1], vcc
	s_cbranch_execz .LBB15_75
; %bb.72:
	v_and_b32_e32 v100, -8, v101
	v_sub_u32_e32 v102, 0, v100
	s_mov_b64 s[4:5], 17
	s_movk_i32 s10, 0xd0
	s_mov_b64 s[8:9], 0
.LBB15_73:                              ; =>This Inner Loop Header: Depth=1
	s_lshl_b32 s11, s4, 1
	s_add_i32 s12, s11, -13
	s_add_i32 s13, s11, -14
	s_set_gpr_idx_on s12, gpr_idx(SRC0)
	v_mov_b32_e32 v121, v34
	s_set_gpr_idx_off
	v_mov_b32_e32 v100, s10
	s_add_i32 s14, s11, -11
	s_set_gpr_idx_on s13, gpr_idx(SRC0)
	v_mov_b32_e32 v120, v34
	s_set_gpr_idx_off
	s_add_i32 s15, s11, -12
	ds_read_b128 v[104:107], v100
	ds_read_b128 v[108:111], v100 offset:16
	ds_read_b128 v[112:115], v100 offset:32
	;; [unrolled: 1-line block ×3, first 2 shown]
	s_set_gpr_idx_on s14, gpr_idx(SRC0)
	v_mov_b32_e32 v123, v34
	s_set_gpr_idx_off
	s_add_i32 s16, s11, -9
	s_set_gpr_idx_on s15, gpr_idx(SRC0)
	v_mov_b32_e32 v122, v34
	s_set_gpr_idx_off
	s_add_i32 s17, s11, -10
	;; [unrolled: 4-line block ×4, first 2 shown]
	s_waitcnt lgkmcnt(3)
	v_fmac_f64_e32 v[98:99], v[120:121], v[104:105]
	s_set_gpr_idx_on s18, gpr_idx(SRC0)
	v_mov_b32_e32 v105, v34
	s_set_gpr_idx_off
	s_add_i32 s20, s11, -5
	v_fmac_f64_e32 v[98:99], v[122:123], v[106:107]
	s_set_gpr_idx_on s19, gpr_idx(SRC0)
	v_mov_b32_e32 v104, v34
	s_set_gpr_idx_off
	s_add_i32 s21, s11, -6
	s_waitcnt lgkmcnt(2)
	v_fmac_f64_e32 v[98:99], v[124:125], v[108:109]
	s_set_gpr_idx_on s20, gpr_idx(SRC0)
	v_mov_b32_e32 v107, v34
	s_set_gpr_idx_off
	s_add_i32 s22, s11, -3
	v_fmac_f64_e32 v[98:99], v[104:105], v[110:111]
	s_set_gpr_idx_on s21, gpr_idx(SRC0)
	v_mov_b32_e32 v106, v34
	s_set_gpr_idx_off
	s_add_i32 s23, s11, -4
	s_waitcnt lgkmcnt(1)
	v_fmac_f64_e32 v[98:99], v[106:107], v[112:113]
	s_set_gpr_idx_on s22, gpr_idx(SRC0)
	v_mov_b32_e32 v105, v34
	s_set_gpr_idx_off
	s_add_i32 s24, s11, -1
	s_set_gpr_idx_on s23, gpr_idx(SRC0)
	v_mov_b32_e32 v104, v34
	s_set_gpr_idx_off
	s_add_i32 s25, s11, -2
	v_fmac_f64_e32 v[98:99], v[104:105], v[114:115]
	s_set_gpr_idx_on s24, gpr_idx(SRC0)
	v_mov_b32_e32 v105, v34
	s_set_gpr_idx_off
	s_add_u32 s4, s4, 8
	s_set_gpr_idx_on s25, gpr_idx(SRC0)
	v_mov_b32_e32 v104, v34
	s_set_gpr_idx_off
	v_add_u32_e32 v100, s4, v102
	s_waitcnt lgkmcnt(0)
	v_fmac_f64_e32 v[98:99], v[104:105], v[116:117]
	s_set_gpr_idx_on s11, gpr_idx(SRC0)
	v_mov_b32_e32 v105, v35
	s_set_gpr_idx_off
	s_addc_u32 s5, s5, 0
	s_add_i32 s10, s10, 64
	s_add_i32 s12, s4, -7
	v_cmp_eq_u32_e32 vcc, 17, v100
	s_set_gpr_idx_on s11, gpr_idx(SRC0)
	v_mov_b32_e32 v104, v34
	s_set_gpr_idx_off
	v_mov_b32_e32 v100, s12
	s_or_b64 s[8:9], vcc, s[8:9]
	v_fmac_f64_e32 v[98:99], v[104:105], v[118:119]
	s_andn2_b64 exec, exec, s[8:9]
	s_cbranch_execnz .LBB15_73
; %bb.74:
	s_or_b64 exec, exec, s[8:9]
.LBB15_75:
	s_or_b64 exec, exec, s[0:1]
	v_and_b32_e32 v102, 7, v101
	v_cmp_ne_u32_e32 vcc, 0, v102
	s_and_saveexec_b64 s[8:9], vcc
	s_cbranch_execz .LBB15_79
; %bb.76:
	v_mov_b32_e32 v101, 0x80
	v_lshl_add_u32 v104, v100, 3, v101
	v_mov_b32_e32 v101, 0
	s_mov_b64 s[10:11], 0
.LBB15_77:                              ; =>This Inner Loop Header: Depth=1
	v_cmp_eq_u32_e32 vcc, 1, v100
	v_add_u32_e32 v102, -1, v102
	v_cmp_eq_u32_e64 s[0:1], 2, v100
	v_cndmask_b32_e32 v105, v35, v37, vcc
	v_cndmask_b32_e32 v108, v34, v36, vcc
	v_cndmask_b32_e64 v105, v105, v39, s[0:1]
	v_cmp_eq_u32_e32 vcc, 0, v102
	v_cmp_eq_u32_e64 s[4:5], 3, v100
	v_cndmask_b32_e64 v108, v108, v38, s[0:1]
	s_or_b64 s[10:11], vcc, s[10:11]
	v_cndmask_b32_e64 v105, v105, v41, s[4:5]
	v_cmp_eq_u32_e32 vcc, 4, v100
	v_cndmask_b32_e64 v108, v108, v40, s[4:5]
	v_cmp_eq_u32_e64 s[0:1], 5, v100
	v_cndmask_b32_e32 v105, v105, v43, vcc
	v_cndmask_b32_e32 v108, v108, v42, vcc
	v_cndmask_b32_e64 v105, v105, v45, s[0:1]
	v_cmp_eq_u32_e32 vcc, 6, v100
	v_cndmask_b32_e64 v108, v108, v44, s[0:1]
	v_cmp_eq_u32_e64 s[0:1], 7, v100
	v_cndmask_b32_e32 v105, v105, v47, vcc
	v_cndmask_b32_e32 v108, v108, v46, vcc
	v_cndmask_b32_e64 v105, v105, v49, s[0:1]
	v_cmp_eq_u32_e32 vcc, 8, v100
	v_cndmask_b32_e64 v108, v108, v48, s[0:1]
	v_cmp_eq_u32_e64 s[0:1], 9, v100
	v_cndmask_b32_e32 v105, v105, v51, vcc
	v_cndmask_b32_e32 v108, v108, v50, vcc
	v_cndmask_b32_e64 v105, v105, v53, s[0:1]
	v_cmp_eq_u32_e32 vcc, 10, v100
	v_cndmask_b32_e64 v108, v108, v52, s[0:1]
	v_cmp_eq_u32_e64 s[0:1], 11, v100
	v_cndmask_b32_e32 v105, v105, v55, vcc
	v_cndmask_b32_e32 v108, v108, v54, vcc
	v_cndmask_b32_e64 v105, v105, v57, s[0:1]
	v_cmp_eq_u32_e32 vcc, 12, v100
	ds_read_b64 v[106:107], v104
	v_cndmask_b32_e64 v108, v108, v56, s[0:1]
	v_cndmask_b32_e32 v105, v105, v59, vcc
	v_cmp_eq_u32_e64 s[0:1], 13, v100
	v_cndmask_b32_e32 v108, v108, v58, vcc
	v_cmp_eq_u32_e32 vcc, 14, v100
	v_cndmask_b32_e64 v105, v105, v61, s[0:1]
	v_cmp_eq_u32_e64 s[4:5], 15, v100
	v_cndmask_b32_e32 v105, v105, v63, vcc
	v_cndmask_b32_e64 v108, v108, v60, s[0:1]
	v_cndmask_b32_e64 v109, v105, v65, s[4:5]
	v_cndmask_b32_e32 v105, v108, v62, vcc
	v_cndmask_b32_e64 v108, v105, v64, s[4:5]
	v_add_u32_e32 v104, 8, v104
	v_lshl_add_u64 v[100:101], v[100:101], 0, 1
	s_waitcnt lgkmcnt(0)
	v_fmac_f64_e32 v[98:99], v[108:109], v[106:107]
	s_andn2_b64 exec, exec, s[10:11]
	s_cbranch_execnz .LBB15_77
; %bb.78:
	s_or_b64 exec, exec, s[10:11]
.LBB15_79:
	s_or_b64 exec, exec, s[8:9]
.LBB15_80:
	s_or_b64 exec, exec, s[6:7]
	v_mov_b32_e32 v52, 0
	ds_read_b64 v[52:53], v52 offset:72
	s_waitcnt lgkmcnt(0)
	v_mul_f64 v[52:53], v[98:99], v[52:53]
.LBB15_81:
	s_or_b64 exec, exec, s[36:37]
	v_cmp_lt_u32_e64 s[0:1], 8, v0
	ds_write_b64 v103, v[50:51]
	s_waitcnt lgkmcnt(0)
	; wave barrier
	s_and_saveexec_b64 s[36:37], s[0:1]
	s_cbranch_execz .LBB15_97
; %bb.82:
	s_andn2_b64 vcc, exec, s[34:35]
	s_cbranch_vccnz .LBB15_84
; %bb.83:
	v_cmp_eq_u32_e32 vcc, 1, v0
	v_cmp_eq_u32_e64 s[4:5], 2, v0
	v_cmp_eq_u32_e64 s[6:7], 3, v0
	v_cndmask_b32_e32 v98, v35, v37, vcc
	v_cndmask_b32_e64 v98, v98, v39, s[4:5]
	v_cndmask_b32_e64 v98, v98, v41, s[6:7]
	v_cmp_eq_u32_e64 s[8:9], 4, v0
	v_cmp_eq_u32_e64 s[10:11], 5, v0
	v_cmp_eq_u32_e64 s[12:13], 6, v0
	v_cndmask_b32_e64 v98, v98, v43, s[8:9]
	v_cndmask_b32_e64 v98, v98, v45, s[10:11]
	v_cndmask_b32_e64 v98, v98, v47, s[12:13]
	v_cmp_eq_u32_e64 s[14:15], 7, v0
	v_cmp_eq_u32_e64 s[16:17], 8, v0
	v_cmp_eq_u32_e64 s[18:19], 9, v0
	v_cndmask_b32_e64 v98, v98, v49, s[14:15]
	;; [unrolled: 6-line block ×4, first 2 shown]
	v_cndmask_b32_e64 v98, v98, v63, s[28:29]
	v_cndmask_b32_e64 v99, v98, v65, s[30:31]
	v_cndmask_b32_e32 v98, v34, v36, vcc
	v_cndmask_b32_e64 v98, v98, v38, s[4:5]
	v_cndmask_b32_e64 v98, v98, v40, s[6:7]
	;; [unrolled: 1-line block ×10, first 2 shown]
	ds_read_b64 v[100:101], v103
	v_cndmask_b32_e64 v98, v98, v58, s[24:25]
	v_cndmask_b32_e64 v98, v98, v60, s[26:27]
	;; [unrolled: 1-line block ×4, first 2 shown]
	s_waitcnt lgkmcnt(0)
	v_mul_f64 v[98:99], v[98:99], v[100:101]
	s_cbranch_execz .LBB15_85
	s_branch .LBB15_86
.LBB15_84:
                                        ; implicit-def: $vgpr98_vgpr99
.LBB15_85:
	ds_read_b64 v[98:99], v103
.LBB15_86:
	s_and_saveexec_b64 s[6:7], s[2:3]
	s_cbranch_execz .LBB15_96
; %bb.87:
	v_add_u32_e32 v100, -10, v0
	v_add_u32_e32 v101, -9, v0
	v_cmp_lt_u32_e32 vcc, 6, v100
	v_mov_b32_e32 v100, 9
	s_and_saveexec_b64 s[2:3], vcc
	s_cbranch_execz .LBB15_91
; %bb.88:
	v_and_b32_e32 v100, -8, v101
	v_sub_u32_e32 v102, 0, v100
	s_mov_b64 s[4:5], 16
	s_movk_i32 s10, 0xc8
	s_mov_b64 s[8:9], 0
.LBB15_89:                              ; =>This Inner Loop Header: Depth=1
	s_lshl_b32 s11, s4, 1
	s_add_i32 s12, s11, -13
	v_mov_b32_e32 v118, s10
	s_add_i32 s13, s11, -14
	s_set_gpr_idx_on s12, gpr_idx(SRC0)
	v_mov_b32_e32 v113, v34
	s_set_gpr_idx_off
	s_add_i32 s14, s11, -11
	s_set_gpr_idx_on s13, gpr_idx(SRC0)
	v_mov_b32_e32 v112, v34
	s_set_gpr_idx_off
	ds_read2_b64 v[104:107], v118 offset1:1
	s_add_i32 s15, s11, -12
	s_set_gpr_idx_on s14, gpr_idx(SRC0)
	v_mov_b32_e32 v115, v34
	s_set_gpr_idx_off
	s_add_i32 s16, s11, -9
	s_set_gpr_idx_on s15, gpr_idx(SRC0)
	v_mov_b32_e32 v114, v34
	s_set_gpr_idx_off
	;; [unrolled: 4-line block ×4, first 2 shown]
	ds_read2_b64 v[108:111], v118 offset0:2 offset1:3
	s_add_i32 s19, s11, -8
	s_waitcnt lgkmcnt(1)
	v_fmac_f64_e32 v[98:99], v[112:113], v[104:105]
	s_set_gpr_idx_on s18, gpr_idx(SRC0)
	v_mov_b32_e32 v113, v34
	s_set_gpr_idx_off
	s_add_i32 s20, s11, -5
	v_fmac_f64_e32 v[98:99], v[114:115], v[106:107]
	s_set_gpr_idx_on s19, gpr_idx(SRC0)
	v_mov_b32_e32 v112, v34
	s_set_gpr_idx_off
	s_add_i32 s21, s11, -6
	s_set_gpr_idx_on s20, gpr_idx(SRC0)
	v_mov_b32_e32 v115, v34
	s_set_gpr_idx_off
	s_add_i32 s22, s11, -3
	;; [unrolled: 4-line block ×3, first 2 shown]
	ds_read2_b64 v[104:107], v118 offset0:4 offset1:5
	s_waitcnt lgkmcnt(1)
	v_fmac_f64_e32 v[98:99], v[116:117], v[108:109]
	s_set_gpr_idx_on s22, gpr_idx(SRC0)
	v_mov_b32_e32 v117, v34
	s_set_gpr_idx_off
	s_add_i32 s24, s11, -1
	v_fmac_f64_e32 v[98:99], v[112:113], v[110:111]
	s_set_gpr_idx_on s23, gpr_idx(SRC0)
	v_mov_b32_e32 v116, v34
	s_set_gpr_idx_off
	s_add_i32 s25, s11, -2
	s_set_gpr_idx_on s24, gpr_idx(SRC0)
	v_mov_b32_e32 v113, v34
	s_set_gpr_idx_off
	s_set_gpr_idx_on s25, gpr_idx(SRC0)
	v_mov_b32_e32 v112, v34
	s_set_gpr_idx_off
	ds_read2_b64 v[108:111], v118 offset0:6 offset1:7
	s_add_u32 s4, s4, 8
	s_waitcnt lgkmcnt(1)
	v_fmac_f64_e32 v[98:99], v[114:115], v[104:105]
	s_set_gpr_idx_on s11, gpr_idx(SRC0)
	v_mov_b32_e32 v105, v35
	s_set_gpr_idx_off
	v_add_u32_e32 v100, s4, v102
	v_fmac_f64_e32 v[98:99], v[116:117], v[106:107]
	s_set_gpr_idx_on s11, gpr_idx(SRC0)
	v_mov_b32_e32 v104, v34
	s_set_gpr_idx_off
	s_addc_u32 s5, s5, 0
	s_add_i32 s10, s10, 64
	s_add_i32 s12, s4, -7
	v_cmp_eq_u32_e32 vcc, 16, v100
	s_waitcnt lgkmcnt(0)
	v_fmac_f64_e32 v[98:99], v[112:113], v[108:109]
	v_mov_b32_e32 v100, s12
	s_or_b64 s[8:9], vcc, s[8:9]
	v_fmac_f64_e32 v[98:99], v[104:105], v[110:111]
	s_andn2_b64 exec, exec, s[8:9]
	s_cbranch_execnz .LBB15_89
; %bb.90:
	s_or_b64 exec, exec, s[8:9]
.LBB15_91:
	s_or_b64 exec, exec, s[2:3]
	v_and_b32_e32 v102, 7, v101
	v_cmp_ne_u32_e32 vcc, 0, v102
	s_and_saveexec_b64 s[8:9], vcc
	s_cbranch_execz .LBB15_95
; %bb.92:
	v_mov_b32_e32 v101, 0x80
	v_lshl_add_u32 v104, v100, 3, v101
	v_mov_b32_e32 v101, 0
	s_mov_b64 s[10:11], 0
.LBB15_93:                              ; =>This Inner Loop Header: Depth=1
	v_cmp_eq_u32_e32 vcc, 1, v100
	v_add_u32_e32 v102, -1, v102
	v_cmp_eq_u32_e64 s[2:3], 2, v100
	v_cndmask_b32_e32 v105, v35, v37, vcc
	v_cndmask_b32_e32 v108, v34, v36, vcc
	v_cndmask_b32_e64 v105, v105, v39, s[2:3]
	v_cmp_eq_u32_e32 vcc, 0, v102
	v_cmp_eq_u32_e64 s[4:5], 3, v100
	v_cndmask_b32_e64 v108, v108, v38, s[2:3]
	s_or_b64 s[10:11], vcc, s[10:11]
	v_cndmask_b32_e64 v105, v105, v41, s[4:5]
	v_cmp_eq_u32_e32 vcc, 4, v100
	v_cndmask_b32_e64 v108, v108, v40, s[4:5]
	v_cmp_eq_u32_e64 s[2:3], 5, v100
	v_cndmask_b32_e32 v105, v105, v43, vcc
	v_cndmask_b32_e32 v108, v108, v42, vcc
	v_cndmask_b32_e64 v105, v105, v45, s[2:3]
	v_cmp_eq_u32_e32 vcc, 6, v100
	v_cndmask_b32_e64 v108, v108, v44, s[2:3]
	v_cmp_eq_u32_e64 s[2:3], 7, v100
	v_cndmask_b32_e32 v105, v105, v47, vcc
	v_cndmask_b32_e32 v108, v108, v46, vcc
	;; [unrolled: 6-line block ×4, first 2 shown]
	v_cndmask_b32_e64 v105, v105, v57, s[2:3]
	v_cmp_eq_u32_e32 vcc, 12, v100
	ds_read_b64 v[106:107], v104
	v_cndmask_b32_e64 v108, v108, v56, s[2:3]
	v_cndmask_b32_e32 v105, v105, v59, vcc
	v_cmp_eq_u32_e64 s[2:3], 13, v100
	v_cndmask_b32_e32 v108, v108, v58, vcc
	v_cmp_eq_u32_e32 vcc, 14, v100
	v_cndmask_b32_e64 v105, v105, v61, s[2:3]
	v_cmp_eq_u32_e64 s[4:5], 15, v100
	v_cndmask_b32_e32 v105, v105, v63, vcc
	v_cndmask_b32_e64 v108, v108, v60, s[2:3]
	v_cndmask_b32_e64 v109, v105, v65, s[4:5]
	v_cndmask_b32_e32 v105, v108, v62, vcc
	v_cndmask_b32_e64 v108, v105, v64, s[4:5]
	v_add_u32_e32 v104, 8, v104
	v_lshl_add_u64 v[100:101], v[100:101], 0, 1
	s_waitcnt lgkmcnt(0)
	v_fmac_f64_e32 v[98:99], v[108:109], v[106:107]
	s_andn2_b64 exec, exec, s[10:11]
	s_cbranch_execnz .LBB15_93
; %bb.94:
	s_or_b64 exec, exec, s[10:11]
.LBB15_95:
	s_or_b64 exec, exec, s[8:9]
.LBB15_96:
	s_or_b64 exec, exec, s[6:7]
	v_mov_b32_e32 v50, 0
	ds_read_b64 v[50:51], v50 offset:64
	s_waitcnt lgkmcnt(0)
	v_mul_f64 v[50:51], v[98:99], v[50:51]
.LBB15_97:
	s_or_b64 exec, exec, s[36:37]
	v_cmp_lt_u32_e64 s[2:3], 7, v0
	ds_write_b64 v103, v[48:49]
	s_waitcnt lgkmcnt(0)
	; wave barrier
	s_and_saveexec_b64 s[36:37], s[2:3]
	s_cbranch_execz .LBB15_113
; %bb.98:
	s_andn2_b64 vcc, exec, s[34:35]
	s_cbranch_vccnz .LBB15_100
; %bb.99:
	v_cmp_eq_u32_e32 vcc, 1, v0
	v_cmp_eq_u32_e64 s[4:5], 2, v0
	v_cmp_eq_u32_e64 s[6:7], 3, v0
	v_cndmask_b32_e32 v98, v35, v37, vcc
	v_cndmask_b32_e64 v98, v98, v39, s[4:5]
	v_cndmask_b32_e64 v98, v98, v41, s[6:7]
	v_cmp_eq_u32_e64 s[8:9], 4, v0
	v_cmp_eq_u32_e64 s[10:11], 5, v0
	v_cmp_eq_u32_e64 s[12:13], 6, v0
	v_cndmask_b32_e64 v98, v98, v43, s[8:9]
	v_cndmask_b32_e64 v98, v98, v45, s[10:11]
	v_cndmask_b32_e64 v98, v98, v47, s[12:13]
	v_cmp_eq_u32_e64 s[14:15], 7, v0
	v_cmp_eq_u32_e64 s[16:17], 8, v0
	v_cmp_eq_u32_e64 s[18:19], 9, v0
	v_cndmask_b32_e64 v98, v98, v49, s[14:15]
	;; [unrolled: 6-line block ×4, first 2 shown]
	v_cndmask_b32_e64 v98, v98, v63, s[28:29]
	v_cndmask_b32_e64 v99, v98, v65, s[30:31]
	v_cndmask_b32_e32 v98, v34, v36, vcc
	v_cndmask_b32_e64 v98, v98, v38, s[4:5]
	v_cndmask_b32_e64 v98, v98, v40, s[6:7]
	v_cndmask_b32_e64 v98, v98, v42, s[8:9]
	v_cndmask_b32_e64 v98, v98, v44, s[10:11]
	v_cndmask_b32_e64 v98, v98, v46, s[12:13]
	v_cndmask_b32_e64 v98, v98, v48, s[14:15]
	v_cndmask_b32_e64 v98, v98, v50, s[16:17]
	v_cndmask_b32_e64 v98, v98, v52, s[18:19]
	v_cndmask_b32_e64 v98, v98, v54, s[20:21]
	v_cndmask_b32_e64 v98, v98, v56, s[22:23]
	ds_read_b64 v[100:101], v103
	v_cndmask_b32_e64 v98, v98, v58, s[24:25]
	v_cndmask_b32_e64 v98, v98, v60, s[26:27]
	;; [unrolled: 1-line block ×4, first 2 shown]
	s_waitcnt lgkmcnt(0)
	v_mul_f64 v[98:99], v[98:99], v[100:101]
	s_cbranch_execz .LBB15_101
	s_branch .LBB15_102
.LBB15_100:
                                        ; implicit-def: $vgpr98_vgpr99
.LBB15_101:
	ds_read_b64 v[98:99], v103
.LBB15_102:
	s_and_saveexec_b64 s[6:7], s[0:1]
	s_cbranch_execz .LBB15_112
; %bb.103:
	v_add_u32_e32 v100, -9, v0
	v_cmp_lt_u32_e32 vcc, 6, v100
	v_mov_b32_e32 v100, 8
	s_and_saveexec_b64 s[0:1], vcc
	s_cbranch_execz .LBB15_107
; %bb.104:
	v_and_b32_e32 v100, 8, v0
	v_sub_u32_e32 v102, 0, v100
	s_mov_b64 s[4:5], 15
	s_movk_i32 s10, 0xc0
	s_mov_b64 s[8:9], 0
.LBB15_105:                             ; =>This Inner Loop Header: Depth=1
	s_lshl_b32 s11, s4, 1
	s_add_i32 s12, s11, -13
	s_add_i32 s13, s11, -14
	s_set_gpr_idx_on s12, gpr_idx(SRC0)
	v_mov_b32_e32 v121, v34
	s_set_gpr_idx_off
	v_mov_b32_e32 v100, s10
	s_add_i32 s14, s11, -11
	s_set_gpr_idx_on s13, gpr_idx(SRC0)
	v_mov_b32_e32 v120, v34
	s_set_gpr_idx_off
	s_add_i32 s15, s11, -12
	ds_read_b128 v[104:107], v100
	ds_read_b128 v[108:111], v100 offset:16
	ds_read_b128 v[112:115], v100 offset:32
	;; [unrolled: 1-line block ×3, first 2 shown]
	s_set_gpr_idx_on s14, gpr_idx(SRC0)
	v_mov_b32_e32 v123, v34
	s_set_gpr_idx_off
	s_add_i32 s16, s11, -9
	s_set_gpr_idx_on s15, gpr_idx(SRC0)
	v_mov_b32_e32 v122, v34
	s_set_gpr_idx_off
	s_add_i32 s17, s11, -10
	;; [unrolled: 4-line block ×4, first 2 shown]
	s_waitcnt lgkmcnt(3)
	v_fmac_f64_e32 v[98:99], v[120:121], v[104:105]
	s_set_gpr_idx_on s18, gpr_idx(SRC0)
	v_mov_b32_e32 v105, v34
	s_set_gpr_idx_off
	s_add_i32 s20, s11, -5
	v_fmac_f64_e32 v[98:99], v[122:123], v[106:107]
	s_set_gpr_idx_on s19, gpr_idx(SRC0)
	v_mov_b32_e32 v104, v34
	s_set_gpr_idx_off
	s_add_i32 s21, s11, -6
	s_waitcnt lgkmcnt(2)
	v_fmac_f64_e32 v[98:99], v[124:125], v[108:109]
	s_set_gpr_idx_on s20, gpr_idx(SRC0)
	v_mov_b32_e32 v107, v34
	s_set_gpr_idx_off
	s_add_i32 s22, s11, -3
	v_fmac_f64_e32 v[98:99], v[104:105], v[110:111]
	s_set_gpr_idx_on s21, gpr_idx(SRC0)
	v_mov_b32_e32 v106, v34
	s_set_gpr_idx_off
	s_add_i32 s23, s11, -4
	s_waitcnt lgkmcnt(1)
	v_fmac_f64_e32 v[98:99], v[106:107], v[112:113]
	s_set_gpr_idx_on s22, gpr_idx(SRC0)
	v_mov_b32_e32 v105, v34
	s_set_gpr_idx_off
	s_add_i32 s24, s11, -1
	s_set_gpr_idx_on s23, gpr_idx(SRC0)
	v_mov_b32_e32 v104, v34
	s_set_gpr_idx_off
	s_add_i32 s25, s11, -2
	v_fmac_f64_e32 v[98:99], v[104:105], v[114:115]
	s_set_gpr_idx_on s24, gpr_idx(SRC0)
	v_mov_b32_e32 v105, v34
	s_set_gpr_idx_off
	s_add_u32 s4, s4, 8
	s_set_gpr_idx_on s25, gpr_idx(SRC0)
	v_mov_b32_e32 v104, v34
	s_set_gpr_idx_off
	v_add_u32_e32 v100, s4, v102
	s_waitcnt lgkmcnt(0)
	v_fmac_f64_e32 v[98:99], v[104:105], v[116:117]
	s_set_gpr_idx_on s11, gpr_idx(SRC0)
	v_mov_b32_e32 v105, v35
	s_set_gpr_idx_off
	s_addc_u32 s5, s5, 0
	s_add_i32 s10, s10, 64
	s_add_i32 s12, s4, -7
	v_cmp_eq_u32_e32 vcc, 7, v100
	s_set_gpr_idx_on s11, gpr_idx(SRC0)
	v_mov_b32_e32 v104, v34
	s_set_gpr_idx_off
	v_mov_b32_e32 v100, s12
	s_or_b64 s[8:9], vcc, s[8:9]
	v_fmac_f64_e32 v[98:99], v[104:105], v[118:119]
	s_andn2_b64 exec, exec, s[8:9]
	s_cbranch_execnz .LBB15_105
; %bb.106:
	s_or_b64 exec, exec, s[8:9]
.LBB15_107:
	s_or_b64 exec, exec, s[0:1]
	v_and_b32_e32 v102, 7, v0
	v_cmp_ne_u32_e32 vcc, 0, v102
	s_and_saveexec_b64 s[8:9], vcc
	s_cbranch_execz .LBB15_111
; %bb.108:
	v_mov_b32_e32 v101, 0x80
	v_lshl_add_u32 v104, v100, 3, v101
	v_mov_b32_e32 v101, 0
	s_mov_b64 s[10:11], 0
.LBB15_109:                             ; =>This Inner Loop Header: Depth=1
	v_cmp_eq_u32_e32 vcc, 1, v100
	v_add_u32_e32 v102, -1, v102
	v_cmp_eq_u32_e64 s[0:1], 2, v100
	v_cndmask_b32_e32 v105, v35, v37, vcc
	v_cndmask_b32_e32 v108, v34, v36, vcc
	v_cndmask_b32_e64 v105, v105, v39, s[0:1]
	v_cmp_eq_u32_e32 vcc, 0, v102
	v_cmp_eq_u32_e64 s[4:5], 3, v100
	v_cndmask_b32_e64 v108, v108, v38, s[0:1]
	s_or_b64 s[10:11], vcc, s[10:11]
	v_cndmask_b32_e64 v105, v105, v41, s[4:5]
	v_cmp_eq_u32_e32 vcc, 4, v100
	v_cndmask_b32_e64 v108, v108, v40, s[4:5]
	v_cmp_eq_u32_e64 s[0:1], 5, v100
	v_cndmask_b32_e32 v105, v105, v43, vcc
	v_cndmask_b32_e32 v108, v108, v42, vcc
	v_cndmask_b32_e64 v105, v105, v45, s[0:1]
	v_cmp_eq_u32_e32 vcc, 6, v100
	v_cndmask_b32_e64 v108, v108, v44, s[0:1]
	v_cmp_eq_u32_e64 s[0:1], 7, v100
	v_cndmask_b32_e32 v105, v105, v47, vcc
	v_cndmask_b32_e32 v108, v108, v46, vcc
	;; [unrolled: 6-line block ×4, first 2 shown]
	v_cndmask_b32_e64 v105, v105, v57, s[0:1]
	v_cmp_eq_u32_e32 vcc, 12, v100
	ds_read_b64 v[106:107], v104
	v_cndmask_b32_e64 v108, v108, v56, s[0:1]
	v_cndmask_b32_e32 v105, v105, v59, vcc
	v_cmp_eq_u32_e64 s[0:1], 13, v100
	v_cndmask_b32_e32 v108, v108, v58, vcc
	v_cmp_eq_u32_e32 vcc, 14, v100
	v_cndmask_b32_e64 v105, v105, v61, s[0:1]
	v_cmp_eq_u32_e64 s[4:5], 15, v100
	v_cndmask_b32_e32 v105, v105, v63, vcc
	v_cndmask_b32_e64 v108, v108, v60, s[0:1]
	v_cndmask_b32_e64 v109, v105, v65, s[4:5]
	v_cndmask_b32_e32 v105, v108, v62, vcc
	v_cndmask_b32_e64 v108, v105, v64, s[4:5]
	v_add_u32_e32 v104, 8, v104
	v_lshl_add_u64 v[100:101], v[100:101], 0, 1
	s_waitcnt lgkmcnt(0)
	v_fmac_f64_e32 v[98:99], v[108:109], v[106:107]
	s_andn2_b64 exec, exec, s[10:11]
	s_cbranch_execnz .LBB15_109
; %bb.110:
	s_or_b64 exec, exec, s[10:11]
.LBB15_111:
	s_or_b64 exec, exec, s[8:9]
.LBB15_112:
	s_or_b64 exec, exec, s[6:7]
	v_mov_b32_e32 v48, 0
	ds_read_b64 v[48:49], v48 offset:56
	s_waitcnt lgkmcnt(0)
	v_mul_f64 v[48:49], v[98:99], v[48:49]
.LBB15_113:
	s_or_b64 exec, exec, s[36:37]
	v_cmp_lt_u32_e64 s[0:1], 6, v0
	ds_write_b64 v103, v[46:47]
	s_waitcnt lgkmcnt(0)
	; wave barrier
	s_and_saveexec_b64 s[36:37], s[0:1]
	s_cbranch_execz .LBB15_129
; %bb.114:
	s_andn2_b64 vcc, exec, s[34:35]
	s_cbranch_vccnz .LBB15_116
; %bb.115:
	v_cmp_eq_u32_e32 vcc, 1, v0
	v_cmp_eq_u32_e64 s[4:5], 2, v0
	v_cmp_eq_u32_e64 s[6:7], 3, v0
	v_cndmask_b32_e32 v98, v35, v37, vcc
	v_cndmask_b32_e64 v98, v98, v39, s[4:5]
	v_cndmask_b32_e64 v98, v98, v41, s[6:7]
	v_cmp_eq_u32_e64 s[8:9], 4, v0
	v_cmp_eq_u32_e64 s[10:11], 5, v0
	v_cmp_eq_u32_e64 s[12:13], 6, v0
	v_cndmask_b32_e64 v98, v98, v43, s[8:9]
	v_cndmask_b32_e64 v98, v98, v45, s[10:11]
	v_cndmask_b32_e64 v98, v98, v47, s[12:13]
	v_cmp_eq_u32_e64 s[14:15], 7, v0
	v_cmp_eq_u32_e64 s[16:17], 8, v0
	v_cmp_eq_u32_e64 s[18:19], 9, v0
	v_cndmask_b32_e64 v98, v98, v49, s[14:15]
	;; [unrolled: 6-line block ×4, first 2 shown]
	v_cndmask_b32_e64 v98, v98, v63, s[28:29]
	v_cndmask_b32_e64 v99, v98, v65, s[30:31]
	v_cndmask_b32_e32 v98, v34, v36, vcc
	v_cndmask_b32_e64 v98, v98, v38, s[4:5]
	v_cndmask_b32_e64 v98, v98, v40, s[6:7]
	;; [unrolled: 1-line block ×10, first 2 shown]
	ds_read_b64 v[100:101], v103
	v_cndmask_b32_e64 v98, v98, v58, s[24:25]
	v_cndmask_b32_e64 v98, v98, v60, s[26:27]
	;; [unrolled: 1-line block ×4, first 2 shown]
	s_waitcnt lgkmcnt(0)
	v_mul_f64 v[98:99], v[98:99], v[100:101]
	s_cbranch_execz .LBB15_117
	s_branch .LBB15_118
.LBB15_116:
                                        ; implicit-def: $vgpr98_vgpr99
.LBB15_117:
	ds_read_b64 v[98:99], v103
.LBB15_118:
	s_and_saveexec_b64 s[6:7], s[2:3]
	s_cbranch_execz .LBB15_128
; %bb.119:
	v_add_u32_e32 v100, -8, v0
	v_add_u32_e32 v101, -7, v0
	v_cmp_lt_u32_e32 vcc, 6, v100
	v_mov_b32_e32 v100, 7
	s_and_saveexec_b64 s[2:3], vcc
	s_cbranch_execz .LBB15_123
; %bb.120:
	v_and_b32_e32 v100, -8, v101
	v_sub_u32_e32 v102, 0, v100
	s_mov_b64 s[4:5], 14
	s_movk_i32 s10, 0xb8
	s_mov_b64 s[8:9], 0
.LBB15_121:                             ; =>This Inner Loop Header: Depth=1
	s_lshl_b32 s11, s4, 1
	s_add_i32 s12, s11, -13
	v_mov_b32_e32 v118, s10
	s_add_i32 s13, s11, -14
	s_set_gpr_idx_on s12, gpr_idx(SRC0)
	v_mov_b32_e32 v113, v34
	s_set_gpr_idx_off
	s_add_i32 s14, s11, -11
	s_set_gpr_idx_on s13, gpr_idx(SRC0)
	v_mov_b32_e32 v112, v34
	s_set_gpr_idx_off
	ds_read2_b64 v[104:107], v118 offset1:1
	s_add_i32 s15, s11, -12
	s_set_gpr_idx_on s14, gpr_idx(SRC0)
	v_mov_b32_e32 v115, v34
	s_set_gpr_idx_off
	s_add_i32 s16, s11, -9
	s_set_gpr_idx_on s15, gpr_idx(SRC0)
	v_mov_b32_e32 v114, v34
	s_set_gpr_idx_off
	;; [unrolled: 4-line block ×4, first 2 shown]
	ds_read2_b64 v[108:111], v118 offset0:2 offset1:3
	s_add_i32 s19, s11, -8
	s_waitcnt lgkmcnt(1)
	v_fmac_f64_e32 v[98:99], v[112:113], v[104:105]
	s_set_gpr_idx_on s18, gpr_idx(SRC0)
	v_mov_b32_e32 v113, v34
	s_set_gpr_idx_off
	s_add_i32 s20, s11, -5
	v_fmac_f64_e32 v[98:99], v[114:115], v[106:107]
	s_set_gpr_idx_on s19, gpr_idx(SRC0)
	v_mov_b32_e32 v112, v34
	s_set_gpr_idx_off
	s_add_i32 s21, s11, -6
	s_set_gpr_idx_on s20, gpr_idx(SRC0)
	v_mov_b32_e32 v115, v34
	s_set_gpr_idx_off
	s_add_i32 s22, s11, -3
	;; [unrolled: 4-line block ×3, first 2 shown]
	ds_read2_b64 v[104:107], v118 offset0:4 offset1:5
	s_waitcnt lgkmcnt(1)
	v_fmac_f64_e32 v[98:99], v[116:117], v[108:109]
	s_set_gpr_idx_on s22, gpr_idx(SRC0)
	v_mov_b32_e32 v117, v34
	s_set_gpr_idx_off
	s_add_i32 s24, s11, -1
	v_fmac_f64_e32 v[98:99], v[112:113], v[110:111]
	s_set_gpr_idx_on s23, gpr_idx(SRC0)
	v_mov_b32_e32 v116, v34
	s_set_gpr_idx_off
	s_add_i32 s25, s11, -2
	s_set_gpr_idx_on s24, gpr_idx(SRC0)
	v_mov_b32_e32 v113, v34
	s_set_gpr_idx_off
	s_set_gpr_idx_on s25, gpr_idx(SRC0)
	v_mov_b32_e32 v112, v34
	s_set_gpr_idx_off
	ds_read2_b64 v[108:111], v118 offset0:6 offset1:7
	s_add_u32 s4, s4, 8
	s_waitcnt lgkmcnt(1)
	v_fmac_f64_e32 v[98:99], v[114:115], v[104:105]
	s_set_gpr_idx_on s11, gpr_idx(SRC0)
	v_mov_b32_e32 v105, v35
	s_set_gpr_idx_off
	v_add_u32_e32 v100, s4, v102
	v_fmac_f64_e32 v[98:99], v[116:117], v[106:107]
	s_set_gpr_idx_on s11, gpr_idx(SRC0)
	v_mov_b32_e32 v104, v34
	s_set_gpr_idx_off
	s_addc_u32 s5, s5, 0
	s_add_i32 s10, s10, 64
	s_add_i32 s12, s4, -7
	v_cmp_eq_u32_e32 vcc, 14, v100
	s_waitcnt lgkmcnt(0)
	v_fmac_f64_e32 v[98:99], v[112:113], v[108:109]
	v_mov_b32_e32 v100, s12
	s_or_b64 s[8:9], vcc, s[8:9]
	v_fmac_f64_e32 v[98:99], v[104:105], v[110:111]
	s_andn2_b64 exec, exec, s[8:9]
	s_cbranch_execnz .LBB15_121
; %bb.122:
	s_or_b64 exec, exec, s[8:9]
.LBB15_123:
	s_or_b64 exec, exec, s[2:3]
	v_and_b32_e32 v102, 7, v101
	v_cmp_ne_u32_e32 vcc, 0, v102
	s_and_saveexec_b64 s[8:9], vcc
	s_cbranch_execz .LBB15_127
; %bb.124:
	v_mov_b32_e32 v101, 0x80
	v_lshl_add_u32 v104, v100, 3, v101
	v_mov_b32_e32 v101, 0
	s_mov_b64 s[10:11], 0
.LBB15_125:                             ; =>This Inner Loop Header: Depth=1
	v_cmp_eq_u32_e32 vcc, 1, v100
	v_add_u32_e32 v102, -1, v102
	v_cmp_eq_u32_e64 s[2:3], 2, v100
	v_cndmask_b32_e32 v105, v35, v37, vcc
	v_cndmask_b32_e32 v108, v34, v36, vcc
	v_cndmask_b32_e64 v105, v105, v39, s[2:3]
	v_cmp_eq_u32_e32 vcc, 0, v102
	v_cmp_eq_u32_e64 s[4:5], 3, v100
	v_cndmask_b32_e64 v108, v108, v38, s[2:3]
	s_or_b64 s[10:11], vcc, s[10:11]
	v_cndmask_b32_e64 v105, v105, v41, s[4:5]
	v_cmp_eq_u32_e32 vcc, 4, v100
	v_cndmask_b32_e64 v108, v108, v40, s[4:5]
	v_cmp_eq_u32_e64 s[2:3], 5, v100
	v_cndmask_b32_e32 v105, v105, v43, vcc
	v_cndmask_b32_e32 v108, v108, v42, vcc
	v_cndmask_b32_e64 v105, v105, v45, s[2:3]
	v_cmp_eq_u32_e32 vcc, 6, v100
	v_cndmask_b32_e64 v108, v108, v44, s[2:3]
	v_cmp_eq_u32_e64 s[2:3], 7, v100
	v_cndmask_b32_e32 v105, v105, v47, vcc
	v_cndmask_b32_e32 v108, v108, v46, vcc
	;; [unrolled: 6-line block ×4, first 2 shown]
	v_cndmask_b32_e64 v105, v105, v57, s[2:3]
	v_cmp_eq_u32_e32 vcc, 12, v100
	ds_read_b64 v[106:107], v104
	v_cndmask_b32_e64 v108, v108, v56, s[2:3]
	v_cndmask_b32_e32 v105, v105, v59, vcc
	v_cmp_eq_u32_e64 s[2:3], 13, v100
	v_cndmask_b32_e32 v108, v108, v58, vcc
	v_cmp_eq_u32_e32 vcc, 14, v100
	v_cndmask_b32_e64 v105, v105, v61, s[2:3]
	v_cmp_eq_u32_e64 s[4:5], 15, v100
	v_cndmask_b32_e32 v105, v105, v63, vcc
	v_cndmask_b32_e64 v108, v108, v60, s[2:3]
	v_cndmask_b32_e64 v109, v105, v65, s[4:5]
	v_cndmask_b32_e32 v105, v108, v62, vcc
	v_cndmask_b32_e64 v108, v105, v64, s[4:5]
	v_add_u32_e32 v104, 8, v104
	v_lshl_add_u64 v[100:101], v[100:101], 0, 1
	s_waitcnt lgkmcnt(0)
	v_fmac_f64_e32 v[98:99], v[108:109], v[106:107]
	s_andn2_b64 exec, exec, s[10:11]
	s_cbranch_execnz .LBB15_125
; %bb.126:
	s_or_b64 exec, exec, s[10:11]
.LBB15_127:
	s_or_b64 exec, exec, s[8:9]
.LBB15_128:
	s_or_b64 exec, exec, s[6:7]
	v_mov_b32_e32 v46, 0
	ds_read_b64 v[46:47], v46 offset:48
	s_waitcnt lgkmcnt(0)
	v_mul_f64 v[46:47], v[98:99], v[46:47]
.LBB15_129:
	s_or_b64 exec, exec, s[36:37]
	v_cmp_lt_u32_e64 s[2:3], 5, v0
	ds_write_b64 v103, v[44:45]
	s_waitcnt lgkmcnt(0)
	; wave barrier
	s_and_saveexec_b64 s[36:37], s[2:3]
	s_cbranch_execz .LBB15_145
; %bb.130:
	s_andn2_b64 vcc, exec, s[34:35]
	s_cbranch_vccnz .LBB15_132
; %bb.131:
	v_cmp_eq_u32_e32 vcc, 1, v0
	v_cmp_eq_u32_e64 s[4:5], 2, v0
	v_cmp_eq_u32_e64 s[6:7], 3, v0
	v_cndmask_b32_e32 v98, v35, v37, vcc
	v_cndmask_b32_e64 v98, v98, v39, s[4:5]
	v_cndmask_b32_e64 v98, v98, v41, s[6:7]
	v_cmp_eq_u32_e64 s[8:9], 4, v0
	v_cmp_eq_u32_e64 s[10:11], 5, v0
	v_cmp_eq_u32_e64 s[12:13], 6, v0
	v_cndmask_b32_e64 v98, v98, v43, s[8:9]
	v_cndmask_b32_e64 v98, v98, v45, s[10:11]
	v_cndmask_b32_e64 v98, v98, v47, s[12:13]
	v_cmp_eq_u32_e64 s[14:15], 7, v0
	v_cmp_eq_u32_e64 s[16:17], 8, v0
	v_cmp_eq_u32_e64 s[18:19], 9, v0
	v_cndmask_b32_e64 v98, v98, v49, s[14:15]
	;; [unrolled: 6-line block ×4, first 2 shown]
	v_cndmask_b32_e64 v98, v98, v63, s[28:29]
	v_cndmask_b32_e64 v99, v98, v65, s[30:31]
	v_cndmask_b32_e32 v98, v34, v36, vcc
	v_cndmask_b32_e64 v98, v98, v38, s[4:5]
	v_cndmask_b32_e64 v98, v98, v40, s[6:7]
	;; [unrolled: 1-line block ×10, first 2 shown]
	ds_read_b64 v[100:101], v103
	v_cndmask_b32_e64 v98, v98, v58, s[24:25]
	v_cndmask_b32_e64 v98, v98, v60, s[26:27]
	;; [unrolled: 1-line block ×4, first 2 shown]
	s_waitcnt lgkmcnt(0)
	v_mul_f64 v[98:99], v[98:99], v[100:101]
	s_cbranch_execz .LBB15_133
	s_branch .LBB15_134
.LBB15_132:
                                        ; implicit-def: $vgpr98_vgpr99
.LBB15_133:
	ds_read_b64 v[98:99], v103
.LBB15_134:
	s_and_saveexec_b64 s[6:7], s[0:1]
	s_cbranch_execz .LBB15_144
; %bb.135:
	v_add_u32_e32 v102, -7, v0
	v_add_u32_e32 v101, -6, v0
	v_mov_b32_e32 v100, 6
	v_cmp_lt_u32_e32 vcc, 6, v102
	s_and_saveexec_b64 s[0:1], vcc
	s_cbranch_execz .LBB15_139
; %bb.136:
	v_and_b32_e32 v100, -8, v101
	v_sub_u32_e32 v102, 0, v100
	s_mov_b64 s[4:5], 13
	s_movk_i32 s10, 0xb0
	s_mov_b64 s[8:9], 0
.LBB15_137:                             ; =>This Inner Loop Header: Depth=1
	s_lshl_b32 s11, s4, 1
	s_add_i32 s12, s11, -13
	s_add_i32 s13, s11, -14
	s_set_gpr_idx_on s12, gpr_idx(SRC0)
	v_mov_b32_e32 v121, v34
	s_set_gpr_idx_off
	v_mov_b32_e32 v100, s10
	s_add_i32 s14, s11, -11
	s_set_gpr_idx_on s13, gpr_idx(SRC0)
	v_mov_b32_e32 v120, v34
	s_set_gpr_idx_off
	s_add_i32 s15, s11, -12
	ds_read_b128 v[104:107], v100
	ds_read_b128 v[108:111], v100 offset:16
	ds_read_b128 v[112:115], v100 offset:32
	;; [unrolled: 1-line block ×3, first 2 shown]
	s_set_gpr_idx_on s14, gpr_idx(SRC0)
	v_mov_b32_e32 v123, v34
	s_set_gpr_idx_off
	s_add_i32 s16, s11, -9
	s_set_gpr_idx_on s15, gpr_idx(SRC0)
	v_mov_b32_e32 v122, v34
	s_set_gpr_idx_off
	s_add_i32 s17, s11, -10
	;; [unrolled: 4-line block ×4, first 2 shown]
	s_waitcnt lgkmcnt(3)
	v_fmac_f64_e32 v[98:99], v[120:121], v[104:105]
	s_set_gpr_idx_on s18, gpr_idx(SRC0)
	v_mov_b32_e32 v105, v34
	s_set_gpr_idx_off
	s_add_i32 s20, s11, -5
	v_fmac_f64_e32 v[98:99], v[122:123], v[106:107]
	s_set_gpr_idx_on s19, gpr_idx(SRC0)
	v_mov_b32_e32 v104, v34
	s_set_gpr_idx_off
	s_add_i32 s21, s11, -6
	s_waitcnt lgkmcnt(2)
	v_fmac_f64_e32 v[98:99], v[124:125], v[108:109]
	s_set_gpr_idx_on s20, gpr_idx(SRC0)
	v_mov_b32_e32 v107, v34
	s_set_gpr_idx_off
	s_add_i32 s22, s11, -3
	v_fmac_f64_e32 v[98:99], v[104:105], v[110:111]
	s_set_gpr_idx_on s21, gpr_idx(SRC0)
	v_mov_b32_e32 v106, v34
	s_set_gpr_idx_off
	s_add_i32 s23, s11, -4
	s_waitcnt lgkmcnt(1)
	v_fmac_f64_e32 v[98:99], v[106:107], v[112:113]
	s_set_gpr_idx_on s22, gpr_idx(SRC0)
	v_mov_b32_e32 v105, v34
	s_set_gpr_idx_off
	s_add_i32 s24, s11, -1
	s_set_gpr_idx_on s23, gpr_idx(SRC0)
	v_mov_b32_e32 v104, v34
	s_set_gpr_idx_off
	s_add_i32 s25, s11, -2
	v_fmac_f64_e32 v[98:99], v[104:105], v[114:115]
	s_set_gpr_idx_on s24, gpr_idx(SRC0)
	v_mov_b32_e32 v105, v34
	s_set_gpr_idx_off
	s_add_u32 s4, s4, 8
	s_set_gpr_idx_on s25, gpr_idx(SRC0)
	v_mov_b32_e32 v104, v34
	s_set_gpr_idx_off
	v_add_u32_e32 v100, s4, v102
	s_waitcnt lgkmcnt(0)
	v_fmac_f64_e32 v[98:99], v[104:105], v[116:117]
	s_set_gpr_idx_on s11, gpr_idx(SRC0)
	v_mov_b32_e32 v105, v35
	s_set_gpr_idx_off
	s_addc_u32 s5, s5, 0
	s_add_i32 s10, s10, 64
	s_add_i32 s12, s4, -7
	v_cmp_eq_u32_e32 vcc, 13, v100
	s_set_gpr_idx_on s11, gpr_idx(SRC0)
	v_mov_b32_e32 v104, v34
	s_set_gpr_idx_off
	v_mov_b32_e32 v100, s12
	s_or_b64 s[8:9], vcc, s[8:9]
	v_fmac_f64_e32 v[98:99], v[104:105], v[118:119]
	s_andn2_b64 exec, exec, s[8:9]
	s_cbranch_execnz .LBB15_137
; %bb.138:
	s_or_b64 exec, exec, s[8:9]
.LBB15_139:
	s_or_b64 exec, exec, s[0:1]
	v_and_b32_e32 v102, 7, v101
	v_cmp_ne_u32_e32 vcc, 0, v102
	s_and_saveexec_b64 s[8:9], vcc
	s_cbranch_execz .LBB15_143
; %bb.140:
	v_mov_b32_e32 v101, 0x80
	v_lshl_add_u32 v104, v100, 3, v101
	v_mov_b32_e32 v101, 0
	s_mov_b64 s[10:11], 0
.LBB15_141:                             ; =>This Inner Loop Header: Depth=1
	v_cmp_eq_u32_e32 vcc, 1, v100
	v_add_u32_e32 v102, -1, v102
	v_cmp_eq_u32_e64 s[0:1], 2, v100
	v_cndmask_b32_e32 v105, v35, v37, vcc
	v_cndmask_b32_e32 v108, v34, v36, vcc
	v_cndmask_b32_e64 v105, v105, v39, s[0:1]
	v_cmp_eq_u32_e32 vcc, 0, v102
	v_cmp_eq_u32_e64 s[4:5], 3, v100
	v_cndmask_b32_e64 v108, v108, v38, s[0:1]
	s_or_b64 s[10:11], vcc, s[10:11]
	v_cndmask_b32_e64 v105, v105, v41, s[4:5]
	v_cmp_eq_u32_e32 vcc, 4, v100
	v_cndmask_b32_e64 v108, v108, v40, s[4:5]
	v_cmp_eq_u32_e64 s[0:1], 5, v100
	v_cndmask_b32_e32 v105, v105, v43, vcc
	v_cndmask_b32_e32 v108, v108, v42, vcc
	v_cndmask_b32_e64 v105, v105, v45, s[0:1]
	v_cmp_eq_u32_e32 vcc, 6, v100
	v_cndmask_b32_e64 v108, v108, v44, s[0:1]
	v_cmp_eq_u32_e64 s[0:1], 7, v100
	v_cndmask_b32_e32 v105, v105, v47, vcc
	v_cndmask_b32_e32 v108, v108, v46, vcc
	;; [unrolled: 6-line block ×4, first 2 shown]
	v_cndmask_b32_e64 v105, v105, v57, s[0:1]
	v_cmp_eq_u32_e32 vcc, 12, v100
	ds_read_b64 v[106:107], v104
	v_cndmask_b32_e64 v108, v108, v56, s[0:1]
	v_cndmask_b32_e32 v105, v105, v59, vcc
	v_cmp_eq_u32_e64 s[0:1], 13, v100
	v_cndmask_b32_e32 v108, v108, v58, vcc
	v_cmp_eq_u32_e32 vcc, 14, v100
	v_cndmask_b32_e64 v105, v105, v61, s[0:1]
	v_cmp_eq_u32_e64 s[4:5], 15, v100
	v_cndmask_b32_e32 v105, v105, v63, vcc
	v_cndmask_b32_e64 v108, v108, v60, s[0:1]
	v_cndmask_b32_e64 v109, v105, v65, s[4:5]
	v_cndmask_b32_e32 v105, v108, v62, vcc
	v_cndmask_b32_e64 v108, v105, v64, s[4:5]
	v_add_u32_e32 v104, 8, v104
	v_lshl_add_u64 v[100:101], v[100:101], 0, 1
	s_waitcnt lgkmcnt(0)
	v_fmac_f64_e32 v[98:99], v[108:109], v[106:107]
	s_andn2_b64 exec, exec, s[10:11]
	s_cbranch_execnz .LBB15_141
; %bb.142:
	s_or_b64 exec, exec, s[10:11]
.LBB15_143:
	s_or_b64 exec, exec, s[8:9]
.LBB15_144:
	s_or_b64 exec, exec, s[6:7]
	v_mov_b32_e32 v44, 0
	ds_read_b64 v[44:45], v44 offset:40
	s_waitcnt lgkmcnt(0)
	v_mul_f64 v[44:45], v[98:99], v[44:45]
.LBB15_145:
	s_or_b64 exec, exec, s[36:37]
	v_cmp_lt_u32_e64 s[0:1], 4, v0
	ds_write_b64 v103, v[42:43]
	s_waitcnt lgkmcnt(0)
	; wave barrier
	s_and_saveexec_b64 s[36:37], s[0:1]
	s_cbranch_execz .LBB15_161
; %bb.146:
	s_andn2_b64 vcc, exec, s[34:35]
	s_cbranch_vccnz .LBB15_148
; %bb.147:
	v_cmp_eq_u32_e32 vcc, 1, v0
	v_cmp_eq_u32_e64 s[4:5], 2, v0
	v_cmp_eq_u32_e64 s[6:7], 3, v0
	v_cndmask_b32_e32 v98, v35, v37, vcc
	v_cndmask_b32_e64 v98, v98, v39, s[4:5]
	v_cndmask_b32_e64 v98, v98, v41, s[6:7]
	v_cmp_eq_u32_e64 s[8:9], 4, v0
	v_cmp_eq_u32_e64 s[10:11], 5, v0
	v_cmp_eq_u32_e64 s[12:13], 6, v0
	v_cndmask_b32_e64 v98, v98, v43, s[8:9]
	v_cndmask_b32_e64 v98, v98, v45, s[10:11]
	v_cndmask_b32_e64 v98, v98, v47, s[12:13]
	v_cmp_eq_u32_e64 s[14:15], 7, v0
	v_cmp_eq_u32_e64 s[16:17], 8, v0
	v_cmp_eq_u32_e64 s[18:19], 9, v0
	v_cndmask_b32_e64 v98, v98, v49, s[14:15]
	;; [unrolled: 6-line block ×4, first 2 shown]
	v_cndmask_b32_e64 v98, v98, v63, s[28:29]
	v_cndmask_b32_e64 v99, v98, v65, s[30:31]
	v_cndmask_b32_e32 v98, v34, v36, vcc
	v_cndmask_b32_e64 v98, v98, v38, s[4:5]
	v_cndmask_b32_e64 v98, v98, v40, s[6:7]
	v_cndmask_b32_e64 v98, v98, v42, s[8:9]
	v_cndmask_b32_e64 v98, v98, v44, s[10:11]
	v_cndmask_b32_e64 v98, v98, v46, s[12:13]
	v_cndmask_b32_e64 v98, v98, v48, s[14:15]
	v_cndmask_b32_e64 v98, v98, v50, s[16:17]
	v_cndmask_b32_e64 v98, v98, v52, s[18:19]
	v_cndmask_b32_e64 v98, v98, v54, s[20:21]
	v_cndmask_b32_e64 v98, v98, v56, s[22:23]
	ds_read_b64 v[100:101], v103
	v_cndmask_b32_e64 v98, v98, v58, s[24:25]
	v_cndmask_b32_e64 v98, v98, v60, s[26:27]
	;; [unrolled: 1-line block ×4, first 2 shown]
	s_waitcnt lgkmcnt(0)
	v_mul_f64 v[98:99], v[98:99], v[100:101]
	s_cbranch_execz .LBB15_149
	s_branch .LBB15_150
.LBB15_148:
                                        ; implicit-def: $vgpr98_vgpr99
.LBB15_149:
	ds_read_b64 v[98:99], v103
.LBB15_150:
	s_and_saveexec_b64 s[6:7], s[2:3]
	s_cbranch_execz .LBB15_160
; %bb.151:
	v_add_u32_e32 v100, -6, v0
	v_add_u32_e32 v101, -5, v0
	v_cmp_lt_u32_e32 vcc, 6, v100
	v_mov_b32_e32 v100, 5
	s_and_saveexec_b64 s[2:3], vcc
	s_cbranch_execz .LBB15_155
; %bb.152:
	v_and_b32_e32 v100, -8, v101
	v_sub_u32_e32 v102, 0, v100
	s_mov_b64 s[4:5], 12
	s_movk_i32 s10, 0xa8
	s_mov_b64 s[8:9], 0
.LBB15_153:                             ; =>This Inner Loop Header: Depth=1
	s_lshl_b32 s11, s4, 1
	s_add_i32 s12, s11, -13
	v_mov_b32_e32 v118, s10
	s_add_i32 s13, s11, -14
	s_set_gpr_idx_on s12, gpr_idx(SRC0)
	v_mov_b32_e32 v113, v34
	s_set_gpr_idx_off
	s_add_i32 s14, s11, -11
	s_set_gpr_idx_on s13, gpr_idx(SRC0)
	v_mov_b32_e32 v112, v34
	s_set_gpr_idx_off
	ds_read2_b64 v[104:107], v118 offset1:1
	s_add_i32 s15, s11, -12
	s_set_gpr_idx_on s14, gpr_idx(SRC0)
	v_mov_b32_e32 v115, v34
	s_set_gpr_idx_off
	s_add_i32 s16, s11, -9
	s_set_gpr_idx_on s15, gpr_idx(SRC0)
	v_mov_b32_e32 v114, v34
	s_set_gpr_idx_off
	;; [unrolled: 4-line block ×4, first 2 shown]
	ds_read2_b64 v[108:111], v118 offset0:2 offset1:3
	s_add_i32 s19, s11, -8
	s_waitcnt lgkmcnt(1)
	v_fmac_f64_e32 v[98:99], v[112:113], v[104:105]
	s_set_gpr_idx_on s18, gpr_idx(SRC0)
	v_mov_b32_e32 v113, v34
	s_set_gpr_idx_off
	s_add_i32 s20, s11, -5
	v_fmac_f64_e32 v[98:99], v[114:115], v[106:107]
	s_set_gpr_idx_on s19, gpr_idx(SRC0)
	v_mov_b32_e32 v112, v34
	s_set_gpr_idx_off
	s_add_i32 s21, s11, -6
	s_set_gpr_idx_on s20, gpr_idx(SRC0)
	v_mov_b32_e32 v115, v34
	s_set_gpr_idx_off
	s_add_i32 s22, s11, -3
	s_set_gpr_idx_on s21, gpr_idx(SRC0)
	v_mov_b32_e32 v114, v34
	s_set_gpr_idx_off
	s_add_i32 s23, s11, -4
	ds_read2_b64 v[104:107], v118 offset0:4 offset1:5
	s_waitcnt lgkmcnt(1)
	v_fmac_f64_e32 v[98:99], v[116:117], v[108:109]
	s_set_gpr_idx_on s22, gpr_idx(SRC0)
	v_mov_b32_e32 v117, v34
	s_set_gpr_idx_off
	s_add_i32 s24, s11, -1
	v_fmac_f64_e32 v[98:99], v[112:113], v[110:111]
	s_set_gpr_idx_on s23, gpr_idx(SRC0)
	v_mov_b32_e32 v116, v34
	s_set_gpr_idx_off
	s_add_i32 s25, s11, -2
	s_set_gpr_idx_on s24, gpr_idx(SRC0)
	v_mov_b32_e32 v113, v34
	s_set_gpr_idx_off
	s_set_gpr_idx_on s25, gpr_idx(SRC0)
	v_mov_b32_e32 v112, v34
	s_set_gpr_idx_off
	ds_read2_b64 v[108:111], v118 offset0:6 offset1:7
	s_add_u32 s4, s4, 8
	s_waitcnt lgkmcnt(1)
	v_fmac_f64_e32 v[98:99], v[114:115], v[104:105]
	s_set_gpr_idx_on s11, gpr_idx(SRC0)
	v_mov_b32_e32 v105, v35
	s_set_gpr_idx_off
	v_add_u32_e32 v100, s4, v102
	v_fmac_f64_e32 v[98:99], v[116:117], v[106:107]
	s_set_gpr_idx_on s11, gpr_idx(SRC0)
	v_mov_b32_e32 v104, v34
	s_set_gpr_idx_off
	s_addc_u32 s5, s5, 0
	s_add_i32 s10, s10, 64
	s_add_i32 s12, s4, -7
	v_cmp_eq_u32_e32 vcc, 12, v100
	s_waitcnt lgkmcnt(0)
	v_fmac_f64_e32 v[98:99], v[112:113], v[108:109]
	v_mov_b32_e32 v100, s12
	s_or_b64 s[8:9], vcc, s[8:9]
	v_fmac_f64_e32 v[98:99], v[104:105], v[110:111]
	s_andn2_b64 exec, exec, s[8:9]
	s_cbranch_execnz .LBB15_153
; %bb.154:
	s_or_b64 exec, exec, s[8:9]
.LBB15_155:
	s_or_b64 exec, exec, s[2:3]
	v_and_b32_e32 v102, 7, v101
	v_cmp_ne_u32_e32 vcc, 0, v102
	s_and_saveexec_b64 s[8:9], vcc
	s_cbranch_execz .LBB15_159
; %bb.156:
	v_mov_b32_e32 v101, 0x80
	v_lshl_add_u32 v104, v100, 3, v101
	v_mov_b32_e32 v101, 0
	s_mov_b64 s[10:11], 0
.LBB15_157:                             ; =>This Inner Loop Header: Depth=1
	v_cmp_eq_u32_e32 vcc, 1, v100
	v_add_u32_e32 v102, -1, v102
	v_cmp_eq_u32_e64 s[2:3], 2, v100
	v_cndmask_b32_e32 v105, v35, v37, vcc
	v_cndmask_b32_e32 v108, v34, v36, vcc
	v_cndmask_b32_e64 v105, v105, v39, s[2:3]
	v_cmp_eq_u32_e32 vcc, 0, v102
	v_cmp_eq_u32_e64 s[4:5], 3, v100
	v_cndmask_b32_e64 v108, v108, v38, s[2:3]
	s_or_b64 s[10:11], vcc, s[10:11]
	v_cndmask_b32_e64 v105, v105, v41, s[4:5]
	v_cmp_eq_u32_e32 vcc, 4, v100
	v_cndmask_b32_e64 v108, v108, v40, s[4:5]
	v_cmp_eq_u32_e64 s[2:3], 5, v100
	v_cndmask_b32_e32 v105, v105, v43, vcc
	v_cndmask_b32_e32 v108, v108, v42, vcc
	v_cndmask_b32_e64 v105, v105, v45, s[2:3]
	v_cmp_eq_u32_e32 vcc, 6, v100
	v_cndmask_b32_e64 v108, v108, v44, s[2:3]
	v_cmp_eq_u32_e64 s[2:3], 7, v100
	v_cndmask_b32_e32 v105, v105, v47, vcc
	v_cndmask_b32_e32 v108, v108, v46, vcc
	;; [unrolled: 6-line block ×4, first 2 shown]
	v_cndmask_b32_e64 v105, v105, v57, s[2:3]
	v_cmp_eq_u32_e32 vcc, 12, v100
	ds_read_b64 v[106:107], v104
	v_cndmask_b32_e64 v108, v108, v56, s[2:3]
	v_cndmask_b32_e32 v105, v105, v59, vcc
	v_cmp_eq_u32_e64 s[2:3], 13, v100
	v_cndmask_b32_e32 v108, v108, v58, vcc
	v_cmp_eq_u32_e32 vcc, 14, v100
	v_cndmask_b32_e64 v105, v105, v61, s[2:3]
	v_cmp_eq_u32_e64 s[4:5], 15, v100
	v_cndmask_b32_e32 v105, v105, v63, vcc
	v_cndmask_b32_e64 v108, v108, v60, s[2:3]
	v_cndmask_b32_e64 v109, v105, v65, s[4:5]
	v_cndmask_b32_e32 v105, v108, v62, vcc
	v_cndmask_b32_e64 v108, v105, v64, s[4:5]
	v_add_u32_e32 v104, 8, v104
	v_lshl_add_u64 v[100:101], v[100:101], 0, 1
	s_waitcnt lgkmcnt(0)
	v_fmac_f64_e32 v[98:99], v[108:109], v[106:107]
	s_andn2_b64 exec, exec, s[10:11]
	s_cbranch_execnz .LBB15_157
; %bb.158:
	s_or_b64 exec, exec, s[10:11]
.LBB15_159:
	s_or_b64 exec, exec, s[8:9]
.LBB15_160:
	s_or_b64 exec, exec, s[6:7]
	v_mov_b32_e32 v42, 0
	ds_read_b64 v[42:43], v42 offset:32
	s_waitcnt lgkmcnt(0)
	v_mul_f64 v[42:43], v[98:99], v[42:43]
.LBB15_161:
	s_or_b64 exec, exec, s[36:37]
	v_cmp_lt_u32_e64 s[2:3], 3, v0
	ds_write_b64 v103, v[40:41]
	s_waitcnt lgkmcnt(0)
	; wave barrier
	s_and_saveexec_b64 s[36:37], s[2:3]
	s_cbranch_execz .LBB15_177
; %bb.162:
	s_andn2_b64 vcc, exec, s[34:35]
	s_cbranch_vccnz .LBB15_164
; %bb.163:
	v_cmp_eq_u32_e32 vcc, 1, v0
	v_cmp_eq_u32_e64 s[4:5], 2, v0
	v_cmp_eq_u32_e64 s[6:7], 3, v0
	v_cndmask_b32_e32 v98, v35, v37, vcc
	v_cndmask_b32_e64 v98, v98, v39, s[4:5]
	v_cndmask_b32_e64 v98, v98, v41, s[6:7]
	v_cmp_eq_u32_e64 s[8:9], 4, v0
	v_cmp_eq_u32_e64 s[10:11], 5, v0
	v_cmp_eq_u32_e64 s[12:13], 6, v0
	v_cndmask_b32_e64 v98, v98, v43, s[8:9]
	v_cndmask_b32_e64 v98, v98, v45, s[10:11]
	v_cndmask_b32_e64 v98, v98, v47, s[12:13]
	v_cmp_eq_u32_e64 s[14:15], 7, v0
	v_cmp_eq_u32_e64 s[16:17], 8, v0
	v_cmp_eq_u32_e64 s[18:19], 9, v0
	v_cndmask_b32_e64 v98, v98, v49, s[14:15]
	;; [unrolled: 6-line block ×4, first 2 shown]
	v_cndmask_b32_e64 v98, v98, v63, s[28:29]
	v_cndmask_b32_e64 v99, v98, v65, s[30:31]
	v_cndmask_b32_e32 v98, v34, v36, vcc
	v_cndmask_b32_e64 v98, v98, v38, s[4:5]
	v_cndmask_b32_e64 v98, v98, v40, s[6:7]
	v_cndmask_b32_e64 v98, v98, v42, s[8:9]
	v_cndmask_b32_e64 v98, v98, v44, s[10:11]
	v_cndmask_b32_e64 v98, v98, v46, s[12:13]
	v_cndmask_b32_e64 v98, v98, v48, s[14:15]
	v_cndmask_b32_e64 v98, v98, v50, s[16:17]
	v_cndmask_b32_e64 v98, v98, v52, s[18:19]
	v_cndmask_b32_e64 v98, v98, v54, s[20:21]
	v_cndmask_b32_e64 v98, v98, v56, s[22:23]
	ds_read_b64 v[100:101], v103
	v_cndmask_b32_e64 v98, v98, v58, s[24:25]
	v_cndmask_b32_e64 v98, v98, v60, s[26:27]
	;; [unrolled: 1-line block ×4, first 2 shown]
	s_waitcnt lgkmcnt(0)
	v_mul_f64 v[98:99], v[98:99], v[100:101]
	s_cbranch_execz .LBB15_165
	s_branch .LBB15_166
.LBB15_164:
                                        ; implicit-def: $vgpr98_vgpr99
.LBB15_165:
	ds_read_b64 v[98:99], v103
.LBB15_166:
	s_and_saveexec_b64 s[6:7], s[0:1]
	s_cbranch_execz .LBB15_176
; %bb.167:
	v_add_u32_e32 v100, -5, v0
	v_add_u32_e32 v101, -4, v0
	v_cmp_lt_u32_e32 vcc, 6, v100
	v_mov_b32_e32 v100, 4
	s_and_saveexec_b64 s[0:1], vcc
	s_cbranch_execz .LBB15_171
; %bb.168:
	v_and_b32_e32 v100, -8, v101
	v_sub_u32_e32 v102, 0, v100
	s_mov_b64 s[4:5], 5
	s_movk_i32 s10, 0xa0
	s_mov_b64 s[8:9], 0
.LBB15_169:                             ; =>This Inner Loop Header: Depth=1
	s_lshl_b32 s11, s4, 1
	s_add_i32 s12, s11, -1
	s_add_i32 s13, s11, -2
	s_set_gpr_idx_on s12, gpr_idx(SRC0)
	v_mov_b32_e32 v121, v34
	s_set_gpr_idx_off
	v_mov_b32_e32 v100, s10
	s_set_gpr_idx_on s13, gpr_idx(SRC0)
	v_mov_b32_e32 v120, v34
	s_set_gpr_idx_off
	ds_read_b128 v[104:107], v100
	ds_read_b128 v[108:111], v100 offset:16
	ds_read_b128 v[112:115], v100 offset:32
	;; [unrolled: 1-line block ×3, first 2 shown]
	s_set_gpr_idx_on s11, gpr_idx(SRC0)
	v_mov_b32_e32 v123, v35
	s_add_i32 s14, s11, 3
	v_mov_b32_e32 v122, v34
	s_set_gpr_idx_off
	s_add_i32 s15, s11, 2
	s_set_gpr_idx_on s14, gpr_idx(SRC0)
	v_mov_b32_e32 v125, v34
	s_set_gpr_idx_off
	s_add_i32 s16, s11, 5
	s_set_gpr_idx_on s15, gpr_idx(SRC0)
	v_mov_b32_e32 v124, v34
	s_set_gpr_idx_off
	s_add_i32 s17, s11, 4
	s_waitcnt lgkmcnt(3)
	v_fmac_f64_e32 v[98:99], v[120:121], v[104:105]
	s_set_gpr_idx_on s16, gpr_idx(SRC0)
	v_mov_b32_e32 v105, v34
	s_set_gpr_idx_off
	s_add_i32 s18, s11, 7
	v_fmac_f64_e32 v[98:99], v[122:123], v[106:107]
	s_set_gpr_idx_on s17, gpr_idx(SRC0)
	v_mov_b32_e32 v104, v34
	s_set_gpr_idx_off
	s_add_i32 s19, s11, 6
	s_waitcnt lgkmcnt(2)
	v_fmac_f64_e32 v[98:99], v[124:125], v[108:109]
	s_set_gpr_idx_on s18, gpr_idx(SRC0)
	v_mov_b32_e32 v107, v34
	s_set_gpr_idx_off
	s_add_i32 s20, s11, 9
	v_fmac_f64_e32 v[98:99], v[104:105], v[110:111]
	s_set_gpr_idx_on s19, gpr_idx(SRC0)
	v_mov_b32_e32 v106, v34
	s_set_gpr_idx_off
	s_add_i32 s21, s11, 8
	s_waitcnt lgkmcnt(1)
	v_fmac_f64_e32 v[98:99], v[106:107], v[112:113]
	s_set_gpr_idx_on s20, gpr_idx(SRC0)
	v_mov_b32_e32 v105, v34
	s_set_gpr_idx_off
	s_add_i32 s22, s11, 11
	s_set_gpr_idx_on s21, gpr_idx(SRC0)
	v_mov_b32_e32 v104, v34
	s_set_gpr_idx_off
	s_add_i32 s23, s11, 10
	s_add_i32 s24, s11, 13
	;; [unrolled: 1-line block ×3, first 2 shown]
	v_fmac_f64_e32 v[98:99], v[104:105], v[114:115]
	s_set_gpr_idx_on s22, gpr_idx(SRC0)
	v_mov_b32_e32 v105, v34
	s_set_gpr_idx_off
	s_add_u32 s4, s4, 8
	s_set_gpr_idx_on s23, gpr_idx(SRC0)
	v_mov_b32_e32 v104, v34
	s_set_gpr_idx_off
	v_add_u32_e32 v100, s4, v102
	s_waitcnt lgkmcnt(0)
	v_fmac_f64_e32 v[98:99], v[104:105], v[116:117]
	s_set_gpr_idx_on s24, gpr_idx(SRC0)
	v_mov_b32_e32 v105, v34
	s_set_gpr_idx_off
	s_addc_u32 s5, s5, 0
	s_add_i32 s10, s10, 64
	s_add_i32 s12, s4, -1
	v_cmp_eq_u32_e32 vcc, 5, v100
	s_set_gpr_idx_on s25, gpr_idx(SRC0)
	v_mov_b32_e32 v104, v34
	s_set_gpr_idx_off
	v_mov_b32_e32 v100, s12
	s_or_b64 s[8:9], vcc, s[8:9]
	v_fmac_f64_e32 v[98:99], v[104:105], v[118:119]
	s_andn2_b64 exec, exec, s[8:9]
	s_cbranch_execnz .LBB15_169
; %bb.170:
	s_or_b64 exec, exec, s[8:9]
.LBB15_171:
	s_or_b64 exec, exec, s[0:1]
	v_and_b32_e32 v102, 7, v101
	v_cmp_ne_u32_e32 vcc, 0, v102
	s_and_saveexec_b64 s[8:9], vcc
	s_cbranch_execz .LBB15_175
; %bb.172:
	v_mov_b32_e32 v101, 0x80
	v_lshl_add_u32 v104, v100, 3, v101
	v_mov_b32_e32 v101, 0
	s_mov_b64 s[10:11], 0
.LBB15_173:                             ; =>This Inner Loop Header: Depth=1
	v_cmp_eq_u32_e32 vcc, 1, v100
	v_add_u32_e32 v102, -1, v102
	v_cmp_eq_u32_e64 s[0:1], 2, v100
	v_cndmask_b32_e32 v105, v35, v37, vcc
	v_cndmask_b32_e32 v108, v34, v36, vcc
	v_cndmask_b32_e64 v105, v105, v39, s[0:1]
	v_cmp_eq_u32_e32 vcc, 0, v102
	v_cmp_eq_u32_e64 s[4:5], 3, v100
	v_cndmask_b32_e64 v108, v108, v38, s[0:1]
	s_or_b64 s[10:11], vcc, s[10:11]
	v_cndmask_b32_e64 v105, v105, v41, s[4:5]
	v_cmp_eq_u32_e32 vcc, 4, v100
	v_cndmask_b32_e64 v108, v108, v40, s[4:5]
	v_cmp_eq_u32_e64 s[0:1], 5, v100
	v_cndmask_b32_e32 v105, v105, v43, vcc
	v_cndmask_b32_e32 v108, v108, v42, vcc
	v_cndmask_b32_e64 v105, v105, v45, s[0:1]
	v_cmp_eq_u32_e32 vcc, 6, v100
	v_cndmask_b32_e64 v108, v108, v44, s[0:1]
	v_cmp_eq_u32_e64 s[0:1], 7, v100
	v_cndmask_b32_e32 v105, v105, v47, vcc
	v_cndmask_b32_e32 v108, v108, v46, vcc
	;; [unrolled: 6-line block ×4, first 2 shown]
	v_cndmask_b32_e64 v105, v105, v57, s[0:1]
	v_cmp_eq_u32_e32 vcc, 12, v100
	ds_read_b64 v[106:107], v104
	v_cndmask_b32_e64 v108, v108, v56, s[0:1]
	v_cndmask_b32_e32 v105, v105, v59, vcc
	v_cmp_eq_u32_e64 s[0:1], 13, v100
	v_cndmask_b32_e32 v108, v108, v58, vcc
	v_cmp_eq_u32_e32 vcc, 14, v100
	v_cndmask_b32_e64 v105, v105, v61, s[0:1]
	v_cmp_eq_u32_e64 s[4:5], 15, v100
	v_cndmask_b32_e32 v105, v105, v63, vcc
	v_cndmask_b32_e64 v108, v108, v60, s[0:1]
	v_cndmask_b32_e64 v109, v105, v65, s[4:5]
	v_cndmask_b32_e32 v105, v108, v62, vcc
	v_cndmask_b32_e64 v108, v105, v64, s[4:5]
	v_add_u32_e32 v104, 8, v104
	v_lshl_add_u64 v[100:101], v[100:101], 0, 1
	s_waitcnt lgkmcnt(0)
	v_fmac_f64_e32 v[98:99], v[108:109], v[106:107]
	s_andn2_b64 exec, exec, s[10:11]
	s_cbranch_execnz .LBB15_173
; %bb.174:
	s_or_b64 exec, exec, s[10:11]
.LBB15_175:
	s_or_b64 exec, exec, s[8:9]
.LBB15_176:
	s_or_b64 exec, exec, s[6:7]
	v_mov_b32_e32 v40, 0
	ds_read_b64 v[40:41], v40 offset:24
	s_waitcnt lgkmcnt(0)
	v_mul_f64 v[40:41], v[98:99], v[40:41]
.LBB15_177:
	s_or_b64 exec, exec, s[36:37]
	v_cmp_lt_u32_e64 s[0:1], 2, v0
	ds_write_b64 v103, v[38:39]
	s_waitcnt lgkmcnt(0)
	; wave barrier
	s_and_saveexec_b64 s[36:37], s[0:1]
	s_cbranch_execz .LBB15_193
; %bb.178:
	s_andn2_b64 vcc, exec, s[34:35]
	s_cbranch_vccnz .LBB15_180
; %bb.179:
	v_cmp_eq_u32_e32 vcc, 1, v0
	v_cmp_eq_u32_e64 s[4:5], 2, v0
	v_cmp_eq_u32_e64 s[6:7], 3, v0
	v_cndmask_b32_e32 v98, v35, v37, vcc
	v_cndmask_b32_e64 v98, v98, v39, s[4:5]
	v_cndmask_b32_e64 v98, v98, v41, s[6:7]
	v_cmp_eq_u32_e64 s[8:9], 4, v0
	v_cmp_eq_u32_e64 s[10:11], 5, v0
	v_cmp_eq_u32_e64 s[12:13], 6, v0
	v_cndmask_b32_e64 v98, v98, v43, s[8:9]
	v_cndmask_b32_e64 v98, v98, v45, s[10:11]
	v_cndmask_b32_e64 v98, v98, v47, s[12:13]
	v_cmp_eq_u32_e64 s[14:15], 7, v0
	v_cmp_eq_u32_e64 s[16:17], 8, v0
	v_cmp_eq_u32_e64 s[18:19], 9, v0
	v_cndmask_b32_e64 v98, v98, v49, s[14:15]
	;; [unrolled: 6-line block ×4, first 2 shown]
	v_cndmask_b32_e64 v98, v98, v63, s[28:29]
	v_cndmask_b32_e64 v99, v98, v65, s[30:31]
	v_cndmask_b32_e32 v98, v34, v36, vcc
	v_cndmask_b32_e64 v98, v98, v38, s[4:5]
	v_cndmask_b32_e64 v98, v98, v40, s[6:7]
	;; [unrolled: 1-line block ×10, first 2 shown]
	ds_read_b64 v[100:101], v103
	v_cndmask_b32_e64 v98, v98, v58, s[24:25]
	v_cndmask_b32_e64 v98, v98, v60, s[26:27]
	;; [unrolled: 1-line block ×4, first 2 shown]
	s_waitcnt lgkmcnt(0)
	v_mul_f64 v[98:99], v[98:99], v[100:101]
	s_cbranch_execz .LBB15_181
	s_branch .LBB15_182
.LBB15_180:
                                        ; implicit-def: $vgpr98_vgpr99
.LBB15_181:
	ds_read_b64 v[98:99], v103
.LBB15_182:
	s_and_saveexec_b64 s[6:7], s[2:3]
	s_cbranch_execz .LBB15_192
; %bb.183:
	v_add_u32_e32 v100, -4, v0
	v_add_u32_e32 v101, -3, v0
	v_cmp_lt_u32_e32 vcc, 6, v100
	v_mov_b32_e32 v100, 3
	s_and_saveexec_b64 s[2:3], vcc
	s_cbranch_execz .LBB15_187
; %bb.184:
	v_and_b32_e32 v100, -8, v101
	v_sub_u32_e32 v102, 0, v100
	s_mov_b64 s[4:5], 10
	s_movk_i32 s10, 0x98
	s_mov_b64 s[8:9], 0
.LBB15_185:                             ; =>This Inner Loop Header: Depth=1
	s_lshl_b32 s11, s4, 1
	s_add_i32 s12, s11, -13
	v_mov_b32_e32 v118, s10
	s_add_i32 s13, s11, -14
	s_set_gpr_idx_on s12, gpr_idx(SRC0)
	v_mov_b32_e32 v113, v34
	s_set_gpr_idx_off
	s_add_i32 s14, s11, -11
	s_set_gpr_idx_on s13, gpr_idx(SRC0)
	v_mov_b32_e32 v112, v34
	s_set_gpr_idx_off
	ds_read2_b64 v[104:107], v118 offset1:1
	s_add_i32 s15, s11, -12
	s_set_gpr_idx_on s14, gpr_idx(SRC0)
	v_mov_b32_e32 v115, v34
	s_set_gpr_idx_off
	s_add_i32 s16, s11, -9
	s_set_gpr_idx_on s15, gpr_idx(SRC0)
	v_mov_b32_e32 v114, v34
	s_set_gpr_idx_off
	;; [unrolled: 4-line block ×4, first 2 shown]
	ds_read2_b64 v[108:111], v118 offset0:2 offset1:3
	s_add_i32 s19, s11, -8
	s_waitcnt lgkmcnt(1)
	v_fmac_f64_e32 v[98:99], v[112:113], v[104:105]
	s_set_gpr_idx_on s18, gpr_idx(SRC0)
	v_mov_b32_e32 v113, v34
	s_set_gpr_idx_off
	s_add_i32 s20, s11, -5
	v_fmac_f64_e32 v[98:99], v[114:115], v[106:107]
	s_set_gpr_idx_on s19, gpr_idx(SRC0)
	v_mov_b32_e32 v112, v34
	s_set_gpr_idx_off
	s_add_i32 s21, s11, -6
	s_set_gpr_idx_on s20, gpr_idx(SRC0)
	v_mov_b32_e32 v115, v34
	s_set_gpr_idx_off
	s_add_i32 s22, s11, -3
	;; [unrolled: 4-line block ×3, first 2 shown]
	ds_read2_b64 v[104:107], v118 offset0:4 offset1:5
	s_waitcnt lgkmcnt(1)
	v_fmac_f64_e32 v[98:99], v[116:117], v[108:109]
	s_set_gpr_idx_on s22, gpr_idx(SRC0)
	v_mov_b32_e32 v117, v34
	s_set_gpr_idx_off
	s_add_i32 s24, s11, -1
	v_fmac_f64_e32 v[98:99], v[112:113], v[110:111]
	s_set_gpr_idx_on s23, gpr_idx(SRC0)
	v_mov_b32_e32 v116, v34
	s_set_gpr_idx_off
	s_add_i32 s25, s11, -2
	s_set_gpr_idx_on s24, gpr_idx(SRC0)
	v_mov_b32_e32 v113, v34
	s_set_gpr_idx_off
	s_set_gpr_idx_on s25, gpr_idx(SRC0)
	v_mov_b32_e32 v112, v34
	s_set_gpr_idx_off
	ds_read2_b64 v[108:111], v118 offset0:6 offset1:7
	s_add_u32 s4, s4, 8
	s_waitcnt lgkmcnt(1)
	v_fmac_f64_e32 v[98:99], v[114:115], v[104:105]
	s_set_gpr_idx_on s11, gpr_idx(SRC0)
	v_mov_b32_e32 v105, v35
	s_set_gpr_idx_off
	v_add_u32_e32 v100, s4, v102
	v_fmac_f64_e32 v[98:99], v[116:117], v[106:107]
	s_set_gpr_idx_on s11, gpr_idx(SRC0)
	v_mov_b32_e32 v104, v34
	s_set_gpr_idx_off
	s_addc_u32 s5, s5, 0
	s_add_i32 s10, s10, 64
	s_add_i32 s12, s4, -7
	v_cmp_eq_u32_e32 vcc, 10, v100
	s_waitcnt lgkmcnt(0)
	v_fmac_f64_e32 v[98:99], v[112:113], v[108:109]
	v_mov_b32_e32 v100, s12
	s_or_b64 s[8:9], vcc, s[8:9]
	v_fmac_f64_e32 v[98:99], v[104:105], v[110:111]
	s_andn2_b64 exec, exec, s[8:9]
	s_cbranch_execnz .LBB15_185
; %bb.186:
	s_or_b64 exec, exec, s[8:9]
.LBB15_187:
	s_or_b64 exec, exec, s[2:3]
	v_and_b32_e32 v102, 7, v101
	v_cmp_ne_u32_e32 vcc, 0, v102
	s_and_saveexec_b64 s[8:9], vcc
	s_cbranch_execz .LBB15_191
; %bb.188:
	v_mov_b32_e32 v101, 0x80
	v_lshl_add_u32 v104, v100, 3, v101
	v_mov_b32_e32 v101, 0
	s_mov_b64 s[10:11], 0
.LBB15_189:                             ; =>This Inner Loop Header: Depth=1
	v_cmp_eq_u32_e32 vcc, 1, v100
	v_add_u32_e32 v102, -1, v102
	v_cmp_eq_u32_e64 s[2:3], 2, v100
	v_cndmask_b32_e32 v105, v35, v37, vcc
	v_cndmask_b32_e32 v108, v34, v36, vcc
	v_cndmask_b32_e64 v105, v105, v39, s[2:3]
	v_cmp_eq_u32_e32 vcc, 0, v102
	v_cmp_eq_u32_e64 s[4:5], 3, v100
	v_cndmask_b32_e64 v108, v108, v38, s[2:3]
	s_or_b64 s[10:11], vcc, s[10:11]
	v_cndmask_b32_e64 v105, v105, v41, s[4:5]
	v_cmp_eq_u32_e32 vcc, 4, v100
	v_cndmask_b32_e64 v108, v108, v40, s[4:5]
	v_cmp_eq_u32_e64 s[2:3], 5, v100
	v_cndmask_b32_e32 v105, v105, v43, vcc
	v_cndmask_b32_e32 v108, v108, v42, vcc
	v_cndmask_b32_e64 v105, v105, v45, s[2:3]
	v_cmp_eq_u32_e32 vcc, 6, v100
	v_cndmask_b32_e64 v108, v108, v44, s[2:3]
	v_cmp_eq_u32_e64 s[2:3], 7, v100
	v_cndmask_b32_e32 v105, v105, v47, vcc
	v_cndmask_b32_e32 v108, v108, v46, vcc
	;; [unrolled: 6-line block ×4, first 2 shown]
	v_cndmask_b32_e64 v105, v105, v57, s[2:3]
	v_cmp_eq_u32_e32 vcc, 12, v100
	ds_read_b64 v[106:107], v104
	v_cndmask_b32_e64 v108, v108, v56, s[2:3]
	v_cndmask_b32_e32 v105, v105, v59, vcc
	v_cmp_eq_u32_e64 s[2:3], 13, v100
	v_cndmask_b32_e32 v108, v108, v58, vcc
	v_cmp_eq_u32_e32 vcc, 14, v100
	v_cndmask_b32_e64 v105, v105, v61, s[2:3]
	v_cmp_eq_u32_e64 s[4:5], 15, v100
	v_cndmask_b32_e32 v105, v105, v63, vcc
	v_cndmask_b32_e64 v108, v108, v60, s[2:3]
	v_cndmask_b32_e64 v109, v105, v65, s[4:5]
	v_cndmask_b32_e32 v105, v108, v62, vcc
	v_cndmask_b32_e64 v108, v105, v64, s[4:5]
	v_add_u32_e32 v104, 8, v104
	v_lshl_add_u64 v[100:101], v[100:101], 0, 1
	s_waitcnt lgkmcnt(0)
	v_fmac_f64_e32 v[98:99], v[108:109], v[106:107]
	s_andn2_b64 exec, exec, s[10:11]
	s_cbranch_execnz .LBB15_189
; %bb.190:
	s_or_b64 exec, exec, s[10:11]
.LBB15_191:
	s_or_b64 exec, exec, s[8:9]
.LBB15_192:
	s_or_b64 exec, exec, s[6:7]
	v_mov_b32_e32 v38, 0
	ds_read_b64 v[38:39], v38 offset:16
	s_waitcnt lgkmcnt(0)
	v_mul_f64 v[38:39], v[98:99], v[38:39]
.LBB15_193:
	s_or_b64 exec, exec, s[36:37]
	v_cmp_lt_u32_e64 s[2:3], 1, v0
	ds_write_b64 v103, v[36:37]
	s_waitcnt lgkmcnt(0)
	; wave barrier
	s_and_saveexec_b64 s[36:37], s[2:3]
	s_cbranch_execz .LBB15_209
; %bb.194:
	s_andn2_b64 vcc, exec, s[34:35]
	s_cbranch_vccnz .LBB15_196
; %bb.195:
	v_cmp_eq_u32_e32 vcc, 1, v0
	v_cmp_eq_u32_e64 s[4:5], 2, v0
	v_cmp_eq_u32_e64 s[6:7], 3, v0
	v_cndmask_b32_e32 v98, v35, v37, vcc
	v_cndmask_b32_e64 v98, v98, v39, s[4:5]
	v_cndmask_b32_e64 v98, v98, v41, s[6:7]
	v_cmp_eq_u32_e64 s[8:9], 4, v0
	v_cmp_eq_u32_e64 s[10:11], 5, v0
	v_cmp_eq_u32_e64 s[12:13], 6, v0
	v_cndmask_b32_e64 v98, v98, v43, s[8:9]
	v_cndmask_b32_e64 v98, v98, v45, s[10:11]
	v_cndmask_b32_e64 v98, v98, v47, s[12:13]
	v_cmp_eq_u32_e64 s[14:15], 7, v0
	v_cmp_eq_u32_e64 s[16:17], 8, v0
	v_cmp_eq_u32_e64 s[18:19], 9, v0
	v_cndmask_b32_e64 v98, v98, v49, s[14:15]
	;; [unrolled: 6-line block ×4, first 2 shown]
	v_cndmask_b32_e64 v98, v98, v63, s[28:29]
	v_cndmask_b32_e64 v99, v98, v65, s[30:31]
	v_cndmask_b32_e32 v98, v34, v36, vcc
	v_cndmask_b32_e64 v98, v98, v38, s[4:5]
	v_cndmask_b32_e64 v98, v98, v40, s[6:7]
	;; [unrolled: 1-line block ×10, first 2 shown]
	ds_read_b64 v[100:101], v103
	v_cndmask_b32_e64 v98, v98, v58, s[24:25]
	v_cndmask_b32_e64 v98, v98, v60, s[26:27]
	;; [unrolled: 1-line block ×4, first 2 shown]
	s_waitcnt lgkmcnt(0)
	v_mul_f64 v[98:99], v[98:99], v[100:101]
	s_cbranch_execz .LBB15_197
	s_branch .LBB15_198
.LBB15_196:
                                        ; implicit-def: $vgpr98_vgpr99
.LBB15_197:
	ds_read_b64 v[98:99], v103
.LBB15_198:
	s_and_saveexec_b64 s[6:7], s[0:1]
	s_cbranch_execz .LBB15_208
; %bb.199:
	v_add_u32_e32 v100, -3, v0
	v_add_u32_e32 v101, -2, v0
	v_cmp_lt_u32_e32 vcc, 6, v100
	v_mov_b32_e32 v100, 2
	s_and_saveexec_b64 s[0:1], vcc
	s_cbranch_execz .LBB15_203
; %bb.200:
	v_and_b32_e32 v100, -8, v101
	v_sub_u32_e32 v102, 0, v100
	s_mov_b64 s[4:5], 9
	s_movk_i32 s10, 0x90
	s_mov_b64 s[8:9], 0
.LBB15_201:                             ; =>This Inner Loop Header: Depth=1
	s_lshl_b32 s11, s4, 1
	s_add_i32 s12, s11, -13
	s_add_i32 s13, s11, -14
	s_set_gpr_idx_on s12, gpr_idx(SRC0)
	v_mov_b32_e32 v121, v34
	s_set_gpr_idx_off
	v_mov_b32_e32 v100, s10
	s_add_i32 s14, s11, -11
	s_set_gpr_idx_on s13, gpr_idx(SRC0)
	v_mov_b32_e32 v120, v34
	s_set_gpr_idx_off
	s_add_i32 s15, s11, -12
	ds_read_b128 v[104:107], v100
	ds_read_b128 v[108:111], v100 offset:16
	ds_read_b128 v[112:115], v100 offset:32
	;; [unrolled: 1-line block ×3, first 2 shown]
	s_set_gpr_idx_on s14, gpr_idx(SRC0)
	v_mov_b32_e32 v123, v34
	s_set_gpr_idx_off
	s_add_i32 s16, s11, -9
	s_set_gpr_idx_on s15, gpr_idx(SRC0)
	v_mov_b32_e32 v122, v34
	s_set_gpr_idx_off
	s_add_i32 s17, s11, -10
	;; [unrolled: 4-line block ×4, first 2 shown]
	s_waitcnt lgkmcnt(3)
	v_fmac_f64_e32 v[98:99], v[120:121], v[104:105]
	s_set_gpr_idx_on s18, gpr_idx(SRC0)
	v_mov_b32_e32 v105, v34
	s_set_gpr_idx_off
	s_add_i32 s20, s11, -5
	v_fmac_f64_e32 v[98:99], v[122:123], v[106:107]
	s_set_gpr_idx_on s19, gpr_idx(SRC0)
	v_mov_b32_e32 v104, v34
	s_set_gpr_idx_off
	s_add_i32 s21, s11, -6
	s_waitcnt lgkmcnt(2)
	v_fmac_f64_e32 v[98:99], v[124:125], v[108:109]
	s_set_gpr_idx_on s20, gpr_idx(SRC0)
	v_mov_b32_e32 v107, v34
	s_set_gpr_idx_off
	s_add_i32 s22, s11, -3
	v_fmac_f64_e32 v[98:99], v[104:105], v[110:111]
	s_set_gpr_idx_on s21, gpr_idx(SRC0)
	v_mov_b32_e32 v106, v34
	s_set_gpr_idx_off
	s_add_i32 s23, s11, -4
	s_waitcnt lgkmcnt(1)
	v_fmac_f64_e32 v[98:99], v[106:107], v[112:113]
	s_set_gpr_idx_on s22, gpr_idx(SRC0)
	v_mov_b32_e32 v105, v34
	s_set_gpr_idx_off
	s_add_i32 s24, s11, -1
	s_set_gpr_idx_on s23, gpr_idx(SRC0)
	v_mov_b32_e32 v104, v34
	s_set_gpr_idx_off
	s_add_i32 s25, s11, -2
	v_fmac_f64_e32 v[98:99], v[104:105], v[114:115]
	s_set_gpr_idx_on s24, gpr_idx(SRC0)
	v_mov_b32_e32 v105, v34
	s_set_gpr_idx_off
	s_add_u32 s4, s4, 8
	s_set_gpr_idx_on s25, gpr_idx(SRC0)
	v_mov_b32_e32 v104, v34
	s_set_gpr_idx_off
	v_add_u32_e32 v100, s4, v102
	s_waitcnt lgkmcnt(0)
	v_fmac_f64_e32 v[98:99], v[104:105], v[116:117]
	s_set_gpr_idx_on s11, gpr_idx(SRC0)
	v_mov_b32_e32 v105, v35
	s_set_gpr_idx_off
	s_addc_u32 s5, s5, 0
	s_add_i32 s10, s10, 64
	s_add_i32 s12, s4, -7
	v_cmp_eq_u32_e32 vcc, 9, v100
	s_set_gpr_idx_on s11, gpr_idx(SRC0)
	v_mov_b32_e32 v104, v34
	s_set_gpr_idx_off
	v_mov_b32_e32 v100, s12
	s_or_b64 s[8:9], vcc, s[8:9]
	v_fmac_f64_e32 v[98:99], v[104:105], v[118:119]
	s_andn2_b64 exec, exec, s[8:9]
	s_cbranch_execnz .LBB15_201
; %bb.202:
	s_or_b64 exec, exec, s[8:9]
.LBB15_203:
	s_or_b64 exec, exec, s[0:1]
	v_and_b32_e32 v102, 7, v101
	v_cmp_ne_u32_e32 vcc, 0, v102
	s_and_saveexec_b64 s[8:9], vcc
	s_cbranch_execz .LBB15_207
; %bb.204:
	v_mov_b32_e32 v101, 0x80
	v_lshl_add_u32 v104, v100, 3, v101
	v_mov_b32_e32 v101, 0
	s_mov_b64 s[10:11], 0
.LBB15_205:                             ; =>This Inner Loop Header: Depth=1
	v_cmp_eq_u32_e32 vcc, 1, v100
	v_add_u32_e32 v102, -1, v102
	v_cmp_eq_u32_e64 s[0:1], 2, v100
	v_cndmask_b32_e32 v105, v35, v37, vcc
	v_cndmask_b32_e32 v108, v34, v36, vcc
	v_cndmask_b32_e64 v105, v105, v39, s[0:1]
	v_cmp_eq_u32_e32 vcc, 0, v102
	v_cmp_eq_u32_e64 s[4:5], 3, v100
	v_cndmask_b32_e64 v108, v108, v38, s[0:1]
	s_or_b64 s[10:11], vcc, s[10:11]
	v_cndmask_b32_e64 v105, v105, v41, s[4:5]
	v_cmp_eq_u32_e32 vcc, 4, v100
	v_cndmask_b32_e64 v108, v108, v40, s[4:5]
	v_cmp_eq_u32_e64 s[0:1], 5, v100
	v_cndmask_b32_e32 v105, v105, v43, vcc
	v_cndmask_b32_e32 v108, v108, v42, vcc
	v_cndmask_b32_e64 v105, v105, v45, s[0:1]
	v_cmp_eq_u32_e32 vcc, 6, v100
	v_cndmask_b32_e64 v108, v108, v44, s[0:1]
	v_cmp_eq_u32_e64 s[0:1], 7, v100
	v_cndmask_b32_e32 v105, v105, v47, vcc
	v_cndmask_b32_e32 v108, v108, v46, vcc
	;; [unrolled: 6-line block ×4, first 2 shown]
	v_cndmask_b32_e64 v105, v105, v57, s[0:1]
	v_cmp_eq_u32_e32 vcc, 12, v100
	ds_read_b64 v[106:107], v104
	v_cndmask_b32_e64 v108, v108, v56, s[0:1]
	v_cndmask_b32_e32 v105, v105, v59, vcc
	v_cmp_eq_u32_e64 s[0:1], 13, v100
	v_cndmask_b32_e32 v108, v108, v58, vcc
	v_cmp_eq_u32_e32 vcc, 14, v100
	v_cndmask_b32_e64 v105, v105, v61, s[0:1]
	v_cmp_eq_u32_e64 s[4:5], 15, v100
	v_cndmask_b32_e32 v105, v105, v63, vcc
	v_cndmask_b32_e64 v108, v108, v60, s[0:1]
	v_cndmask_b32_e64 v109, v105, v65, s[4:5]
	v_cndmask_b32_e32 v105, v108, v62, vcc
	v_cndmask_b32_e64 v108, v105, v64, s[4:5]
	v_add_u32_e32 v104, 8, v104
	v_lshl_add_u64 v[100:101], v[100:101], 0, 1
	s_waitcnt lgkmcnt(0)
	v_fmac_f64_e32 v[98:99], v[108:109], v[106:107]
	s_andn2_b64 exec, exec, s[10:11]
	s_cbranch_execnz .LBB15_205
; %bb.206:
	s_or_b64 exec, exec, s[10:11]
.LBB15_207:
	s_or_b64 exec, exec, s[8:9]
.LBB15_208:
	s_or_b64 exec, exec, s[6:7]
	v_mov_b32_e32 v36, 0
	ds_read_b64 v[36:37], v36 offset:8
	s_waitcnt lgkmcnt(0)
	v_mul_f64 v[36:37], v[98:99], v[36:37]
.LBB15_209:
	s_or_b64 exec, exec, s[36:37]
	v_cmp_ne_u32_e32 vcc, 0, v0
	ds_write_b64 v103, v[34:35]
	s_waitcnt lgkmcnt(0)
	; wave barrier
	s_and_saveexec_b64 s[30:31], vcc
	s_cbranch_execz .LBB15_225
; %bb.210:
	s_andn2_b64 vcc, exec, s[34:35]
	s_cbranch_vccnz .LBB15_212
; %bb.211:
	v_cmp_eq_u32_e32 vcc, 1, v0
	v_cmp_eq_u32_e64 s[0:1], 2, v0
	v_cmp_eq_u32_e64 s[4:5], 3, v0
	v_cndmask_b32_e32 v98, v35, v37, vcc
	v_cndmask_b32_e64 v98, v98, v39, s[0:1]
	v_cndmask_b32_e64 v98, v98, v41, s[4:5]
	v_cmp_eq_u32_e64 s[6:7], 4, v0
	v_cmp_eq_u32_e64 s[8:9], 5, v0
	v_cmp_eq_u32_e64 s[10:11], 6, v0
	v_cndmask_b32_e64 v98, v98, v43, s[6:7]
	v_cndmask_b32_e64 v98, v98, v45, s[8:9]
	v_cndmask_b32_e64 v98, v98, v47, s[10:11]
	v_cmp_eq_u32_e64 s[12:13], 7, v0
	v_cmp_eq_u32_e64 s[14:15], 8, v0
	v_cmp_eq_u32_e64 s[16:17], 9, v0
	v_cndmask_b32_e64 v98, v98, v49, s[12:13]
	;; [unrolled: 6-line block ×4, first 2 shown]
	v_cndmask_b32_e64 v98, v98, v63, s[26:27]
	v_cndmask_b32_e64 v99, v98, v65, s[28:29]
	v_cndmask_b32_e32 v98, v34, v36, vcc
	v_cndmask_b32_e64 v98, v98, v38, s[0:1]
	v_cndmask_b32_e64 v98, v98, v40, s[4:5]
	;; [unrolled: 1-line block ×10, first 2 shown]
	ds_read_b64 v[100:101], v103
	v_cndmask_b32_e64 v98, v98, v58, s[22:23]
	v_cndmask_b32_e64 v98, v98, v60, s[24:25]
	;; [unrolled: 1-line block ×4, first 2 shown]
	s_waitcnt lgkmcnt(0)
	v_mul_f64 v[98:99], v[98:99], v[100:101]
	s_cbranch_execz .LBB15_213
	s_branch .LBB15_214
.LBB15_212:
                                        ; implicit-def: $vgpr98_vgpr99
.LBB15_213:
	ds_read_b64 v[98:99], v103
.LBB15_214:
	s_and_saveexec_b64 s[4:5], s[2:3]
	s_cbranch_execz .LBB15_224
; %bb.215:
	v_add_u32_e32 v100, -2, v0
	v_add_u32_e32 v101, -1, v0
	v_cmp_lt_u32_e32 vcc, 6, v100
	v_mov_b32_e32 v100, 1
	s_and_saveexec_b64 s[0:1], vcc
	s_cbranch_execz .LBB15_219
; %bb.216:
	v_and_b32_e32 v100, -8, v101
	v_sub_u32_e32 v102, 0, v100
	s_mov_b64 s[2:3], 8
	s_movk_i32 s8, 0x88
	s_mov_b64 s[6:7], 0
.LBB15_217:                             ; =>This Inner Loop Header: Depth=1
	s_lshl_b32 s9, s2, 1
	s_add_i32 s10, s9, -13
	v_mov_b32_e32 v118, s8
	s_add_i32 s11, s9, -14
	s_set_gpr_idx_on s10, gpr_idx(SRC0)
	v_mov_b32_e32 v113, v34
	s_set_gpr_idx_off
	s_add_i32 s12, s9, -11
	s_set_gpr_idx_on s11, gpr_idx(SRC0)
	v_mov_b32_e32 v112, v34
	s_set_gpr_idx_off
	ds_read2_b64 v[104:107], v118 offset1:1
	s_add_i32 s13, s9, -12
	s_set_gpr_idx_on s12, gpr_idx(SRC0)
	v_mov_b32_e32 v115, v34
	s_set_gpr_idx_off
	s_add_i32 s14, s9, -9
	s_set_gpr_idx_on s13, gpr_idx(SRC0)
	v_mov_b32_e32 v114, v34
	s_set_gpr_idx_off
	;; [unrolled: 4-line block ×4, first 2 shown]
	ds_read2_b64 v[108:111], v118 offset0:2 offset1:3
	s_add_i32 s17, s9, -8
	s_waitcnt lgkmcnt(1)
	v_fmac_f64_e32 v[98:99], v[112:113], v[104:105]
	s_set_gpr_idx_on s16, gpr_idx(SRC0)
	v_mov_b32_e32 v113, v34
	s_set_gpr_idx_off
	s_add_i32 s18, s9, -5
	v_fmac_f64_e32 v[98:99], v[114:115], v[106:107]
	s_set_gpr_idx_on s17, gpr_idx(SRC0)
	v_mov_b32_e32 v112, v34
	s_set_gpr_idx_off
	s_add_i32 s19, s9, -6
	s_set_gpr_idx_on s18, gpr_idx(SRC0)
	v_mov_b32_e32 v115, v34
	s_set_gpr_idx_off
	s_add_i32 s20, s9, -3
	;; [unrolled: 4-line block ×3, first 2 shown]
	ds_read2_b64 v[104:107], v118 offset0:4 offset1:5
	s_waitcnt lgkmcnt(1)
	v_fmac_f64_e32 v[98:99], v[116:117], v[108:109]
	s_set_gpr_idx_on s20, gpr_idx(SRC0)
	v_mov_b32_e32 v117, v34
	s_set_gpr_idx_off
	s_add_i32 s22, s9, -1
	v_fmac_f64_e32 v[98:99], v[112:113], v[110:111]
	s_set_gpr_idx_on s21, gpr_idx(SRC0)
	v_mov_b32_e32 v116, v34
	s_set_gpr_idx_off
	s_add_i32 s23, s9, -2
	s_set_gpr_idx_on s22, gpr_idx(SRC0)
	v_mov_b32_e32 v113, v34
	s_set_gpr_idx_off
	s_set_gpr_idx_on s23, gpr_idx(SRC0)
	v_mov_b32_e32 v112, v34
	s_set_gpr_idx_off
	ds_read2_b64 v[108:111], v118 offset0:6 offset1:7
	s_add_u32 s2, s2, 8
	s_waitcnt lgkmcnt(1)
	v_fmac_f64_e32 v[98:99], v[114:115], v[104:105]
	s_set_gpr_idx_on s9, gpr_idx(SRC0)
	v_mov_b32_e32 v105, v35
	s_set_gpr_idx_off
	v_add_u32_e32 v100, s2, v102
	v_fmac_f64_e32 v[98:99], v[116:117], v[106:107]
	s_set_gpr_idx_on s9, gpr_idx(SRC0)
	v_mov_b32_e32 v104, v34
	s_set_gpr_idx_off
	s_addc_u32 s3, s3, 0
	s_add_i32 s8, s8, 64
	s_add_i32 s10, s2, -7
	v_cmp_eq_u32_e32 vcc, 8, v100
	s_waitcnt lgkmcnt(0)
	v_fmac_f64_e32 v[98:99], v[112:113], v[108:109]
	v_mov_b32_e32 v100, s10
	s_or_b64 s[6:7], vcc, s[6:7]
	v_fmac_f64_e32 v[98:99], v[104:105], v[110:111]
	s_andn2_b64 exec, exec, s[6:7]
	s_cbranch_execnz .LBB15_217
; %bb.218:
	s_or_b64 exec, exec, s[6:7]
.LBB15_219:
	s_or_b64 exec, exec, s[0:1]
	v_and_b32_e32 v102, 7, v101
	v_cmp_ne_u32_e32 vcc, 0, v102
	s_and_saveexec_b64 s[6:7], vcc
	s_cbranch_execz .LBB15_223
; %bb.220:
	v_mov_b32_e32 v101, 0x80
	v_lshl_add_u32 v104, v100, 3, v101
	v_mov_b32_e32 v101, 0
	s_mov_b64 s[8:9], 0
.LBB15_221:                             ; =>This Inner Loop Header: Depth=1
	v_cmp_eq_u32_e32 vcc, 1, v100
	v_add_u32_e32 v102, -1, v102
	v_cmp_eq_u32_e64 s[0:1], 2, v100
	v_cndmask_b32_e32 v105, v35, v37, vcc
	v_cndmask_b32_e32 v108, v34, v36, vcc
	v_cndmask_b32_e64 v105, v105, v39, s[0:1]
	v_cmp_eq_u32_e32 vcc, 0, v102
	v_cmp_eq_u32_e64 s[2:3], 3, v100
	v_cndmask_b32_e64 v108, v108, v38, s[0:1]
	s_or_b64 s[8:9], vcc, s[8:9]
	v_cndmask_b32_e64 v105, v105, v41, s[2:3]
	v_cmp_eq_u32_e32 vcc, 4, v100
	v_cndmask_b32_e64 v108, v108, v40, s[2:3]
	v_cmp_eq_u32_e64 s[0:1], 5, v100
	v_cndmask_b32_e32 v105, v105, v43, vcc
	v_cndmask_b32_e32 v108, v108, v42, vcc
	v_cndmask_b32_e64 v105, v105, v45, s[0:1]
	v_cmp_eq_u32_e32 vcc, 6, v100
	v_cndmask_b32_e64 v108, v108, v44, s[0:1]
	v_cmp_eq_u32_e64 s[0:1], 7, v100
	v_cndmask_b32_e32 v105, v105, v47, vcc
	v_cndmask_b32_e32 v108, v108, v46, vcc
	v_cndmask_b32_e64 v105, v105, v49, s[0:1]
	v_cmp_eq_u32_e32 vcc, 8, v100
	v_cndmask_b32_e64 v108, v108, v48, s[0:1]
	v_cmp_eq_u32_e64 s[0:1], 9, v100
	v_cndmask_b32_e32 v105, v105, v51, vcc
	v_cndmask_b32_e32 v108, v108, v50, vcc
	v_cndmask_b32_e64 v105, v105, v53, s[0:1]
	v_cmp_eq_u32_e32 vcc, 10, v100
	v_cndmask_b32_e64 v108, v108, v52, s[0:1]
	v_cmp_eq_u32_e64 s[0:1], 11, v100
	v_cndmask_b32_e32 v105, v105, v55, vcc
	v_cndmask_b32_e32 v108, v108, v54, vcc
	v_cndmask_b32_e64 v105, v105, v57, s[0:1]
	v_cmp_eq_u32_e32 vcc, 12, v100
	ds_read_b64 v[106:107], v104
	v_cndmask_b32_e64 v108, v108, v56, s[0:1]
	v_cndmask_b32_e32 v105, v105, v59, vcc
	v_cmp_eq_u32_e64 s[0:1], 13, v100
	v_cndmask_b32_e32 v108, v108, v58, vcc
	v_cmp_eq_u32_e32 vcc, 14, v100
	v_cndmask_b32_e64 v105, v105, v61, s[0:1]
	v_cmp_eq_u32_e64 s[2:3], 15, v100
	v_cndmask_b32_e32 v105, v105, v63, vcc
	v_cndmask_b32_e64 v108, v108, v60, s[0:1]
	v_cndmask_b32_e64 v109, v105, v65, s[2:3]
	v_cndmask_b32_e32 v105, v108, v62, vcc
	v_cndmask_b32_e64 v108, v105, v64, s[2:3]
	v_add_u32_e32 v104, 8, v104
	v_lshl_add_u64 v[100:101], v[100:101], 0, 1
	s_waitcnt lgkmcnt(0)
	v_fmac_f64_e32 v[98:99], v[108:109], v[106:107]
	s_andn2_b64 exec, exec, s[8:9]
	s_cbranch_execnz .LBB15_221
; %bb.222:
	s_or_b64 exec, exec, s[8:9]
.LBB15_223:
	s_or_b64 exec, exec, s[6:7]
.LBB15_224:
	s_or_b64 exec, exec, s[4:5]
	v_mov_b32_e32 v34, 0
	ds_read_b64 v[34:35], v34
	s_waitcnt lgkmcnt(0)
	v_mul_f64 v[34:35], v[98:99], v[34:35]
.LBB15_225:
	s_or_b64 exec, exec, s[30:31]
	s_branch .LBB15_379
.LBB15_226:
	v_cmp_eq_u32_e64 s[2:3], 0, v0
	s_waitcnt vmcnt(15)
	ds_write_b64 v103, v[4:5]
	s_waitcnt lgkmcnt(0)
	; wave barrier
	s_and_saveexec_b64 s[30:31], s[2:3]
	s_cbranch_execz .LBB15_232
; %bb.227:
	s_and_b64 vcc, exec, s[34:35]
	s_cbranch_vccz .LBB15_229
; %bb.228:
	v_cmp_eq_u32_e32 vcc, 1, v0
	v_cmp_eq_u32_e64 s[0:1], 2, v0
	v_cmp_eq_u32_e64 s[4:5], 3, v0
	s_waitcnt vmcnt(3)
	v_cndmask_b32_e32 v5, v3, v5, vcc
	v_cndmask_b32_e32 v4, v2, v4, vcc
	v_cndmask_b32_e64 v5, v5, v7, s[0:1]
	v_cndmask_b32_e64 v4, v4, v6, s[0:1]
	v_cndmask_b32_e64 v5, v5, v9, s[4:5]
	v_cmp_eq_u32_e64 s[6:7], 4, v0
	v_cndmask_b32_e64 v4, v4, v8, s[4:5]
	v_cmp_eq_u32_e64 s[8:9], 5, v0
	v_cndmask_b32_e64 v5, v5, v11, s[6:7]
	v_cndmask_b32_e64 v4, v4, v10, s[6:7]
	v_cndmask_b32_e64 v5, v5, v13, s[8:9]
	v_cmp_eq_u32_e64 s[10:11], 6, v0
	v_cndmask_b32_e64 v4, v4, v12, s[8:9]
	v_cmp_eq_u32_e64 s[12:13], 7, v0
	;; [unrolled: 6-line block ×4, first 2 shown]
	v_cndmask_b32_e64 v5, v5, v23, s[18:19]
	v_cndmask_b32_e64 v4, v4, v22, s[18:19]
	v_cndmask_b32_e64 v5, v5, v25, s[20:21]
	v_cmp_eq_u32_e64 s[22:23], 12, v0
	v_cndmask_b32_e64 v4, v4, v24, s[20:21]
	ds_read_b64 v[34:35], v103
	v_cndmask_b32_e64 v5, v5, v27, s[22:23]
	v_cmp_eq_u32_e64 s[24:25], 13, v0
	v_cndmask_b32_e64 v4, v4, v26, s[22:23]
	v_cmp_eq_u32_e64 s[26:27], 14, v0
	s_waitcnt vmcnt(2)
	v_cndmask_b32_e64 v5, v5, v29, s[24:25]
	v_cndmask_b32_e64 v4, v4, v28, s[24:25]
	s_waitcnt vmcnt(1)
	v_cndmask_b32_e64 v5, v5, v31, s[26:27]
	v_cmp_eq_u32_e64 s[28:29], 15, v0
	v_cndmask_b32_e64 v4, v4, v30, s[26:27]
	s_waitcnt vmcnt(0)
	v_cndmask_b32_e64 v5, v5, v33, s[28:29]
	v_cndmask_b32_e64 v4, v4, v32, s[28:29]
	s_waitcnt lgkmcnt(0)
	v_mul_f64 v[4:5], v[4:5], v[34:35]
	s_cbranch_execz .LBB15_230
	s_branch .LBB15_231
.LBB15_229:
                                        ; implicit-def: $vgpr4_vgpr5
.LBB15_230:
	ds_read_b64 v[4:5], v103
.LBB15_231:
	v_mov_b32_e32 v34, 0
	ds_read_b64 v[34:35], v34 offset:8
	s_waitcnt lgkmcnt(0)
	v_mul_f64 v[4:5], v[4:5], v[34:35]
.LBB15_232:
	s_or_b64 exec, exec, s[30:31]
	v_cndmask_b32_e64 v34, 0, 1, s[34:35]
	v_cmp_gt_u32_e32 vcc, 2, v0
	v_cmp_ne_u32_e64 s[0:1], 1, v34
	s_waitcnt vmcnt(14)
	ds_write_b64 v103, v[6:7]
	s_waitcnt lgkmcnt(0)
	; wave barrier
	s_and_saveexec_b64 s[34:35], vcc
	s_cbranch_execz .LBB15_238
; %bb.233:
	s_and_b64 vcc, exec, s[0:1]
	s_cbranch_vccnz .LBB15_235
; %bb.234:
	v_cmp_eq_u32_e32 vcc, 1, v0
	v_cmp_eq_u32_e64 s[4:5], 2, v0
	v_cmp_eq_u32_e64 s[6:7], 3, v0
	s_waitcnt vmcnt(3)
	v_cndmask_b32_e32 v34, v3, v5, vcc
	v_cndmask_b32_e64 v7, v34, v7, s[4:5]
	v_cndmask_b32_e32 v34, v2, v4, vcc
	v_cndmask_b32_e64 v6, v34, v6, s[4:5]
	v_cndmask_b32_e64 v7, v7, v9, s[6:7]
	v_cmp_eq_u32_e64 s[8:9], 4, v0
	v_cndmask_b32_e64 v6, v6, v8, s[6:7]
	v_cmp_eq_u32_e64 s[10:11], 5, v0
	v_cndmask_b32_e64 v7, v7, v11, s[8:9]
	v_cndmask_b32_e64 v6, v6, v10, s[8:9]
	v_cndmask_b32_e64 v7, v7, v13, s[10:11]
	v_cmp_eq_u32_e64 s[12:13], 6, v0
	v_cndmask_b32_e64 v6, v6, v12, s[10:11]
	v_cmp_eq_u32_e64 s[14:15], 7, v0
	v_cndmask_b32_e64 v7, v7, v15, s[12:13]
	;; [unrolled: 6-line block ×4, first 2 shown]
	v_cndmask_b32_e64 v6, v6, v22, s[20:21]
	v_cndmask_b32_e64 v7, v7, v25, s[22:23]
	v_cmp_eq_u32_e64 s[24:25], 12, v0
	v_cndmask_b32_e64 v6, v6, v24, s[22:23]
	ds_read_b64 v[34:35], v103
	v_cndmask_b32_e64 v7, v7, v27, s[24:25]
	v_cmp_eq_u32_e64 s[26:27], 13, v0
	v_cndmask_b32_e64 v6, v6, v26, s[24:25]
	v_cmp_eq_u32_e64 s[28:29], 14, v0
	s_waitcnt vmcnt(2)
	v_cndmask_b32_e64 v7, v7, v29, s[26:27]
	v_cndmask_b32_e64 v6, v6, v28, s[26:27]
	s_waitcnt vmcnt(1)
	v_cndmask_b32_e64 v7, v7, v31, s[28:29]
	v_cmp_eq_u32_e64 s[30:31], 15, v0
	v_cndmask_b32_e64 v6, v6, v30, s[28:29]
	s_waitcnt vmcnt(0)
	v_cndmask_b32_e64 v7, v7, v33, s[30:31]
	v_cndmask_b32_e64 v6, v6, v32, s[30:31]
	s_waitcnt lgkmcnt(0)
	v_mul_f64 v[6:7], v[6:7], v[34:35]
	s_cbranch_execz .LBB15_236
	s_branch .LBB15_237
.LBB15_235:
                                        ; implicit-def: $vgpr6_vgpr7
.LBB15_236:
	ds_read_b64 v[6:7], v103
.LBB15_237:
	v_mov_b32_e32 v34, 0
	ds_read2_b64 v[34:37], v34 offset0:2 offset1:17
	s_waitcnt lgkmcnt(0)
	v_fma_f64 v[36:37], v[4:5], v[36:37], v[6:7]
	v_cndmask_b32_e64 v7, v7, v37, s[2:3]
	v_cndmask_b32_e64 v6, v6, v36, s[2:3]
	v_mul_f64 v[6:7], v[6:7], v[34:35]
.LBB15_238:
	s_or_b64 exec, exec, s[34:35]
	v_add_u32_e32 v38, 1, v0
	v_cmp_gt_u32_e64 s[4:5], 3, v0
	s_waitcnt vmcnt(13)
	ds_write_b64 v103, v[8:9]
	s_waitcnt lgkmcnt(0)
	; wave barrier
	s_and_saveexec_b64 s[36:37], s[4:5]
	s_cbranch_execz .LBB15_246
; %bb.239:
	s_and_b64 vcc, exec, s[0:1]
	s_cbranch_vccnz .LBB15_241
; %bb.240:
	v_cmp_eq_u32_e32 vcc, 1, v0
	v_cmp_eq_u32_e64 s[6:7], 2, v0
	v_cmp_eq_u32_e64 s[8:9], 3, v0
	s_waitcnt vmcnt(3)
	v_cndmask_b32_e32 v34, v3, v5, vcc
	v_cndmask_b32_e64 v34, v34, v7, s[6:7]
	v_cndmask_b32_e64 v34, v34, v9, s[8:9]
	v_cmp_eq_u32_e64 s[10:11], 4, v0
	v_cmp_eq_u32_e64 s[12:13], 5, v0
	v_cmp_eq_u32_e64 s[14:15], 6, v0
	v_cndmask_b32_e64 v34, v34, v11, s[10:11]
	v_cndmask_b32_e64 v34, v34, v13, s[12:13]
	v_cndmask_b32_e64 v34, v34, v15, s[14:15]
	v_cmp_eq_u32_e64 s[16:17], 7, v0
	v_cmp_eq_u32_e64 s[18:19], 8, v0
	v_cmp_eq_u32_e64 s[20:21], 9, v0
	v_cndmask_b32_e64 v34, v34, v17, s[16:17]
	;; [unrolled: 6-line block ×3, first 2 shown]
	v_cndmask_b32_e64 v34, v34, v25, s[24:25]
	v_cndmask_b32_e64 v34, v34, v27, s[26:27]
	v_cmp_eq_u32_e64 s[28:29], 13, v0
	v_cmp_eq_u32_e64 s[30:31], 14, v0
	;; [unrolled: 1-line block ×3, first 2 shown]
	s_waitcnt vmcnt(2)
	v_cndmask_b32_e64 v34, v34, v29, s[28:29]
	s_waitcnt vmcnt(1)
	v_cndmask_b32_e64 v34, v34, v31, s[30:31]
	;; [unrolled: 2-line block ×3, first 2 shown]
	v_cndmask_b32_e32 v34, v2, v4, vcc
	v_cndmask_b32_e64 v34, v34, v6, s[6:7]
	v_cndmask_b32_e64 v34, v34, v8, s[8:9]
	;; [unrolled: 1-line block ×10, first 2 shown]
	ds_read_b64 v[36:37], v103
	v_cndmask_b32_e64 v34, v34, v26, s[26:27]
	v_cndmask_b32_e64 v34, v34, v28, s[28:29]
	;; [unrolled: 1-line block ×4, first 2 shown]
	s_waitcnt lgkmcnt(0)
	v_mul_f64 v[34:35], v[34:35], v[36:37]
	s_cbranch_execz .LBB15_242
	s_branch .LBB15_243
.LBB15_241:
                                        ; implicit-def: $vgpr34_vgpr35
.LBB15_242:
	ds_read_b64 v[34:35], v103
.LBB15_243:
	v_cmp_ne_u32_e32 vcc, 2, v0
	s_and_saveexec_b64 s[38:39], vcc
	s_cbranch_execz .LBB15_245
; %bb.244:
	v_cmp_eq_u32_e32 vcc, 1, v38
	v_cmp_eq_u32_e64 s[6:7], 2, v38
	v_cmp_eq_u32_e64 s[8:9], 3, v38
	s_waitcnt vmcnt(3)
	v_cndmask_b32_e32 v36, v3, v5, vcc
	v_cndmask_b32_e64 v36, v36, v7, s[6:7]
	v_cndmask_b32_e64 v9, v36, v9, s[8:9]
	v_cndmask_b32_e32 v36, v2, v4, vcc
	v_cndmask_b32_e64 v36, v36, v6, s[6:7]
	v_cmp_eq_u32_e64 s[10:11], 4, v38
	v_cndmask_b32_e64 v8, v36, v8, s[8:9]
	v_cmp_eq_u32_e64 s[12:13], 5, v38
	v_cndmask_b32_e64 v9, v9, v11, s[10:11]
	v_cndmask_b32_e64 v8, v8, v10, s[10:11]
	v_cndmask_b32_e64 v9, v9, v13, s[12:13]
	v_cmp_eq_u32_e64 s[14:15], 6, v38
	v_cndmask_b32_e64 v8, v8, v12, s[12:13]
	v_cmp_eq_u32_e64 s[16:17], 7, v38
	v_cndmask_b32_e64 v9, v9, v15, s[14:15]
	v_cndmask_b32_e64 v8, v8, v14, s[14:15]
	;; [unrolled: 6-line block ×5, first 2 shown]
	v_mov_b32_e32 v39, 0
	ds_read_b64 v[36:37], v103 offset:8
	ds_read_b64 v[40:41], v39 offset:144
	s_waitcnt vmcnt(2)
	v_cndmask_b32_e64 v9, v9, v29, s[28:29]
	v_cmp_eq_u32_e64 s[30:31], 14, v38
	v_cndmask_b32_e64 v8, v8, v28, s[28:29]
	v_cmp_eq_u32_e64 s[34:35], 15, v38
	s_waitcnt vmcnt(1)
	v_cndmask_b32_e64 v9, v9, v31, s[30:31]
	v_cndmask_b32_e64 v8, v8, v30, s[30:31]
	s_waitcnt vmcnt(0)
	v_cndmask_b32_e64 v9, v9, v33, s[34:35]
	v_cndmask_b32_e64 v8, v8, v32, s[34:35]
	s_waitcnt lgkmcnt(1)
	v_fmac_f64_e32 v[34:35], v[8:9], v[36:37]
	s_waitcnt lgkmcnt(0)
	v_fma_f64 v[8:9], v[6:7], v[40:41], v[34:35]
	v_cndmask_b32_e64 v35, v35, v9, s[2:3]
	v_cndmask_b32_e64 v34, v34, v8, s[2:3]
.LBB15_245:
	s_or_b64 exec, exec, s[38:39]
	v_mov_b32_e32 v8, 0
	ds_read_b64 v[8:9], v8 offset:24
	s_waitcnt lgkmcnt(0)
	v_mul_f64 v[8:9], v[34:35], v[8:9]
.LBB15_246:
	s_or_b64 exec, exec, s[36:37]
	v_cmp_gt_u32_e32 vcc, 4, v0
	s_waitcnt vmcnt(12)
	ds_write_b64 v103, v[10:11]
	s_waitcnt lgkmcnt(0)
	; wave barrier
	s_and_saveexec_b64 s[36:37], vcc
	s_cbranch_execz .LBB15_256
; %bb.247:
	s_and_b64 vcc, exec, s[0:1]
	s_cbranch_vccnz .LBB15_249
; %bb.248:
	v_cmp_eq_u32_e32 vcc, 1, v0
	v_cmp_eq_u32_e64 s[6:7], 2, v0
	v_cmp_eq_u32_e64 s[8:9], 3, v0
	s_waitcnt vmcnt(3)
	v_cndmask_b32_e32 v34, v3, v5, vcc
	v_cndmask_b32_e64 v34, v34, v7, s[6:7]
	v_cndmask_b32_e64 v34, v34, v9, s[8:9]
	v_cmp_eq_u32_e64 s[10:11], 4, v0
	v_cmp_eq_u32_e64 s[12:13], 5, v0
	v_cmp_eq_u32_e64 s[14:15], 6, v0
	v_cndmask_b32_e64 v34, v34, v11, s[10:11]
	v_cndmask_b32_e64 v34, v34, v13, s[12:13]
	v_cndmask_b32_e64 v34, v34, v15, s[14:15]
	v_cmp_eq_u32_e64 s[16:17], 7, v0
	v_cmp_eq_u32_e64 s[18:19], 8, v0
	v_cmp_eq_u32_e64 s[20:21], 9, v0
	v_cndmask_b32_e64 v34, v34, v17, s[16:17]
	;; [unrolled: 6-line block ×3, first 2 shown]
	v_cndmask_b32_e64 v34, v34, v25, s[24:25]
	v_cndmask_b32_e64 v34, v34, v27, s[26:27]
	v_cmp_eq_u32_e64 s[28:29], 13, v0
	v_cmp_eq_u32_e64 s[30:31], 14, v0
	;; [unrolled: 1-line block ×3, first 2 shown]
	s_waitcnt vmcnt(2)
	v_cndmask_b32_e64 v34, v34, v29, s[28:29]
	s_waitcnt vmcnt(1)
	v_cndmask_b32_e64 v34, v34, v31, s[30:31]
	;; [unrolled: 2-line block ×3, first 2 shown]
	v_cndmask_b32_e32 v34, v2, v4, vcc
	v_cndmask_b32_e64 v34, v34, v6, s[6:7]
	v_cndmask_b32_e64 v34, v34, v8, s[8:9]
	;; [unrolled: 1-line block ×10, first 2 shown]
	ds_read_b64 v[36:37], v103
	v_cndmask_b32_e64 v34, v34, v26, s[26:27]
	v_cndmask_b32_e64 v34, v34, v28, s[28:29]
	;; [unrolled: 1-line block ×4, first 2 shown]
	s_waitcnt lgkmcnt(0)
	v_mul_f64 v[34:35], v[34:35], v[36:37]
	s_cbranch_execz .LBB15_250
	s_branch .LBB15_251
.LBB15_249:
                                        ; implicit-def: $vgpr34_vgpr35
.LBB15_250:
	ds_read_b64 v[34:35], v103
.LBB15_251:
	v_cmp_ne_u32_e32 vcc, 3, v0
	s_and_saveexec_b64 s[10:11], vcc
	s_cbranch_execz .LBB15_255
; %bb.252:
	v_mov_b32_e32 v36, 0x88
	v_lshl_add_u32 v39, v0, 3, v36
	s_mov_b64 s[12:13], 0
	v_mov_b64_e32 v[36:37], v[0:1]
.LBB15_253:                             ; =>This Inner Loop Header: Depth=1
	v_lshl_add_u64 v[36:37], v[36:37], 0, 1
	v_cmp_eq_u32_e32 vcc, 1, v36
	v_cmp_eq_u32_e64 s[8:9], 2, v36
	v_cmp_lt_u32_e64 s[6:7], 2, v36
	s_waitcnt vmcnt(3)
	v_cndmask_b32_e32 v42, v3, v5, vcc
	v_cndmask_b32_e64 v42, v42, v7, s[8:9]
	v_cndmask_b32_e32 v43, v2, v4, vcc
	v_cmp_eq_u32_e32 vcc, 3, v36
	s_or_b64 s[12:13], s[6:7], s[12:13]
	v_cndmask_b32_e64 v43, v43, v6, s[8:9]
	v_cndmask_b32_e32 v42, v42, v9, vcc
	v_cmp_eq_u32_e64 s[6:7], 4, v36
	v_cndmask_b32_e32 v43, v43, v8, vcc
	v_cmp_eq_u32_e32 vcc, 5, v36
	v_cndmask_b32_e64 v42, v42, v11, s[6:7]
	v_cndmask_b32_e64 v43, v43, v10, s[6:7]
	v_cndmask_b32_e32 v42, v42, v13, vcc
	v_cmp_eq_u32_e64 s[6:7], 6, v36
	v_cndmask_b32_e32 v43, v43, v12, vcc
	v_cmp_eq_u32_e32 vcc, 7, v36
	v_cndmask_b32_e64 v42, v42, v15, s[6:7]
	;; [unrolled: 6-line block ×4, first 2 shown]
	v_cndmask_b32_e64 v43, v43, v22, s[6:7]
	v_cndmask_b32_e32 v42, v42, v25, vcc
	v_cmp_eq_u32_e64 s[6:7], 12, v36
	ds_read_b64 v[40:41], v39
	v_cndmask_b32_e32 v43, v43, v24, vcc
	v_cndmask_b32_e64 v42, v42, v27, s[6:7]
	v_cmp_eq_u32_e32 vcc, 13, v36
	v_cndmask_b32_e64 v43, v43, v26, s[6:7]
	v_cmp_eq_u32_e64 s[6:7], 14, v36
	s_waitcnt vmcnt(2)
	v_cndmask_b32_e32 v42, v42, v29, vcc
	v_cndmask_b32_e32 v44, v43, v28, vcc
	s_waitcnt vmcnt(1)
	v_cndmask_b32_e64 v42, v42, v31, s[6:7]
	v_cmp_eq_u32_e32 vcc, 15, v36
	v_add_u32_e32 v39, 8, v39
	s_waitcnt vmcnt(0)
	v_cndmask_b32_e32 v43, v42, v33, vcc
	v_cndmask_b32_e64 v42, v44, v30, s[6:7]
	v_cndmask_b32_e32 v42, v42, v32, vcc
	s_waitcnt lgkmcnt(0)
	v_fmac_f64_e32 v[34:35], v[42:43], v[40:41]
	s_andn2_b64 exec, exec, s[12:13]
	s_cbranch_execnz .LBB15_253
; %bb.254:
	s_or_b64 exec, exec, s[12:13]
.LBB15_255:
	s_or_b64 exec, exec, s[10:11]
	v_mov_b32_e32 v10, 0
	ds_read_b64 v[10:11], v10 offset:32
	s_waitcnt lgkmcnt(0)
	v_mul_f64 v[10:11], v[34:35], v[10:11]
.LBB15_256:
	s_or_b64 exec, exec, s[36:37]
	v_cmp_gt_u32_e64 s[6:7], 5, v0
	s_waitcnt vmcnt(11)
	ds_write_b64 v103, v[12:13]
	s_waitcnt lgkmcnt(0)
	; wave barrier
	s_and_saveexec_b64 s[38:39], s[6:7]
	s_cbranch_execz .LBB15_266
; %bb.257:
	s_and_b64 vcc, exec, s[0:1]
	s_cbranch_vccnz .LBB15_259
; %bb.258:
	v_cmp_eq_u32_e32 vcc, 1, v0
	v_cmp_eq_u32_e64 s[8:9], 2, v0
	v_cmp_eq_u32_e64 s[10:11], 3, v0
	s_waitcnt vmcnt(3)
	v_cndmask_b32_e32 v34, v3, v5, vcc
	v_cndmask_b32_e64 v34, v34, v7, s[8:9]
	v_cndmask_b32_e64 v34, v34, v9, s[10:11]
	v_cmp_eq_u32_e64 s[12:13], 4, v0
	v_cmp_eq_u32_e64 s[14:15], 5, v0
	v_cmp_eq_u32_e64 s[16:17], 6, v0
	v_cndmask_b32_e64 v34, v34, v11, s[12:13]
	v_cndmask_b32_e64 v34, v34, v13, s[14:15]
	v_cndmask_b32_e64 v34, v34, v15, s[16:17]
	v_cmp_eq_u32_e64 s[18:19], 7, v0
	v_cmp_eq_u32_e64 s[20:21], 8, v0
	v_cmp_eq_u32_e64 s[22:23], 9, v0
	v_cndmask_b32_e64 v34, v34, v17, s[18:19]
	;; [unrolled: 6-line block ×3, first 2 shown]
	v_cndmask_b32_e64 v34, v34, v25, s[26:27]
	v_cndmask_b32_e64 v34, v34, v27, s[28:29]
	v_cmp_eq_u32_e64 s[30:31], 13, v0
	v_cmp_eq_u32_e64 s[34:35], 14, v0
	;; [unrolled: 1-line block ×3, first 2 shown]
	s_waitcnt vmcnt(2)
	v_cndmask_b32_e64 v34, v34, v29, s[30:31]
	s_waitcnt vmcnt(1)
	v_cndmask_b32_e64 v34, v34, v31, s[34:35]
	;; [unrolled: 2-line block ×3, first 2 shown]
	v_cndmask_b32_e32 v34, v2, v4, vcc
	v_cndmask_b32_e64 v34, v34, v6, s[8:9]
	v_cndmask_b32_e64 v34, v34, v8, s[10:11]
	;; [unrolled: 1-line block ×10, first 2 shown]
	ds_read_b64 v[36:37], v103
	v_cndmask_b32_e64 v34, v34, v26, s[28:29]
	v_cndmask_b32_e64 v34, v34, v28, s[30:31]
	;; [unrolled: 1-line block ×4, first 2 shown]
	s_waitcnt lgkmcnt(0)
	v_mul_f64 v[34:35], v[34:35], v[36:37]
	s_cbranch_execz .LBB15_260
	s_branch .LBB15_261
.LBB15_259:
                                        ; implicit-def: $vgpr34_vgpr35
.LBB15_260:
	ds_read_b64 v[34:35], v103
.LBB15_261:
	v_cmp_ne_u32_e32 vcc, 4, v0
	s_and_saveexec_b64 s[12:13], vcc
	s_cbranch_execz .LBB15_265
; %bb.262:
	v_mov_b32_e32 v36, 0x88
	v_lshl_add_u32 v39, v0, 3, v36
	s_mov_b64 s[14:15], 0
	v_mov_b64_e32 v[36:37], v[0:1]
.LBB15_263:                             ; =>This Inner Loop Header: Depth=1
	v_lshl_add_u64 v[36:37], v[36:37], 0, 1
	v_cmp_eq_u32_e32 vcc, 1, v36
	v_cmp_eq_u32_e64 s[10:11], 2, v36
	v_cmp_lt_u32_e64 s[8:9], 3, v36
	s_waitcnt vmcnt(3)
	v_cndmask_b32_e32 v42, v3, v5, vcc
	v_cndmask_b32_e64 v42, v42, v7, s[10:11]
	v_cndmask_b32_e32 v43, v2, v4, vcc
	v_cmp_eq_u32_e32 vcc, 3, v36
	s_or_b64 s[14:15], s[8:9], s[14:15]
	v_cndmask_b32_e64 v43, v43, v6, s[10:11]
	v_cndmask_b32_e32 v42, v42, v9, vcc
	v_cmp_eq_u32_e64 s[8:9], 4, v36
	v_cndmask_b32_e32 v43, v43, v8, vcc
	v_cmp_eq_u32_e32 vcc, 5, v36
	v_cndmask_b32_e64 v42, v42, v11, s[8:9]
	v_cndmask_b32_e64 v43, v43, v10, s[8:9]
	v_cndmask_b32_e32 v42, v42, v13, vcc
	v_cmp_eq_u32_e64 s[8:9], 6, v36
	v_cndmask_b32_e32 v43, v43, v12, vcc
	v_cmp_eq_u32_e32 vcc, 7, v36
	v_cndmask_b32_e64 v42, v42, v15, s[8:9]
	;; [unrolled: 6-line block ×4, first 2 shown]
	v_cndmask_b32_e64 v43, v43, v22, s[8:9]
	v_cndmask_b32_e32 v42, v42, v25, vcc
	v_cmp_eq_u32_e64 s[8:9], 12, v36
	ds_read_b64 v[40:41], v39
	v_cndmask_b32_e32 v43, v43, v24, vcc
	v_cndmask_b32_e64 v42, v42, v27, s[8:9]
	v_cmp_eq_u32_e32 vcc, 13, v36
	v_cndmask_b32_e64 v43, v43, v26, s[8:9]
	v_cmp_eq_u32_e64 s[8:9], 14, v36
	s_waitcnt vmcnt(2)
	v_cndmask_b32_e32 v42, v42, v29, vcc
	v_cndmask_b32_e32 v44, v43, v28, vcc
	s_waitcnt vmcnt(1)
	v_cndmask_b32_e64 v42, v42, v31, s[8:9]
	v_cmp_eq_u32_e32 vcc, 15, v36
	v_add_u32_e32 v39, 8, v39
	s_waitcnt vmcnt(0)
	v_cndmask_b32_e32 v43, v42, v33, vcc
	v_cndmask_b32_e64 v42, v44, v30, s[8:9]
	v_cndmask_b32_e32 v42, v42, v32, vcc
	s_waitcnt lgkmcnt(0)
	v_fmac_f64_e32 v[34:35], v[42:43], v[40:41]
	s_andn2_b64 exec, exec, s[14:15]
	s_cbranch_execnz .LBB15_263
; %bb.264:
	s_or_b64 exec, exec, s[14:15]
.LBB15_265:
	s_or_b64 exec, exec, s[12:13]
	v_mov_b32_e32 v12, 0
	ds_read_b64 v[12:13], v12 offset:40
	s_waitcnt lgkmcnt(0)
	v_mul_f64 v[12:13], v[34:35], v[12:13]
.LBB15_266:
	s_or_b64 exec, exec, s[38:39]
	v_cmp_gt_u32_e32 vcc, 6, v0
	s_waitcnt vmcnt(10)
	ds_write_b64 v103, v[14:15]
	s_waitcnt lgkmcnt(0)
	; wave barrier
	s_and_saveexec_b64 s[38:39], vcc
	s_cbranch_execz .LBB15_276
; %bb.267:
	s_and_b64 vcc, exec, s[0:1]
	s_cbranch_vccnz .LBB15_269
; %bb.268:
	v_cmp_eq_u32_e32 vcc, 1, v0
	v_cmp_eq_u32_e64 s[8:9], 2, v0
	v_cmp_eq_u32_e64 s[10:11], 3, v0
	s_waitcnt vmcnt(3)
	v_cndmask_b32_e32 v34, v3, v5, vcc
	v_cndmask_b32_e64 v34, v34, v7, s[8:9]
	v_cndmask_b32_e64 v34, v34, v9, s[10:11]
	v_cmp_eq_u32_e64 s[12:13], 4, v0
	v_cmp_eq_u32_e64 s[14:15], 5, v0
	v_cmp_eq_u32_e64 s[16:17], 6, v0
	v_cndmask_b32_e64 v34, v34, v11, s[12:13]
	v_cndmask_b32_e64 v34, v34, v13, s[14:15]
	v_cndmask_b32_e64 v34, v34, v15, s[16:17]
	v_cmp_eq_u32_e64 s[18:19], 7, v0
	v_cmp_eq_u32_e64 s[20:21], 8, v0
	v_cmp_eq_u32_e64 s[22:23], 9, v0
	v_cndmask_b32_e64 v34, v34, v17, s[18:19]
	;; [unrolled: 6-line block ×3, first 2 shown]
	v_cndmask_b32_e64 v34, v34, v25, s[26:27]
	v_cndmask_b32_e64 v34, v34, v27, s[28:29]
	v_cmp_eq_u32_e64 s[30:31], 13, v0
	v_cmp_eq_u32_e64 s[34:35], 14, v0
	;; [unrolled: 1-line block ×3, first 2 shown]
	s_waitcnt vmcnt(2)
	v_cndmask_b32_e64 v34, v34, v29, s[30:31]
	s_waitcnt vmcnt(1)
	v_cndmask_b32_e64 v34, v34, v31, s[34:35]
	;; [unrolled: 2-line block ×3, first 2 shown]
	v_cndmask_b32_e32 v34, v2, v4, vcc
	v_cndmask_b32_e64 v34, v34, v6, s[8:9]
	v_cndmask_b32_e64 v34, v34, v8, s[10:11]
	;; [unrolled: 1-line block ×10, first 2 shown]
	ds_read_b64 v[36:37], v103
	v_cndmask_b32_e64 v34, v34, v26, s[28:29]
	v_cndmask_b32_e64 v34, v34, v28, s[30:31]
	;; [unrolled: 1-line block ×4, first 2 shown]
	s_waitcnt lgkmcnt(0)
	v_mul_f64 v[34:35], v[34:35], v[36:37]
	s_cbranch_execz .LBB15_270
	s_branch .LBB15_271
.LBB15_269:
                                        ; implicit-def: $vgpr34_vgpr35
.LBB15_270:
	ds_read_b64 v[34:35], v103
.LBB15_271:
	v_cmp_ne_u32_e32 vcc, 5, v0
	s_and_saveexec_b64 s[12:13], vcc
	s_cbranch_execz .LBB15_275
; %bb.272:
	v_mov_b32_e32 v36, 0x88
	v_lshl_add_u32 v39, v0, 3, v36
	s_mov_b64 s[14:15], 0
	v_mov_b64_e32 v[36:37], v[0:1]
.LBB15_273:                             ; =>This Inner Loop Header: Depth=1
	v_lshl_add_u64 v[36:37], v[36:37], 0, 1
	v_cmp_eq_u32_e32 vcc, 1, v36
	v_cmp_eq_u32_e64 s[10:11], 2, v36
	v_cmp_lt_u32_e64 s[8:9], 4, v36
	s_waitcnt vmcnt(3)
	v_cndmask_b32_e32 v42, v3, v5, vcc
	v_cndmask_b32_e64 v42, v42, v7, s[10:11]
	v_cndmask_b32_e32 v43, v2, v4, vcc
	v_cmp_eq_u32_e32 vcc, 3, v36
	s_or_b64 s[14:15], s[8:9], s[14:15]
	v_cndmask_b32_e64 v43, v43, v6, s[10:11]
	v_cndmask_b32_e32 v42, v42, v9, vcc
	v_cmp_eq_u32_e64 s[8:9], 4, v36
	v_cndmask_b32_e32 v43, v43, v8, vcc
	v_cmp_eq_u32_e32 vcc, 5, v36
	v_cndmask_b32_e64 v42, v42, v11, s[8:9]
	v_cndmask_b32_e64 v43, v43, v10, s[8:9]
	v_cndmask_b32_e32 v42, v42, v13, vcc
	v_cmp_eq_u32_e64 s[8:9], 6, v36
	v_cndmask_b32_e32 v43, v43, v12, vcc
	v_cmp_eq_u32_e32 vcc, 7, v36
	v_cndmask_b32_e64 v42, v42, v15, s[8:9]
	;; [unrolled: 6-line block ×4, first 2 shown]
	v_cndmask_b32_e64 v43, v43, v22, s[8:9]
	v_cndmask_b32_e32 v42, v42, v25, vcc
	v_cmp_eq_u32_e64 s[8:9], 12, v36
	ds_read_b64 v[40:41], v39
	v_cndmask_b32_e32 v43, v43, v24, vcc
	v_cndmask_b32_e64 v42, v42, v27, s[8:9]
	v_cmp_eq_u32_e32 vcc, 13, v36
	v_cndmask_b32_e64 v43, v43, v26, s[8:9]
	v_cmp_eq_u32_e64 s[8:9], 14, v36
	s_waitcnt vmcnt(2)
	v_cndmask_b32_e32 v42, v42, v29, vcc
	v_cndmask_b32_e32 v44, v43, v28, vcc
	s_waitcnt vmcnt(1)
	v_cndmask_b32_e64 v42, v42, v31, s[8:9]
	v_cmp_eq_u32_e32 vcc, 15, v36
	v_add_u32_e32 v39, 8, v39
	s_waitcnt vmcnt(0)
	v_cndmask_b32_e32 v43, v42, v33, vcc
	v_cndmask_b32_e64 v42, v44, v30, s[8:9]
	v_cndmask_b32_e32 v42, v42, v32, vcc
	s_waitcnt lgkmcnt(0)
	v_fmac_f64_e32 v[34:35], v[42:43], v[40:41]
	s_andn2_b64 exec, exec, s[14:15]
	s_cbranch_execnz .LBB15_273
; %bb.274:
	s_or_b64 exec, exec, s[14:15]
.LBB15_275:
	s_or_b64 exec, exec, s[12:13]
	v_mov_b32_e32 v14, 0
	ds_read_b64 v[14:15], v14 offset:48
	s_waitcnt lgkmcnt(0)
	v_mul_f64 v[14:15], v[34:35], v[14:15]
.LBB15_276:
	s_or_b64 exec, exec, s[38:39]
	v_cmp_gt_u32_e64 s[8:9], 7, v0
	s_waitcnt vmcnt(9)
	ds_write_b64 v103, v[16:17]
	s_waitcnt lgkmcnt(0)
	; wave barrier
	s_and_saveexec_b64 s[40:41], s[8:9]
	s_cbranch_execz .LBB15_286
; %bb.277:
	s_and_b64 vcc, exec, s[0:1]
	s_cbranch_vccnz .LBB15_279
; %bb.278:
	v_cmp_eq_u32_e32 vcc, 1, v0
	v_cmp_eq_u32_e64 s[10:11], 2, v0
	v_cmp_eq_u32_e64 s[12:13], 3, v0
	s_waitcnt vmcnt(3)
	v_cndmask_b32_e32 v34, v3, v5, vcc
	v_cndmask_b32_e64 v34, v34, v7, s[10:11]
	v_cndmask_b32_e64 v34, v34, v9, s[12:13]
	v_cmp_eq_u32_e64 s[14:15], 4, v0
	v_cmp_eq_u32_e64 s[16:17], 5, v0
	v_cmp_eq_u32_e64 s[18:19], 6, v0
	v_cndmask_b32_e64 v34, v34, v11, s[14:15]
	v_cndmask_b32_e64 v34, v34, v13, s[16:17]
	v_cndmask_b32_e64 v34, v34, v15, s[18:19]
	v_cmp_eq_u32_e64 s[20:21], 7, v0
	v_cmp_eq_u32_e64 s[22:23], 8, v0
	v_cmp_eq_u32_e64 s[24:25], 9, v0
	v_cndmask_b32_e64 v34, v34, v17, s[20:21]
	;; [unrolled: 6-line block ×3, first 2 shown]
	v_cndmask_b32_e64 v34, v34, v25, s[28:29]
	v_cndmask_b32_e64 v34, v34, v27, s[30:31]
	v_cmp_eq_u32_e64 s[34:35], 13, v0
	v_cmp_eq_u32_e64 s[36:37], 14, v0
	;; [unrolled: 1-line block ×3, first 2 shown]
	s_waitcnt vmcnt(2)
	v_cndmask_b32_e64 v34, v34, v29, s[34:35]
	s_waitcnt vmcnt(1)
	v_cndmask_b32_e64 v34, v34, v31, s[36:37]
	;; [unrolled: 2-line block ×3, first 2 shown]
	v_cndmask_b32_e32 v34, v2, v4, vcc
	v_cndmask_b32_e64 v34, v34, v6, s[10:11]
	v_cndmask_b32_e64 v34, v34, v8, s[12:13]
	;; [unrolled: 1-line block ×10, first 2 shown]
	ds_read_b64 v[36:37], v103
	v_cndmask_b32_e64 v34, v34, v26, s[30:31]
	v_cndmask_b32_e64 v34, v34, v28, s[34:35]
	;; [unrolled: 1-line block ×4, first 2 shown]
	s_waitcnt lgkmcnt(0)
	v_mul_f64 v[34:35], v[34:35], v[36:37]
	s_cbranch_execz .LBB15_280
	s_branch .LBB15_281
.LBB15_279:
                                        ; implicit-def: $vgpr34_vgpr35
.LBB15_280:
	ds_read_b64 v[34:35], v103
.LBB15_281:
	v_cmp_ne_u32_e32 vcc, 6, v0
	s_and_saveexec_b64 s[14:15], vcc
	s_cbranch_execz .LBB15_285
; %bb.282:
	v_mov_b32_e32 v36, 0x88
	v_lshl_add_u32 v39, v0, 3, v36
	s_mov_b64 s[16:17], 0
	v_mov_b64_e32 v[36:37], v[0:1]
.LBB15_283:                             ; =>This Inner Loop Header: Depth=1
	v_lshl_add_u64 v[36:37], v[36:37], 0, 1
	v_cmp_eq_u32_e32 vcc, 1, v36
	v_cmp_eq_u32_e64 s[12:13], 2, v36
	v_cmp_lt_u32_e64 s[10:11], 5, v36
	s_waitcnt vmcnt(3)
	v_cndmask_b32_e32 v42, v3, v5, vcc
	v_cndmask_b32_e64 v42, v42, v7, s[12:13]
	v_cndmask_b32_e32 v43, v2, v4, vcc
	v_cmp_eq_u32_e32 vcc, 3, v36
	s_or_b64 s[16:17], s[10:11], s[16:17]
	v_cndmask_b32_e64 v43, v43, v6, s[12:13]
	v_cndmask_b32_e32 v42, v42, v9, vcc
	v_cmp_eq_u32_e64 s[10:11], 4, v36
	v_cndmask_b32_e32 v43, v43, v8, vcc
	v_cmp_eq_u32_e32 vcc, 5, v36
	v_cndmask_b32_e64 v42, v42, v11, s[10:11]
	v_cndmask_b32_e64 v43, v43, v10, s[10:11]
	v_cndmask_b32_e32 v42, v42, v13, vcc
	v_cmp_eq_u32_e64 s[10:11], 6, v36
	v_cndmask_b32_e32 v43, v43, v12, vcc
	v_cmp_eq_u32_e32 vcc, 7, v36
	v_cndmask_b32_e64 v42, v42, v15, s[10:11]
	;; [unrolled: 6-line block ×4, first 2 shown]
	v_cndmask_b32_e64 v43, v43, v22, s[10:11]
	v_cndmask_b32_e32 v42, v42, v25, vcc
	v_cmp_eq_u32_e64 s[10:11], 12, v36
	ds_read_b64 v[40:41], v39
	v_cndmask_b32_e32 v43, v43, v24, vcc
	v_cndmask_b32_e64 v42, v42, v27, s[10:11]
	v_cmp_eq_u32_e32 vcc, 13, v36
	v_cndmask_b32_e64 v43, v43, v26, s[10:11]
	v_cmp_eq_u32_e64 s[10:11], 14, v36
	s_waitcnt vmcnt(2)
	v_cndmask_b32_e32 v42, v42, v29, vcc
	v_cndmask_b32_e32 v44, v43, v28, vcc
	s_waitcnt vmcnt(1)
	v_cndmask_b32_e64 v42, v42, v31, s[10:11]
	v_cmp_eq_u32_e32 vcc, 15, v36
	v_add_u32_e32 v39, 8, v39
	s_waitcnt vmcnt(0)
	v_cndmask_b32_e32 v43, v42, v33, vcc
	v_cndmask_b32_e64 v42, v44, v30, s[10:11]
	v_cndmask_b32_e32 v42, v42, v32, vcc
	s_waitcnt lgkmcnt(0)
	v_fmac_f64_e32 v[34:35], v[42:43], v[40:41]
	s_andn2_b64 exec, exec, s[16:17]
	s_cbranch_execnz .LBB15_283
; %bb.284:
	s_or_b64 exec, exec, s[16:17]
.LBB15_285:
	s_or_b64 exec, exec, s[14:15]
	v_mov_b32_e32 v16, 0
	ds_read_b64 v[16:17], v16 offset:56
	s_waitcnt lgkmcnt(0)
	v_mul_f64 v[16:17], v[34:35], v[16:17]
.LBB15_286:
	s_or_b64 exec, exec, s[40:41]
	v_cmp_gt_u32_e32 vcc, 8, v0
	s_waitcnt vmcnt(8)
	ds_write_b64 v103, v[18:19]
	s_waitcnt lgkmcnt(0)
	; wave barrier
	s_and_saveexec_b64 s[40:41], vcc
	s_cbranch_execz .LBB15_296
; %bb.287:
	s_and_b64 vcc, exec, s[0:1]
	s_cbranch_vccnz .LBB15_289
; %bb.288:
	v_cmp_eq_u32_e32 vcc, 1, v0
	v_cmp_eq_u32_e64 s[10:11], 2, v0
	v_cmp_eq_u32_e64 s[12:13], 3, v0
	s_waitcnt vmcnt(3)
	v_cndmask_b32_e32 v34, v3, v5, vcc
	v_cndmask_b32_e64 v34, v34, v7, s[10:11]
	v_cndmask_b32_e64 v34, v34, v9, s[12:13]
	v_cmp_eq_u32_e64 s[14:15], 4, v0
	v_cmp_eq_u32_e64 s[16:17], 5, v0
	v_cmp_eq_u32_e64 s[18:19], 6, v0
	v_cndmask_b32_e64 v34, v34, v11, s[14:15]
	v_cndmask_b32_e64 v34, v34, v13, s[16:17]
	v_cndmask_b32_e64 v34, v34, v15, s[18:19]
	v_cmp_eq_u32_e64 s[20:21], 7, v0
	v_cmp_eq_u32_e64 s[22:23], 8, v0
	v_cmp_eq_u32_e64 s[24:25], 9, v0
	v_cndmask_b32_e64 v34, v34, v17, s[20:21]
	;; [unrolled: 6-line block ×3, first 2 shown]
	v_cndmask_b32_e64 v34, v34, v25, s[28:29]
	v_cndmask_b32_e64 v34, v34, v27, s[30:31]
	v_cmp_eq_u32_e64 s[34:35], 13, v0
	v_cmp_eq_u32_e64 s[36:37], 14, v0
	;; [unrolled: 1-line block ×3, first 2 shown]
	s_waitcnt vmcnt(2)
	v_cndmask_b32_e64 v34, v34, v29, s[34:35]
	s_waitcnt vmcnt(1)
	v_cndmask_b32_e64 v34, v34, v31, s[36:37]
	;; [unrolled: 2-line block ×3, first 2 shown]
	v_cndmask_b32_e32 v34, v2, v4, vcc
	v_cndmask_b32_e64 v34, v34, v6, s[10:11]
	v_cndmask_b32_e64 v34, v34, v8, s[12:13]
	;; [unrolled: 1-line block ×10, first 2 shown]
	ds_read_b64 v[36:37], v103
	v_cndmask_b32_e64 v34, v34, v26, s[30:31]
	v_cndmask_b32_e64 v34, v34, v28, s[34:35]
	;; [unrolled: 1-line block ×4, first 2 shown]
	s_waitcnt lgkmcnt(0)
	v_mul_f64 v[34:35], v[34:35], v[36:37]
	s_cbranch_execz .LBB15_290
	s_branch .LBB15_291
.LBB15_289:
                                        ; implicit-def: $vgpr34_vgpr35
.LBB15_290:
	ds_read_b64 v[34:35], v103
.LBB15_291:
	v_cmp_ne_u32_e32 vcc, 7, v0
	s_and_saveexec_b64 s[14:15], vcc
	s_cbranch_execz .LBB15_295
; %bb.292:
	v_mov_b32_e32 v36, 0x88
	v_lshl_add_u32 v39, v0, 3, v36
	s_mov_b64 s[16:17], 0
	v_mov_b64_e32 v[36:37], v[0:1]
.LBB15_293:                             ; =>This Inner Loop Header: Depth=1
	v_lshl_add_u64 v[36:37], v[36:37], 0, 1
	v_cmp_eq_u32_e32 vcc, 1, v36
	v_cmp_eq_u32_e64 s[12:13], 2, v36
	v_cmp_lt_u32_e64 s[10:11], 6, v36
	s_waitcnt vmcnt(3)
	v_cndmask_b32_e32 v42, v3, v5, vcc
	v_cndmask_b32_e64 v42, v42, v7, s[12:13]
	v_cndmask_b32_e32 v43, v2, v4, vcc
	v_cmp_eq_u32_e32 vcc, 3, v36
	s_or_b64 s[16:17], s[10:11], s[16:17]
	v_cndmask_b32_e64 v43, v43, v6, s[12:13]
	v_cndmask_b32_e32 v42, v42, v9, vcc
	v_cmp_eq_u32_e64 s[10:11], 4, v36
	v_cndmask_b32_e32 v43, v43, v8, vcc
	v_cmp_eq_u32_e32 vcc, 5, v36
	v_cndmask_b32_e64 v42, v42, v11, s[10:11]
	v_cndmask_b32_e64 v43, v43, v10, s[10:11]
	v_cndmask_b32_e32 v42, v42, v13, vcc
	v_cmp_eq_u32_e64 s[10:11], 6, v36
	v_cndmask_b32_e32 v43, v43, v12, vcc
	v_cmp_eq_u32_e32 vcc, 7, v36
	v_cndmask_b32_e64 v42, v42, v15, s[10:11]
	;; [unrolled: 6-line block ×4, first 2 shown]
	v_cndmask_b32_e64 v43, v43, v22, s[10:11]
	v_cndmask_b32_e32 v42, v42, v25, vcc
	v_cmp_eq_u32_e64 s[10:11], 12, v36
	ds_read_b64 v[40:41], v39
	v_cndmask_b32_e32 v43, v43, v24, vcc
	v_cndmask_b32_e64 v42, v42, v27, s[10:11]
	v_cmp_eq_u32_e32 vcc, 13, v36
	v_cndmask_b32_e64 v43, v43, v26, s[10:11]
	v_cmp_eq_u32_e64 s[10:11], 14, v36
	s_waitcnt vmcnt(2)
	v_cndmask_b32_e32 v42, v42, v29, vcc
	v_cndmask_b32_e32 v44, v43, v28, vcc
	s_waitcnt vmcnt(1)
	v_cndmask_b32_e64 v42, v42, v31, s[10:11]
	v_cmp_eq_u32_e32 vcc, 15, v36
	v_add_u32_e32 v39, 8, v39
	s_waitcnt vmcnt(0)
	v_cndmask_b32_e32 v43, v42, v33, vcc
	v_cndmask_b32_e64 v42, v44, v30, s[10:11]
	v_cndmask_b32_e32 v42, v42, v32, vcc
	s_waitcnt lgkmcnt(0)
	v_fmac_f64_e32 v[34:35], v[42:43], v[40:41]
	s_andn2_b64 exec, exec, s[16:17]
	s_cbranch_execnz .LBB15_293
; %bb.294:
	s_or_b64 exec, exec, s[16:17]
.LBB15_295:
	s_or_b64 exec, exec, s[14:15]
	v_mov_b32_e32 v18, 0
	ds_read_b64 v[18:19], v18 offset:64
	s_waitcnt lgkmcnt(0)
	v_mul_f64 v[18:19], v[34:35], v[18:19]
.LBB15_296:
	s_or_b64 exec, exec, s[40:41]
	v_cmp_gt_u32_e32 vcc, 9, v0
	s_waitcnt vmcnt(7)
	ds_write_b64 v103, v[20:21]
	s_waitcnt lgkmcnt(0)
	; wave barrier
	s_and_saveexec_b64 s[40:41], vcc
	s_cbranch_execz .LBB15_318
; %bb.297:
	s_and_b64 vcc, exec, s[0:1]
	s_cbranch_vccnz .LBB15_299
; %bb.298:
	v_cmp_eq_u32_e32 vcc, 1, v0
	v_cmp_eq_u32_e64 s[10:11], 2, v0
	v_cmp_eq_u32_e64 s[12:13], 3, v0
	s_waitcnt vmcnt(3)
	v_cndmask_b32_e32 v34, v3, v5, vcc
	v_cndmask_b32_e64 v34, v34, v7, s[10:11]
	v_cndmask_b32_e64 v34, v34, v9, s[12:13]
	v_cmp_eq_u32_e64 s[14:15], 4, v0
	v_cmp_eq_u32_e64 s[16:17], 5, v0
	v_cmp_eq_u32_e64 s[18:19], 6, v0
	v_cndmask_b32_e64 v34, v34, v11, s[14:15]
	v_cndmask_b32_e64 v34, v34, v13, s[16:17]
	v_cndmask_b32_e64 v34, v34, v15, s[18:19]
	v_cmp_eq_u32_e64 s[20:21], 7, v0
	v_cmp_eq_u32_e64 s[22:23], 8, v0
	v_cmp_eq_u32_e64 s[24:25], 9, v0
	v_cndmask_b32_e64 v34, v34, v17, s[20:21]
	v_cndmask_b32_e64 v34, v34, v19, s[22:23]
	v_cndmask_b32_e64 v34, v34, v21, s[24:25]
	v_cmp_eq_u32_e64 s[26:27], 10, v0
	v_cmp_eq_u32_e64 s[28:29], 11, v0
	v_cmp_eq_u32_e64 s[30:31], 12, v0
	v_cndmask_b32_e64 v34, v34, v23, s[26:27]
	v_cndmask_b32_e64 v34, v34, v25, s[28:29]
	v_cndmask_b32_e64 v34, v34, v27, s[30:31]
	v_cmp_eq_u32_e64 s[34:35], 13, v0
	v_cmp_eq_u32_e64 s[36:37], 14, v0
	;; [unrolled: 1-line block ×3, first 2 shown]
	s_waitcnt vmcnt(2)
	v_cndmask_b32_e64 v34, v34, v29, s[34:35]
	s_waitcnt vmcnt(1)
	v_cndmask_b32_e64 v34, v34, v31, s[36:37]
	;; [unrolled: 2-line block ×3, first 2 shown]
	v_cndmask_b32_e32 v34, v2, v4, vcc
	v_cndmask_b32_e64 v34, v34, v6, s[10:11]
	v_cndmask_b32_e64 v34, v34, v8, s[12:13]
	;; [unrolled: 1-line block ×10, first 2 shown]
	ds_read_b64 v[36:37], v103
	v_cndmask_b32_e64 v34, v34, v26, s[30:31]
	v_cndmask_b32_e64 v34, v34, v28, s[34:35]
	;; [unrolled: 1-line block ×4, first 2 shown]
	s_waitcnt lgkmcnt(0)
	v_mul_f64 v[34:35], v[34:35], v[36:37]
	s_cbranch_execz .LBB15_300
	s_branch .LBB15_301
.LBB15_299:
                                        ; implicit-def: $vgpr34_vgpr35
.LBB15_300:
	ds_read_b64 v[34:35], v103
.LBB15_301:
	v_cmp_ne_u32_e32 vcc, 8, v0
	s_and_saveexec_b64 s[42:43], vcc
	s_cbranch_execz .LBB15_317
; %bb.302:
	v_cmp_eq_u32_e32 vcc, 1, v38
	v_cmp_eq_u32_e64 s[10:11], 2, v38
	v_cmp_eq_u32_e64 s[12:13], 3, v38
	s_waitcnt vmcnt(3)
	v_cndmask_b32_e32 v36, v3, v5, vcc
	v_cndmask_b32_e64 v36, v36, v7, s[10:11]
	v_cndmask_b32_e64 v36, v36, v9, s[12:13]
	v_cmp_eq_u32_e64 s[14:15], 4, v38
	v_cmp_eq_u32_e64 s[16:17], 5, v38
	v_cmp_eq_u32_e64 s[18:19], 6, v38
	v_cndmask_b32_e64 v36, v36, v11, s[14:15]
	v_cndmask_b32_e64 v36, v36, v13, s[16:17]
	v_cndmask_b32_e64 v36, v36, v15, s[18:19]
	v_cmp_eq_u32_e64 s[20:21], 7, v38
	v_cmp_eq_u32_e64 s[22:23], 8, v38
	v_cmp_eq_u32_e64 s[24:25], 9, v38
	v_cndmask_b32_e64 v36, v36, v17, s[20:21]
	;; [unrolled: 6-line block ×3, first 2 shown]
	v_cndmask_b32_e64 v36, v36, v25, s[28:29]
	v_cndmask_b32_e64 v36, v36, v27, s[30:31]
	v_cmp_eq_u32_e64 s[34:35], 13, v38
	v_cmp_eq_u32_e64 s[36:37], 14, v38
	;; [unrolled: 1-line block ×3, first 2 shown]
	s_waitcnt vmcnt(2)
	v_cndmask_b32_e64 v36, v36, v29, s[34:35]
	s_waitcnt vmcnt(1)
	v_cndmask_b32_e64 v36, v36, v31, s[36:37]
	s_waitcnt vmcnt(0)
	v_cndmask_b32_e64 v37, v36, v33, s[38:39]
	v_cndmask_b32_e32 v36, v2, v4, vcc
	v_cndmask_b32_e64 v36, v36, v6, s[10:11]
	v_cndmask_b32_e64 v36, v36, v8, s[12:13]
	;; [unrolled: 1-line block ×10, first 2 shown]
	ds_read_b64 v[38:39], v103 offset:8
	v_cndmask_b32_e64 v36, v36, v26, s[30:31]
	v_cndmask_b32_e64 v36, v36, v28, s[34:35]
	;; [unrolled: 1-line block ×4, first 2 shown]
	s_waitcnt lgkmcnt(0)
	v_fmac_f64_e32 v[34:35], v[36:37], v[38:39]
	s_and_saveexec_b64 s[38:39], s[8:9]
	s_cbranch_execz .LBB15_316
; %bb.303:
	v_add_u32_e32 v36, 2, v0
	v_cmp_eq_u32_e32 vcc, 1, v36
	v_cmp_eq_u32_e64 s[8:9], 2, v36
	v_cmp_eq_u32_e64 s[10:11], 3, v36
	v_cndmask_b32_e32 v37, v3, v5, vcc
	v_cmp_eq_u32_e64 s[12:13], 4, v36
	v_cmp_eq_u32_e64 s[14:15], 5, v36
	v_cmp_eq_u32_e64 s[16:17], 6, v36
	v_cmp_eq_u32_e64 s[18:19], 7, v36
	v_cmp_eq_u32_e64 s[20:21], 8, v36
	v_cmp_eq_u32_e64 s[22:23], 9, v36
	v_cmp_eq_u32_e64 s[24:25], 10, v36
	v_cmp_eq_u32_e64 s[26:27], 11, v36
	v_cmp_eq_u32_e64 s[28:29], 12, v36
	v_cmp_eq_u32_e64 s[30:31], 13, v36
	v_cmp_eq_u32_e64 s[34:35], 14, v36
	v_cmp_eq_u32_e64 s[36:37], 15, v36
	v_cndmask_b32_e32 v36, v2, v4, vcc
	v_cndmask_b32_e64 v37, v37, v7, s[8:9]
	v_cndmask_b32_e64 v36, v36, v6, s[8:9]
	;; [unrolled: 1-line block ×20, first 2 shown]
	ds_read_b64 v[38:39], v103 offset:16
	v_cndmask_b32_e64 v37, v37, v27, s[28:29]
	v_cndmask_b32_e64 v36, v36, v26, s[28:29]
	;; [unrolled: 1-line block ×8, first 2 shown]
	s_waitcnt lgkmcnt(0)
	v_fmac_f64_e32 v[34:35], v[36:37], v[38:39]
	v_cmp_ne_u32_e32 vcc, 6, v0
	s_and_saveexec_b64 s[44:45], vcc
	s_cbranch_execz .LBB15_315
; %bb.304:
	v_add_u32_e32 v36, 3, v0
	v_cmp_eq_u32_e32 vcc, 1, v36
	v_cmp_eq_u32_e64 s[8:9], 2, v36
	v_cmp_eq_u32_e64 s[10:11], 3, v36
	v_cndmask_b32_e32 v37, v3, v5, vcc
	v_cmp_eq_u32_e64 s[12:13], 4, v36
	v_cmp_eq_u32_e64 s[14:15], 5, v36
	;; [unrolled: 1-line block ×12, first 2 shown]
	v_cndmask_b32_e32 v36, v2, v4, vcc
	v_cndmask_b32_e64 v37, v37, v7, s[8:9]
	v_cndmask_b32_e64 v36, v36, v6, s[8:9]
	;; [unrolled: 1-line block ×20, first 2 shown]
	ds_read_b64 v[38:39], v103 offset:24
	v_cndmask_b32_e64 v37, v37, v27, s[28:29]
	v_cndmask_b32_e64 v36, v36, v26, s[28:29]
	;; [unrolled: 1-line block ×8, first 2 shown]
	s_waitcnt lgkmcnt(0)
	v_fmac_f64_e32 v[34:35], v[36:37], v[38:39]
	s_and_saveexec_b64 s[36:37], s[6:7]
	s_cbranch_execz .LBB15_314
; %bb.305:
	v_add_u32_e32 v36, 4, v0
	v_cmp_eq_u32_e32 vcc, 1, v36
	v_cmp_eq_u32_e64 s[6:7], 2, v36
	v_cmp_eq_u32_e64 s[8:9], 3, v36
	v_cndmask_b32_e32 v37, v3, v5, vcc
	v_cmp_eq_u32_e64 s[10:11], 4, v36
	v_cmp_eq_u32_e64 s[12:13], 5, v36
	;; [unrolled: 1-line block ×12, first 2 shown]
	v_cndmask_b32_e32 v36, v2, v4, vcc
	v_cndmask_b32_e64 v37, v37, v7, s[6:7]
	v_cndmask_b32_e64 v36, v36, v6, s[6:7]
	;; [unrolled: 1-line block ×20, first 2 shown]
	ds_read_b64 v[38:39], v103 offset:32
	v_cndmask_b32_e64 v37, v37, v27, s[26:27]
	v_cndmask_b32_e64 v36, v36, v26, s[26:27]
	;; [unrolled: 1-line block ×8, first 2 shown]
	s_waitcnt lgkmcnt(0)
	v_fmac_f64_e32 v[34:35], v[36:37], v[38:39]
	v_cmp_ne_u32_e32 vcc, 4, v0
	s_and_saveexec_b64 s[46:47], vcc
	s_cbranch_execz .LBB15_313
; %bb.306:
	v_add_u32_e32 v36, 5, v0
	v_cmp_eq_u32_e32 vcc, 1, v36
	v_cmp_eq_u32_e64 s[6:7], 2, v36
	v_cmp_eq_u32_e64 s[8:9], 3, v36
	v_cndmask_b32_e32 v37, v3, v5, vcc
	v_cmp_eq_u32_e64 s[10:11], 4, v36
	v_cmp_eq_u32_e64 s[12:13], 5, v36
	;; [unrolled: 1-line block ×12, first 2 shown]
	v_cndmask_b32_e32 v36, v2, v4, vcc
	v_cndmask_b32_e64 v37, v37, v7, s[6:7]
	v_cndmask_b32_e64 v36, v36, v6, s[6:7]
	;; [unrolled: 1-line block ×20, first 2 shown]
	ds_read_b64 v[38:39], v103 offset:40
	v_cndmask_b32_e64 v37, v37, v27, s[26:27]
	v_cndmask_b32_e64 v36, v36, v26, s[26:27]
	;; [unrolled: 1-line block ×8, first 2 shown]
	s_waitcnt lgkmcnt(0)
	v_fmac_f64_e32 v[34:35], v[36:37], v[38:39]
	s_and_saveexec_b64 s[34:35], s[4:5]
	s_cbranch_execz .LBB15_312
; %bb.307:
	v_add_u32_e32 v36, 6, v0
	v_cmp_eq_u32_e32 vcc, 1, v36
	v_cmp_eq_u32_e64 s[4:5], 2, v36
	v_cmp_eq_u32_e64 s[6:7], 3, v36
	v_cndmask_b32_e32 v37, v3, v5, vcc
	v_cmp_eq_u32_e64 s[8:9], 4, v36
	v_cmp_eq_u32_e64 s[10:11], 5, v36
	;; [unrolled: 1-line block ×12, first 2 shown]
	v_cndmask_b32_e32 v36, v2, v4, vcc
	v_cndmask_b32_e64 v37, v37, v7, s[4:5]
	v_cndmask_b32_e64 v36, v36, v6, s[4:5]
	;; [unrolled: 1-line block ×20, first 2 shown]
	ds_read_b64 v[38:39], v103 offset:48
	v_cndmask_b32_e64 v37, v37, v27, s[24:25]
	v_cndmask_b32_e64 v36, v36, v26, s[24:25]
	;; [unrolled: 1-line block ×8, first 2 shown]
	s_waitcnt lgkmcnt(0)
	v_fmac_f64_e32 v[34:35], v[36:37], v[38:39]
	v_cmp_ne_u32_e32 vcc, 2, v0
	s_and_saveexec_b64 s[48:49], vcc
	s_cbranch_execz .LBB15_311
; %bb.308:
	v_add_u32_e32 v36, 7, v0
	v_cmp_eq_u32_e32 vcc, 1, v36
	v_cmp_eq_u32_e64 s[4:5], 2, v36
	v_cmp_eq_u32_e64 s[6:7], 3, v36
	v_cndmask_b32_e32 v37, v3, v5, vcc
	v_cmp_eq_u32_e64 s[8:9], 4, v36
	v_cmp_eq_u32_e64 s[10:11], 5, v36
	;; [unrolled: 1-line block ×12, first 2 shown]
	v_cndmask_b32_e32 v36, v2, v4, vcc
	v_cndmask_b32_e64 v37, v37, v7, s[4:5]
	v_cndmask_b32_e64 v36, v36, v6, s[4:5]
	;; [unrolled: 1-line block ×20, first 2 shown]
	ds_read_b64 v[36:37], v103 offset:56
	v_cndmask_b32_e64 v21, v21, v27, s[24:25]
	v_cndmask_b32_e64 v20, v20, v26, s[24:25]
	;; [unrolled: 1-line block ×8, first 2 shown]
	s_waitcnt lgkmcnt(0)
	v_fmac_f64_e32 v[34:35], v[20:21], v[36:37]
	s_and_saveexec_b64 s[4:5], s[2:3]
	s_cbranch_execz .LBB15_310
; %bb.309:
	ds_read_b64 v[20:21], v103 offset:64
	s_waitcnt lgkmcnt(0)
	v_fmac_f64_e32 v[34:35], v[18:19], v[20:21]
.LBB15_310:
	s_or_b64 exec, exec, s[4:5]
.LBB15_311:
	s_or_b64 exec, exec, s[48:49]
.LBB15_312:
	s_or_b64 exec, exec, s[34:35]
.LBB15_313:
	s_or_b64 exec, exec, s[46:47]
.LBB15_314:
	s_or_b64 exec, exec, s[36:37]
.LBB15_315:
	s_or_b64 exec, exec, s[44:45]
.LBB15_316:
	s_or_b64 exec, exec, s[38:39]
.LBB15_317:
	s_or_b64 exec, exec, s[42:43]
	v_mov_b32_e32 v20, 0
	ds_read_b64 v[20:21], v20 offset:72
	s_waitcnt lgkmcnt(0)
	v_mul_f64 v[20:21], v[34:35], v[20:21]
.LBB15_318:
	s_or_b64 exec, exec, s[40:41]
	v_cmp_gt_u32_e32 vcc, 10, v0
	s_waitcnt vmcnt(6)
	ds_write_b64 v103, v[22:23]
	s_waitcnt lgkmcnt(0)
	; wave barrier
	s_and_saveexec_b64 s[30:31], vcc
	s_cbranch_execz .LBB15_328
; %bb.319:
	s_and_b64 vcc, exec, s[0:1]
	s_cbranch_vccnz .LBB15_321
; %bb.320:
	v_cmp_eq_u32_e32 vcc, 1, v0
	v_cmp_eq_u32_e64 s[2:3], 2, v0
	v_cmp_eq_u32_e64 s[4:5], 3, v0
	s_waitcnt vmcnt(3)
	v_cndmask_b32_e32 v34, v3, v5, vcc
	v_cndmask_b32_e64 v34, v34, v7, s[2:3]
	v_cndmask_b32_e64 v34, v34, v9, s[4:5]
	v_cmp_eq_u32_e64 s[6:7], 4, v0
	v_cmp_eq_u32_e64 s[8:9], 5, v0
	v_cmp_eq_u32_e64 s[10:11], 6, v0
	v_cndmask_b32_e64 v34, v34, v11, s[6:7]
	v_cndmask_b32_e64 v34, v34, v13, s[8:9]
	v_cndmask_b32_e64 v34, v34, v15, s[10:11]
	v_cmp_eq_u32_e64 s[12:13], 7, v0
	v_cmp_eq_u32_e64 s[14:15], 8, v0
	v_cmp_eq_u32_e64 s[16:17], 9, v0
	v_cndmask_b32_e64 v34, v34, v17, s[12:13]
	;; [unrolled: 6-line block ×3, first 2 shown]
	v_cndmask_b32_e64 v34, v34, v25, s[20:21]
	v_cndmask_b32_e64 v34, v34, v27, s[22:23]
	v_cmp_eq_u32_e64 s[24:25], 13, v0
	v_cmp_eq_u32_e64 s[26:27], 14, v0
	;; [unrolled: 1-line block ×3, first 2 shown]
	s_waitcnt vmcnt(2)
	v_cndmask_b32_e64 v34, v34, v29, s[24:25]
	s_waitcnt vmcnt(1)
	v_cndmask_b32_e64 v34, v34, v31, s[26:27]
	;; [unrolled: 2-line block ×3, first 2 shown]
	v_cndmask_b32_e32 v34, v2, v4, vcc
	v_cndmask_b32_e64 v34, v34, v6, s[2:3]
	v_cndmask_b32_e64 v34, v34, v8, s[4:5]
	;; [unrolled: 1-line block ×10, first 2 shown]
	ds_read_b64 v[36:37], v103
	v_cndmask_b32_e64 v34, v34, v26, s[22:23]
	v_cndmask_b32_e64 v34, v34, v28, s[24:25]
	;; [unrolled: 1-line block ×4, first 2 shown]
	s_waitcnt lgkmcnt(0)
	v_mul_f64 v[34:35], v[34:35], v[36:37]
	s_cbranch_execz .LBB15_322
	s_branch .LBB15_323
.LBB15_321:
                                        ; implicit-def: $vgpr34_vgpr35
.LBB15_322:
	ds_read_b64 v[34:35], v103
.LBB15_323:
	v_cmp_ne_u32_e32 vcc, 9, v0
	s_and_saveexec_b64 s[6:7], vcc
	s_cbranch_execz .LBB15_327
; %bb.324:
	v_mov_b32_e32 v36, 0x88
	v_lshl_add_u32 v38, v0, 3, v36
	s_mov_b64 s[8:9], 0
	v_mov_b64_e32 v[36:37], v[0:1]
.LBB15_325:                             ; =>This Inner Loop Header: Depth=1
	v_lshl_add_u64 v[36:37], v[36:37], 0, 1
	v_cmp_eq_u32_e32 vcc, 1, v36
	v_cmp_eq_u32_e64 s[4:5], 2, v36
	v_cmp_lt_u32_e64 s[2:3], 8, v36
	s_waitcnt vmcnt(3)
	v_cndmask_b32_e32 v39, v3, v5, vcc
	v_cndmask_b32_e64 v39, v39, v7, s[4:5]
	v_cndmask_b32_e32 v42, v2, v4, vcc
	v_cmp_eq_u32_e32 vcc, 3, v36
	s_or_b64 s[8:9], s[2:3], s[8:9]
	v_cndmask_b32_e64 v42, v42, v6, s[4:5]
	v_cndmask_b32_e32 v39, v39, v9, vcc
	v_cmp_eq_u32_e64 s[2:3], 4, v36
	v_cndmask_b32_e32 v42, v42, v8, vcc
	v_cmp_eq_u32_e32 vcc, 5, v36
	v_cndmask_b32_e64 v39, v39, v11, s[2:3]
	v_cndmask_b32_e64 v42, v42, v10, s[2:3]
	v_cndmask_b32_e32 v39, v39, v13, vcc
	v_cmp_eq_u32_e64 s[2:3], 6, v36
	v_cndmask_b32_e32 v42, v42, v12, vcc
	v_cmp_eq_u32_e32 vcc, 7, v36
	v_cndmask_b32_e64 v39, v39, v15, s[2:3]
	;; [unrolled: 6-line block ×4, first 2 shown]
	v_cndmask_b32_e64 v42, v42, v22, s[2:3]
	v_cndmask_b32_e32 v39, v39, v25, vcc
	v_cmp_eq_u32_e64 s[2:3], 12, v36
	ds_read_b64 v[40:41], v38
	v_cndmask_b32_e32 v42, v42, v24, vcc
	v_cndmask_b32_e64 v39, v39, v27, s[2:3]
	v_cmp_eq_u32_e32 vcc, 13, v36
	v_cndmask_b32_e64 v42, v42, v26, s[2:3]
	v_cmp_eq_u32_e64 s[2:3], 14, v36
	s_waitcnt vmcnt(2)
	v_cndmask_b32_e32 v39, v39, v29, vcc
	v_cndmask_b32_e32 v42, v42, v28, vcc
	s_waitcnt vmcnt(1)
	v_cndmask_b32_e64 v39, v39, v31, s[2:3]
	v_cmp_eq_u32_e32 vcc, 15, v36
	v_add_u32_e32 v38, 8, v38
	s_waitcnt vmcnt(0)
	v_cndmask_b32_e32 v43, v39, v33, vcc
	v_cndmask_b32_e64 v39, v42, v30, s[2:3]
	v_cndmask_b32_e32 v42, v39, v32, vcc
	s_waitcnt lgkmcnt(0)
	v_fmac_f64_e32 v[34:35], v[42:43], v[40:41]
	s_andn2_b64 exec, exec, s[8:9]
	s_cbranch_execnz .LBB15_325
; %bb.326:
	s_or_b64 exec, exec, s[8:9]
.LBB15_327:
	s_or_b64 exec, exec, s[6:7]
	v_mov_b32_e32 v22, 0
	ds_read_b64 v[22:23], v22 offset:80
	s_waitcnt lgkmcnt(0)
	v_mul_f64 v[22:23], v[34:35], v[22:23]
.LBB15_328:
	s_or_b64 exec, exec, s[30:31]
	v_cmp_gt_u32_e32 vcc, 11, v0
	s_waitcnt vmcnt(5)
	ds_write_b64 v103, v[24:25]
	s_waitcnt lgkmcnt(0)
	; wave barrier
	s_and_saveexec_b64 s[30:31], vcc
	s_cbranch_execz .LBB15_338
; %bb.329:
	s_and_b64 vcc, exec, s[0:1]
	s_cbranch_vccnz .LBB15_331
; %bb.330:
	v_cmp_eq_u32_e32 vcc, 1, v0
	v_cmp_eq_u32_e64 s[2:3], 2, v0
	v_cmp_eq_u32_e64 s[4:5], 3, v0
	s_waitcnt vmcnt(3)
	v_cndmask_b32_e32 v34, v3, v5, vcc
	v_cndmask_b32_e64 v34, v34, v7, s[2:3]
	v_cndmask_b32_e64 v34, v34, v9, s[4:5]
	v_cmp_eq_u32_e64 s[6:7], 4, v0
	v_cmp_eq_u32_e64 s[8:9], 5, v0
	v_cmp_eq_u32_e64 s[10:11], 6, v0
	v_cndmask_b32_e64 v34, v34, v11, s[6:7]
	v_cndmask_b32_e64 v34, v34, v13, s[8:9]
	v_cndmask_b32_e64 v34, v34, v15, s[10:11]
	v_cmp_eq_u32_e64 s[12:13], 7, v0
	v_cmp_eq_u32_e64 s[14:15], 8, v0
	v_cmp_eq_u32_e64 s[16:17], 9, v0
	v_cndmask_b32_e64 v34, v34, v17, s[12:13]
	;; [unrolled: 6-line block ×3, first 2 shown]
	v_cndmask_b32_e64 v34, v34, v25, s[20:21]
	v_cndmask_b32_e64 v34, v34, v27, s[22:23]
	v_cmp_eq_u32_e64 s[24:25], 13, v0
	v_cmp_eq_u32_e64 s[26:27], 14, v0
	;; [unrolled: 1-line block ×3, first 2 shown]
	s_waitcnt vmcnt(2)
	v_cndmask_b32_e64 v34, v34, v29, s[24:25]
	s_waitcnt vmcnt(1)
	v_cndmask_b32_e64 v34, v34, v31, s[26:27]
	;; [unrolled: 2-line block ×3, first 2 shown]
	v_cndmask_b32_e32 v34, v2, v4, vcc
	v_cndmask_b32_e64 v34, v34, v6, s[2:3]
	v_cndmask_b32_e64 v34, v34, v8, s[4:5]
	;; [unrolled: 1-line block ×10, first 2 shown]
	ds_read_b64 v[36:37], v103
	v_cndmask_b32_e64 v34, v34, v26, s[22:23]
	v_cndmask_b32_e64 v34, v34, v28, s[24:25]
	v_cndmask_b32_e64 v34, v34, v30, s[26:27]
	v_cndmask_b32_e64 v34, v34, v32, s[28:29]
	s_waitcnt lgkmcnt(0)
	v_mul_f64 v[34:35], v[34:35], v[36:37]
	s_cbranch_execz .LBB15_332
	s_branch .LBB15_333
.LBB15_331:
                                        ; implicit-def: $vgpr34_vgpr35
.LBB15_332:
	ds_read_b64 v[34:35], v103
.LBB15_333:
	v_cmp_ne_u32_e32 vcc, 10, v0
	s_and_saveexec_b64 s[6:7], vcc
	s_cbranch_execz .LBB15_337
; %bb.334:
	v_mov_b32_e32 v36, 0x88
	v_lshl_add_u32 v38, v0, 3, v36
	s_mov_b64 s[8:9], 0
	v_mov_b64_e32 v[36:37], v[0:1]
.LBB15_335:                             ; =>This Inner Loop Header: Depth=1
	v_lshl_add_u64 v[36:37], v[36:37], 0, 1
	v_cmp_eq_u32_e32 vcc, 1, v36
	v_cmp_eq_u32_e64 s[4:5], 2, v36
	v_cmp_lt_u32_e64 s[2:3], 9, v36
	s_waitcnt vmcnt(3)
	v_cndmask_b32_e32 v39, v3, v5, vcc
	v_cndmask_b32_e64 v39, v39, v7, s[4:5]
	v_cndmask_b32_e32 v42, v2, v4, vcc
	v_cmp_eq_u32_e32 vcc, 3, v36
	s_or_b64 s[8:9], s[2:3], s[8:9]
	v_cndmask_b32_e64 v42, v42, v6, s[4:5]
	v_cndmask_b32_e32 v39, v39, v9, vcc
	v_cmp_eq_u32_e64 s[2:3], 4, v36
	v_cndmask_b32_e32 v42, v42, v8, vcc
	v_cmp_eq_u32_e32 vcc, 5, v36
	v_cndmask_b32_e64 v39, v39, v11, s[2:3]
	v_cndmask_b32_e64 v42, v42, v10, s[2:3]
	v_cndmask_b32_e32 v39, v39, v13, vcc
	v_cmp_eq_u32_e64 s[2:3], 6, v36
	v_cndmask_b32_e32 v42, v42, v12, vcc
	v_cmp_eq_u32_e32 vcc, 7, v36
	v_cndmask_b32_e64 v39, v39, v15, s[2:3]
	;; [unrolled: 6-line block ×4, first 2 shown]
	v_cndmask_b32_e64 v42, v42, v22, s[2:3]
	v_cndmask_b32_e32 v39, v39, v25, vcc
	v_cmp_eq_u32_e64 s[2:3], 12, v36
	ds_read_b64 v[40:41], v38
	v_cndmask_b32_e32 v42, v42, v24, vcc
	v_cndmask_b32_e64 v39, v39, v27, s[2:3]
	v_cmp_eq_u32_e32 vcc, 13, v36
	v_cndmask_b32_e64 v42, v42, v26, s[2:3]
	v_cmp_eq_u32_e64 s[2:3], 14, v36
	s_waitcnt vmcnt(2)
	v_cndmask_b32_e32 v39, v39, v29, vcc
	v_cndmask_b32_e32 v42, v42, v28, vcc
	s_waitcnt vmcnt(1)
	v_cndmask_b32_e64 v39, v39, v31, s[2:3]
	v_cmp_eq_u32_e32 vcc, 15, v36
	v_add_u32_e32 v38, 8, v38
	s_waitcnt vmcnt(0)
	v_cndmask_b32_e32 v43, v39, v33, vcc
	v_cndmask_b32_e64 v39, v42, v30, s[2:3]
	v_cndmask_b32_e32 v42, v39, v32, vcc
	s_waitcnt lgkmcnt(0)
	v_fmac_f64_e32 v[34:35], v[42:43], v[40:41]
	s_andn2_b64 exec, exec, s[8:9]
	s_cbranch_execnz .LBB15_335
; %bb.336:
	s_or_b64 exec, exec, s[8:9]
.LBB15_337:
	s_or_b64 exec, exec, s[6:7]
	v_mov_b32_e32 v24, 0
	ds_read_b64 v[24:25], v24 offset:88
	s_waitcnt lgkmcnt(0)
	v_mul_f64 v[24:25], v[34:35], v[24:25]
.LBB15_338:
	s_or_b64 exec, exec, s[30:31]
	v_cmp_gt_u32_e32 vcc, 12, v0
	s_waitcnt vmcnt(4)
	ds_write_b64 v103, v[26:27]
	s_waitcnt lgkmcnt(0)
	; wave barrier
	s_and_saveexec_b64 s[30:31], vcc
	s_cbranch_execz .LBB15_348
; %bb.339:
	s_and_b64 vcc, exec, s[0:1]
	s_cbranch_vccnz .LBB15_341
; %bb.340:
	v_cmp_eq_u32_e32 vcc, 1, v0
	v_cmp_eq_u32_e64 s[2:3], 2, v0
	v_cmp_eq_u32_e64 s[4:5], 3, v0
	s_waitcnt vmcnt(3)
	v_cndmask_b32_e32 v34, v3, v5, vcc
	v_cndmask_b32_e64 v34, v34, v7, s[2:3]
	v_cndmask_b32_e64 v34, v34, v9, s[4:5]
	v_cmp_eq_u32_e64 s[6:7], 4, v0
	v_cmp_eq_u32_e64 s[8:9], 5, v0
	v_cmp_eq_u32_e64 s[10:11], 6, v0
	v_cndmask_b32_e64 v34, v34, v11, s[6:7]
	v_cndmask_b32_e64 v34, v34, v13, s[8:9]
	v_cndmask_b32_e64 v34, v34, v15, s[10:11]
	v_cmp_eq_u32_e64 s[12:13], 7, v0
	v_cmp_eq_u32_e64 s[14:15], 8, v0
	v_cmp_eq_u32_e64 s[16:17], 9, v0
	v_cndmask_b32_e64 v34, v34, v17, s[12:13]
	;; [unrolled: 6-line block ×3, first 2 shown]
	v_cndmask_b32_e64 v34, v34, v25, s[20:21]
	v_cndmask_b32_e64 v34, v34, v27, s[22:23]
	v_cmp_eq_u32_e64 s[24:25], 13, v0
	v_cmp_eq_u32_e64 s[26:27], 14, v0
	;; [unrolled: 1-line block ×3, first 2 shown]
	s_waitcnt vmcnt(2)
	v_cndmask_b32_e64 v34, v34, v29, s[24:25]
	s_waitcnt vmcnt(1)
	v_cndmask_b32_e64 v34, v34, v31, s[26:27]
	s_waitcnt vmcnt(0)
	v_cndmask_b32_e64 v35, v34, v33, s[28:29]
	v_cndmask_b32_e32 v34, v2, v4, vcc
	v_cndmask_b32_e64 v34, v34, v6, s[2:3]
	v_cndmask_b32_e64 v34, v34, v8, s[4:5]
	;; [unrolled: 1-line block ×10, first 2 shown]
	ds_read_b64 v[36:37], v103
	v_cndmask_b32_e64 v34, v34, v26, s[22:23]
	v_cndmask_b32_e64 v34, v34, v28, s[24:25]
	v_cndmask_b32_e64 v34, v34, v30, s[26:27]
	v_cndmask_b32_e64 v34, v34, v32, s[28:29]
	s_waitcnt lgkmcnt(0)
	v_mul_f64 v[34:35], v[34:35], v[36:37]
	s_cbranch_execz .LBB15_342
	s_branch .LBB15_343
.LBB15_341:
                                        ; implicit-def: $vgpr34_vgpr35
.LBB15_342:
	ds_read_b64 v[34:35], v103
.LBB15_343:
	v_cmp_ne_u32_e32 vcc, 11, v0
	s_and_saveexec_b64 s[6:7], vcc
	s_cbranch_execz .LBB15_347
; %bb.344:
	v_mov_b32_e32 v36, 0x88
	v_lshl_add_u32 v38, v0, 3, v36
	s_mov_b64 s[8:9], 0
	v_mov_b64_e32 v[36:37], v[0:1]
.LBB15_345:                             ; =>This Inner Loop Header: Depth=1
	v_lshl_add_u64 v[36:37], v[36:37], 0, 1
	v_cmp_eq_u32_e32 vcc, 1, v36
	v_cmp_eq_u32_e64 s[4:5], 2, v36
	v_cmp_lt_u32_e64 s[2:3], 10, v36
	s_waitcnt vmcnt(3)
	v_cndmask_b32_e32 v39, v3, v5, vcc
	v_cndmask_b32_e64 v39, v39, v7, s[4:5]
	v_cndmask_b32_e32 v42, v2, v4, vcc
	v_cmp_eq_u32_e32 vcc, 3, v36
	s_or_b64 s[8:9], s[2:3], s[8:9]
	v_cndmask_b32_e64 v42, v42, v6, s[4:5]
	v_cndmask_b32_e32 v39, v39, v9, vcc
	v_cmp_eq_u32_e64 s[2:3], 4, v36
	v_cndmask_b32_e32 v42, v42, v8, vcc
	v_cmp_eq_u32_e32 vcc, 5, v36
	v_cndmask_b32_e64 v39, v39, v11, s[2:3]
	v_cndmask_b32_e64 v42, v42, v10, s[2:3]
	v_cndmask_b32_e32 v39, v39, v13, vcc
	v_cmp_eq_u32_e64 s[2:3], 6, v36
	v_cndmask_b32_e32 v42, v42, v12, vcc
	v_cmp_eq_u32_e32 vcc, 7, v36
	v_cndmask_b32_e64 v39, v39, v15, s[2:3]
	;; [unrolled: 6-line block ×4, first 2 shown]
	v_cndmask_b32_e64 v42, v42, v22, s[2:3]
	v_cndmask_b32_e32 v39, v39, v25, vcc
	v_cmp_eq_u32_e64 s[2:3], 12, v36
	ds_read_b64 v[40:41], v38
	v_cndmask_b32_e32 v42, v42, v24, vcc
	v_cndmask_b32_e64 v39, v39, v27, s[2:3]
	v_cmp_eq_u32_e32 vcc, 13, v36
	v_cndmask_b32_e64 v42, v42, v26, s[2:3]
	v_cmp_eq_u32_e64 s[2:3], 14, v36
	s_waitcnt vmcnt(2)
	v_cndmask_b32_e32 v39, v39, v29, vcc
	v_cndmask_b32_e32 v42, v42, v28, vcc
	s_waitcnt vmcnt(1)
	v_cndmask_b32_e64 v39, v39, v31, s[2:3]
	v_cmp_eq_u32_e32 vcc, 15, v36
	v_add_u32_e32 v38, 8, v38
	s_waitcnt vmcnt(0)
	v_cndmask_b32_e32 v43, v39, v33, vcc
	v_cndmask_b32_e64 v39, v42, v30, s[2:3]
	v_cndmask_b32_e32 v42, v39, v32, vcc
	s_waitcnt lgkmcnt(0)
	v_fmac_f64_e32 v[34:35], v[42:43], v[40:41]
	s_andn2_b64 exec, exec, s[8:9]
	s_cbranch_execnz .LBB15_345
; %bb.346:
	s_or_b64 exec, exec, s[8:9]
.LBB15_347:
	s_or_b64 exec, exec, s[6:7]
	v_mov_b32_e32 v26, 0
	ds_read_b64 v[26:27], v26 offset:96
	s_waitcnt lgkmcnt(0)
	v_mul_f64 v[26:27], v[34:35], v[26:27]
.LBB15_348:
	s_or_b64 exec, exec, s[30:31]
	v_cmp_gt_u32_e32 vcc, 13, v0
	s_waitcnt vmcnt(2)
	ds_write_b64 v103, v[28:29]
	s_waitcnt lgkmcnt(0)
	; wave barrier
	s_and_saveexec_b64 s[30:31], vcc
	s_cbranch_execz .LBB15_358
; %bb.349:
	s_and_b64 vcc, exec, s[0:1]
	s_cbranch_vccnz .LBB15_351
; %bb.350:
	v_cmp_eq_u32_e32 vcc, 1, v0
	v_cmp_eq_u32_e64 s[2:3], 2, v0
	v_cmp_eq_u32_e64 s[4:5], 3, v0
	v_cndmask_b32_e32 v34, v3, v5, vcc
	v_cndmask_b32_e64 v34, v34, v7, s[2:3]
	v_cndmask_b32_e64 v34, v34, v9, s[4:5]
	v_cmp_eq_u32_e64 s[6:7], 4, v0
	v_cmp_eq_u32_e64 s[8:9], 5, v0
	v_cmp_eq_u32_e64 s[10:11], 6, v0
	v_cndmask_b32_e64 v34, v34, v11, s[6:7]
	v_cndmask_b32_e64 v34, v34, v13, s[8:9]
	v_cndmask_b32_e64 v34, v34, v15, s[10:11]
	v_cmp_eq_u32_e64 s[12:13], 7, v0
	v_cmp_eq_u32_e64 s[14:15], 8, v0
	v_cmp_eq_u32_e64 s[16:17], 9, v0
	v_cndmask_b32_e64 v34, v34, v17, s[12:13]
	;; [unrolled: 6-line block ×4, first 2 shown]
	s_waitcnt vmcnt(1)
	v_cndmask_b32_e64 v34, v34, v31, s[26:27]
	s_waitcnt vmcnt(0)
	v_cndmask_b32_e64 v35, v34, v33, s[28:29]
	v_cndmask_b32_e32 v34, v2, v4, vcc
	v_cndmask_b32_e64 v34, v34, v6, s[2:3]
	v_cndmask_b32_e64 v34, v34, v8, s[4:5]
	;; [unrolled: 1-line block ×10, first 2 shown]
	ds_read_b64 v[36:37], v103
	v_cndmask_b32_e64 v34, v34, v26, s[22:23]
	v_cndmask_b32_e64 v34, v34, v28, s[24:25]
	;; [unrolled: 1-line block ×4, first 2 shown]
	s_waitcnt lgkmcnt(0)
	v_mul_f64 v[34:35], v[34:35], v[36:37]
	s_cbranch_execz .LBB15_352
	s_branch .LBB15_353
.LBB15_351:
                                        ; implicit-def: $vgpr34_vgpr35
.LBB15_352:
	ds_read_b64 v[34:35], v103
.LBB15_353:
	v_cmp_ne_u32_e32 vcc, 12, v0
	s_and_saveexec_b64 s[6:7], vcc
	s_cbranch_execz .LBB15_357
; %bb.354:
	v_mov_b32_e32 v36, 0x88
	v_lshl_add_u32 v38, v0, 3, v36
	s_mov_b64 s[8:9], 0
	v_mov_b64_e32 v[36:37], v[0:1]
.LBB15_355:                             ; =>This Inner Loop Header: Depth=1
	v_lshl_add_u64 v[36:37], v[36:37], 0, 1
	v_cmp_eq_u32_e32 vcc, 1, v36
	v_cmp_eq_u32_e64 s[4:5], 2, v36
	v_cmp_lt_u32_e64 s[2:3], 11, v36
	v_cndmask_b32_e32 v39, v3, v5, vcc
	v_cndmask_b32_e64 v39, v39, v7, s[4:5]
	v_cndmask_b32_e32 v42, v2, v4, vcc
	v_cmp_eq_u32_e32 vcc, 3, v36
	s_or_b64 s[8:9], s[2:3], s[8:9]
	v_cndmask_b32_e64 v42, v42, v6, s[4:5]
	v_cndmask_b32_e32 v39, v39, v9, vcc
	v_cmp_eq_u32_e64 s[2:3], 4, v36
	v_cndmask_b32_e32 v42, v42, v8, vcc
	v_cmp_eq_u32_e32 vcc, 5, v36
	v_cndmask_b32_e64 v39, v39, v11, s[2:3]
	v_cndmask_b32_e64 v42, v42, v10, s[2:3]
	v_cndmask_b32_e32 v39, v39, v13, vcc
	v_cmp_eq_u32_e64 s[2:3], 6, v36
	v_cndmask_b32_e32 v42, v42, v12, vcc
	v_cmp_eq_u32_e32 vcc, 7, v36
	v_cndmask_b32_e64 v39, v39, v15, s[2:3]
	;; [unrolled: 6-line block ×4, first 2 shown]
	v_cndmask_b32_e64 v42, v42, v22, s[2:3]
	v_cndmask_b32_e32 v39, v39, v25, vcc
	v_cmp_eq_u32_e64 s[2:3], 12, v36
	ds_read_b64 v[40:41], v38
	v_cndmask_b32_e32 v42, v42, v24, vcc
	v_cndmask_b32_e64 v39, v39, v27, s[2:3]
	v_cmp_eq_u32_e32 vcc, 13, v36
	v_cndmask_b32_e64 v42, v42, v26, s[2:3]
	v_cmp_eq_u32_e64 s[2:3], 14, v36
	v_cndmask_b32_e32 v39, v39, v29, vcc
	v_cndmask_b32_e32 v42, v42, v28, vcc
	s_waitcnt vmcnt(1)
	v_cndmask_b32_e64 v39, v39, v31, s[2:3]
	v_cmp_eq_u32_e32 vcc, 15, v36
	v_add_u32_e32 v38, 8, v38
	s_waitcnt vmcnt(0)
	v_cndmask_b32_e32 v43, v39, v33, vcc
	v_cndmask_b32_e64 v39, v42, v30, s[2:3]
	v_cndmask_b32_e32 v42, v39, v32, vcc
	s_waitcnt lgkmcnt(0)
	v_fmac_f64_e32 v[34:35], v[42:43], v[40:41]
	s_andn2_b64 exec, exec, s[8:9]
	s_cbranch_execnz .LBB15_355
; %bb.356:
	s_or_b64 exec, exec, s[8:9]
.LBB15_357:
	s_or_b64 exec, exec, s[6:7]
	v_mov_b32_e32 v28, 0
	ds_read_b64 v[28:29], v28 offset:104
	s_waitcnt lgkmcnt(0)
	v_mul_f64 v[28:29], v[34:35], v[28:29]
.LBB15_358:
	s_or_b64 exec, exec, s[30:31]
	v_cmp_gt_u32_e64 s[2:3], 14, v0
	s_waitcnt vmcnt(1)
	ds_write_b64 v103, v[30:31]
	s_waitcnt lgkmcnt(0)
	; wave barrier
	s_and_saveexec_b64 s[34:35], s[2:3]
	s_cbranch_execz .LBB15_368
; %bb.359:
	s_and_b64 vcc, exec, s[0:1]
	s_cbranch_vccnz .LBB15_361
; %bb.360:
	v_cmp_eq_u32_e32 vcc, 1, v0
	v_cmp_eq_u32_e64 s[4:5], 2, v0
	v_cmp_eq_u32_e64 s[6:7], 3, v0
	v_cndmask_b32_e32 v34, v3, v5, vcc
	v_cndmask_b32_e64 v34, v34, v7, s[4:5]
	v_cndmask_b32_e64 v34, v34, v9, s[6:7]
	v_cmp_eq_u32_e64 s[8:9], 4, v0
	v_cmp_eq_u32_e64 s[10:11], 5, v0
	v_cmp_eq_u32_e64 s[12:13], 6, v0
	v_cndmask_b32_e64 v34, v34, v11, s[8:9]
	v_cndmask_b32_e64 v34, v34, v13, s[10:11]
	v_cndmask_b32_e64 v34, v34, v15, s[12:13]
	v_cmp_eq_u32_e64 s[14:15], 7, v0
	v_cmp_eq_u32_e64 s[16:17], 8, v0
	v_cmp_eq_u32_e64 s[18:19], 9, v0
	v_cndmask_b32_e64 v34, v34, v17, s[14:15]
	;; [unrolled: 6-line block ×4, first 2 shown]
	v_cndmask_b32_e64 v34, v34, v31, s[28:29]
	s_waitcnt vmcnt(0)
	v_cndmask_b32_e64 v35, v34, v33, s[30:31]
	v_cndmask_b32_e32 v34, v2, v4, vcc
	v_cndmask_b32_e64 v34, v34, v6, s[4:5]
	v_cndmask_b32_e64 v34, v34, v8, s[6:7]
	;; [unrolled: 1-line block ×10, first 2 shown]
	ds_read_b64 v[36:37], v103
	v_cndmask_b32_e64 v34, v34, v26, s[24:25]
	v_cndmask_b32_e64 v34, v34, v28, s[26:27]
	;; [unrolled: 1-line block ×4, first 2 shown]
	s_waitcnt lgkmcnt(0)
	v_mul_f64 v[34:35], v[34:35], v[36:37]
	s_cbranch_execz .LBB15_362
	s_branch .LBB15_363
.LBB15_361:
                                        ; implicit-def: $vgpr34_vgpr35
.LBB15_362:
	ds_read_b64 v[34:35], v103
.LBB15_363:
	v_cmp_ne_u32_e32 vcc, 13, v0
	s_and_saveexec_b64 s[8:9], vcc
	s_cbranch_execz .LBB15_367
; %bb.364:
	v_mov_b32_e32 v36, 0x88
	v_lshl_add_u32 v38, v0, 3, v36
	s_mov_b64 s[10:11], 0
	v_mov_b64_e32 v[36:37], v[0:1]
.LBB15_365:                             ; =>This Inner Loop Header: Depth=1
	v_lshl_add_u64 v[36:37], v[36:37], 0, 1
	v_cmp_eq_u32_e32 vcc, 1, v36
	v_cmp_eq_u32_e64 s[6:7], 2, v36
	v_cmp_lt_u32_e64 s[4:5], 12, v36
	v_cndmask_b32_e32 v39, v3, v5, vcc
	v_cndmask_b32_e64 v39, v39, v7, s[6:7]
	v_cndmask_b32_e32 v42, v2, v4, vcc
	v_cmp_eq_u32_e32 vcc, 3, v36
	s_or_b64 s[10:11], s[4:5], s[10:11]
	v_cndmask_b32_e64 v42, v42, v6, s[6:7]
	v_cndmask_b32_e32 v39, v39, v9, vcc
	v_cmp_eq_u32_e64 s[4:5], 4, v36
	v_cndmask_b32_e32 v42, v42, v8, vcc
	v_cmp_eq_u32_e32 vcc, 5, v36
	v_cndmask_b32_e64 v39, v39, v11, s[4:5]
	v_cndmask_b32_e64 v42, v42, v10, s[4:5]
	v_cndmask_b32_e32 v39, v39, v13, vcc
	v_cmp_eq_u32_e64 s[4:5], 6, v36
	v_cndmask_b32_e32 v42, v42, v12, vcc
	v_cmp_eq_u32_e32 vcc, 7, v36
	v_cndmask_b32_e64 v39, v39, v15, s[4:5]
	;; [unrolled: 6-line block ×4, first 2 shown]
	v_cndmask_b32_e64 v42, v42, v22, s[4:5]
	v_cndmask_b32_e32 v39, v39, v25, vcc
	v_cmp_eq_u32_e64 s[4:5], 12, v36
	ds_read_b64 v[40:41], v38
	v_cndmask_b32_e32 v42, v42, v24, vcc
	v_cndmask_b32_e64 v39, v39, v27, s[4:5]
	v_cmp_eq_u32_e32 vcc, 13, v36
	v_cndmask_b32_e64 v42, v42, v26, s[4:5]
	v_cmp_eq_u32_e64 s[4:5], 14, v36
	v_cndmask_b32_e32 v39, v39, v29, vcc
	v_cndmask_b32_e32 v42, v42, v28, vcc
	v_cndmask_b32_e64 v39, v39, v31, s[4:5]
	v_cmp_eq_u32_e32 vcc, 15, v36
	v_add_u32_e32 v38, 8, v38
	s_waitcnt vmcnt(0)
	v_cndmask_b32_e32 v43, v39, v33, vcc
	v_cndmask_b32_e64 v39, v42, v30, s[4:5]
	v_cndmask_b32_e32 v42, v39, v32, vcc
	s_waitcnt lgkmcnt(0)
	v_fmac_f64_e32 v[34:35], v[42:43], v[40:41]
	s_andn2_b64 exec, exec, s[10:11]
	s_cbranch_execnz .LBB15_365
; %bb.366:
	s_or_b64 exec, exec, s[10:11]
.LBB15_367:
	s_or_b64 exec, exec, s[8:9]
	v_mov_b32_e32 v30, 0
	ds_read_b64 v[30:31], v30 offset:112
	s_waitcnt lgkmcnt(0)
	v_mul_f64 v[30:31], v[34:35], v[30:31]
.LBB15_368:
	s_or_b64 exec, exec, s[34:35]
	v_cmp_ne_u32_e32 vcc, 15, v0
	s_waitcnt vmcnt(0)
	ds_write_b64 v103, v[32:33]
	s_waitcnt lgkmcnt(0)
	; wave barrier
	s_and_saveexec_b64 s[30:31], vcc
	s_cbranch_execz .LBB15_378
; %bb.369:
	s_and_b64 vcc, exec, s[0:1]
	s_cbranch_vccnz .LBB15_371
; %bb.370:
	v_cmp_eq_u32_e32 vcc, 1, v0
	v_cmp_eq_u32_e64 s[0:1], 2, v0
	v_cmp_eq_u32_e64 s[4:5], 3, v0
	v_cndmask_b32_e32 v34, v3, v5, vcc
	v_cndmask_b32_e64 v34, v34, v7, s[0:1]
	v_cndmask_b32_e64 v34, v34, v9, s[4:5]
	v_cmp_eq_u32_e64 s[6:7], 4, v0
	v_cmp_eq_u32_e64 s[8:9], 5, v0
	v_cmp_eq_u32_e64 s[10:11], 6, v0
	v_cndmask_b32_e64 v34, v34, v11, s[6:7]
	v_cndmask_b32_e64 v34, v34, v13, s[8:9]
	v_cndmask_b32_e64 v34, v34, v15, s[10:11]
	v_cmp_eq_u32_e64 s[12:13], 7, v0
	v_cmp_eq_u32_e64 s[14:15], 8, v0
	v_cmp_eq_u32_e64 s[16:17], 9, v0
	v_cndmask_b32_e64 v34, v34, v17, s[12:13]
	;; [unrolled: 6-line block ×4, first 2 shown]
	v_cndmask_b32_e64 v34, v34, v31, s[26:27]
	v_cndmask_b32_e64 v35, v34, v33, s[28:29]
	v_cndmask_b32_e32 v34, v2, v4, vcc
	v_cndmask_b32_e64 v34, v34, v6, s[0:1]
	v_cndmask_b32_e64 v34, v34, v8, s[4:5]
	;; [unrolled: 1-line block ×10, first 2 shown]
	ds_read_b64 v[36:37], v103
	v_cndmask_b32_e64 v34, v34, v26, s[22:23]
	v_cndmask_b32_e64 v34, v34, v28, s[24:25]
	;; [unrolled: 1-line block ×4, first 2 shown]
	s_waitcnt lgkmcnt(0)
	v_mul_f64 v[34:35], v[34:35], v[36:37]
	s_cbranch_execz .LBB15_372
	s_branch .LBB15_373
.LBB15_371:
                                        ; implicit-def: $vgpr34_vgpr35
.LBB15_372:
	ds_read_b64 v[34:35], v103
.LBB15_373:
	s_and_saveexec_b64 s[4:5], s[2:3]
	s_cbranch_execz .LBB15_377
; %bb.374:
	v_mov_b32_e32 v36, 0x88
	v_lshl_add_u32 v36, v0, 3, v36
	s_mov_b64 s[6:7], 0
.LBB15_375:                             ; =>This Inner Loop Header: Depth=1
	v_lshl_add_u64 v[0:1], v[0:1], 0, 1
	v_cmp_eq_u32_e32 vcc, 1, v0
	v_cmp_eq_u32_e64 s[2:3], 2, v0
	v_cmp_lt_u32_e64 s[0:1], 13, v0
	v_cndmask_b32_e32 v37, v3, v5, vcc
	v_cndmask_b32_e64 v37, v37, v7, s[2:3]
	v_cndmask_b32_e32 v40, v2, v4, vcc
	v_cmp_eq_u32_e32 vcc, 3, v0
	s_or_b64 s[6:7], s[0:1], s[6:7]
	v_cndmask_b32_e64 v40, v40, v6, s[2:3]
	v_cndmask_b32_e32 v37, v37, v9, vcc
	v_cmp_eq_u32_e64 s[0:1], 4, v0
	v_cndmask_b32_e32 v40, v40, v8, vcc
	v_cmp_eq_u32_e32 vcc, 5, v0
	v_cndmask_b32_e64 v37, v37, v11, s[0:1]
	v_cndmask_b32_e64 v40, v40, v10, s[0:1]
	v_cndmask_b32_e32 v37, v37, v13, vcc
	v_cmp_eq_u32_e64 s[0:1], 6, v0
	v_cndmask_b32_e32 v40, v40, v12, vcc
	v_cmp_eq_u32_e32 vcc, 7, v0
	v_cndmask_b32_e64 v37, v37, v15, s[0:1]
	;; [unrolled: 6-line block ×4, first 2 shown]
	v_cndmask_b32_e64 v40, v40, v22, s[0:1]
	v_cndmask_b32_e32 v37, v37, v25, vcc
	v_cmp_eq_u32_e64 s[0:1], 12, v0
	ds_read_b64 v[38:39], v36
	v_cndmask_b32_e32 v40, v40, v24, vcc
	v_cndmask_b32_e64 v37, v37, v27, s[0:1]
	v_cmp_eq_u32_e32 vcc, 13, v0
	v_cndmask_b32_e64 v40, v40, v26, s[0:1]
	v_cmp_eq_u32_e64 s[0:1], 14, v0
	v_cndmask_b32_e32 v37, v37, v29, vcc
	v_cndmask_b32_e32 v40, v40, v28, vcc
	v_cndmask_b32_e64 v37, v37, v31, s[0:1]
	v_cmp_eq_u32_e32 vcc, 15, v0
	v_add_u32_e32 v36, 8, v36
	s_nop 0
	v_cndmask_b32_e32 v41, v37, v33, vcc
	v_cndmask_b32_e64 v37, v40, v30, s[0:1]
	v_cndmask_b32_e32 v40, v37, v32, vcc
	s_waitcnt lgkmcnt(0)
	v_fmac_f64_e32 v[34:35], v[40:41], v[38:39]
	s_andn2_b64 exec, exec, s[6:7]
	s_cbranch_execnz .LBB15_375
; %bb.376:
	s_or_b64 exec, exec, s[6:7]
.LBB15_377:
	s_or_b64 exec, exec, s[4:5]
	v_mov_b32_e32 v0, 0
	ds_read_b64 v[0:1], v0 offset:120
	s_waitcnt lgkmcnt(0)
	v_mul_f64 v[32:33], v[34:35], v[0:1]
.LBB15_378:
	s_or_b64 exec, exec, s[30:31]
	v_mov_b64_e32 v[64:65], v[32:33]
	v_mov_b64_e32 v[62:63], v[30:31]
	;; [unrolled: 1-line block ×16, first 2 shown]
.LBB15_379:
	global_store_dwordx2 v[66:67], v[34:35], off
	global_store_dwordx2 v[68:69], v[36:37], off
	;; [unrolled: 1-line block ×16, first 2 shown]
.LBB15_380:
	s_endpgm
	.section	.rodata,"a",@progbits
	.p2align	6, 0x0
	.amdhsa_kernel _ZN9rocsolver6v33100L18trti2_kernel_smallILi16EdPdEEv13rocblas_fill_17rocblas_diagonal_T1_iil
		.amdhsa_group_segment_fixed_size 256
		.amdhsa_private_segment_fixed_size 0
		.amdhsa_kernarg_size 32
		.amdhsa_user_sgpr_count 2
		.amdhsa_user_sgpr_dispatch_ptr 0
		.amdhsa_user_sgpr_queue_ptr 0
		.amdhsa_user_sgpr_kernarg_segment_ptr 1
		.amdhsa_user_sgpr_dispatch_id 0
		.amdhsa_user_sgpr_kernarg_preload_length 0
		.amdhsa_user_sgpr_kernarg_preload_offset 0
		.amdhsa_user_sgpr_private_segment_size 0
		.amdhsa_uses_dynamic_stack 0
		.amdhsa_enable_private_segment 0
		.amdhsa_system_sgpr_workgroup_id_x 1
		.amdhsa_system_sgpr_workgroup_id_y 0
		.amdhsa_system_sgpr_workgroup_id_z 0
		.amdhsa_system_sgpr_workgroup_info 0
		.amdhsa_system_vgpr_workitem_id 0
		.amdhsa_next_free_vgpr 126
		.amdhsa_next_free_sgpr 50
		.amdhsa_accum_offset 128
		.amdhsa_reserve_vcc 1
		.amdhsa_float_round_mode_32 0
		.amdhsa_float_round_mode_16_64 0
		.amdhsa_float_denorm_mode_32 3
		.amdhsa_float_denorm_mode_16_64 3
		.amdhsa_dx10_clamp 1
		.amdhsa_ieee_mode 1
		.amdhsa_fp16_overflow 0
		.amdhsa_tg_split 0
		.amdhsa_exception_fp_ieee_invalid_op 0
		.amdhsa_exception_fp_denorm_src 0
		.amdhsa_exception_fp_ieee_div_zero 0
		.amdhsa_exception_fp_ieee_overflow 0
		.amdhsa_exception_fp_ieee_underflow 0
		.amdhsa_exception_fp_ieee_inexact 0
		.amdhsa_exception_int_div_zero 0
	.end_amdhsa_kernel
	.section	.text._ZN9rocsolver6v33100L18trti2_kernel_smallILi16EdPdEEv13rocblas_fill_17rocblas_diagonal_T1_iil,"axG",@progbits,_ZN9rocsolver6v33100L18trti2_kernel_smallILi16EdPdEEv13rocblas_fill_17rocblas_diagonal_T1_iil,comdat
.Lfunc_end15:
	.size	_ZN9rocsolver6v33100L18trti2_kernel_smallILi16EdPdEEv13rocblas_fill_17rocblas_diagonal_T1_iil, .Lfunc_end15-_ZN9rocsolver6v33100L18trti2_kernel_smallILi16EdPdEEv13rocblas_fill_17rocblas_diagonal_T1_iil
                                        ; -- End function
	.set _ZN9rocsolver6v33100L18trti2_kernel_smallILi16EdPdEEv13rocblas_fill_17rocblas_diagonal_T1_iil.num_vgpr, 126
	.set _ZN9rocsolver6v33100L18trti2_kernel_smallILi16EdPdEEv13rocblas_fill_17rocblas_diagonal_T1_iil.num_agpr, 0
	.set _ZN9rocsolver6v33100L18trti2_kernel_smallILi16EdPdEEv13rocblas_fill_17rocblas_diagonal_T1_iil.numbered_sgpr, 50
	.set _ZN9rocsolver6v33100L18trti2_kernel_smallILi16EdPdEEv13rocblas_fill_17rocblas_diagonal_T1_iil.num_named_barrier, 0
	.set _ZN9rocsolver6v33100L18trti2_kernel_smallILi16EdPdEEv13rocblas_fill_17rocblas_diagonal_T1_iil.private_seg_size, 0
	.set _ZN9rocsolver6v33100L18trti2_kernel_smallILi16EdPdEEv13rocblas_fill_17rocblas_diagonal_T1_iil.uses_vcc, 1
	.set _ZN9rocsolver6v33100L18trti2_kernel_smallILi16EdPdEEv13rocblas_fill_17rocblas_diagonal_T1_iil.uses_flat_scratch, 0
	.set _ZN9rocsolver6v33100L18trti2_kernel_smallILi16EdPdEEv13rocblas_fill_17rocblas_diagonal_T1_iil.has_dyn_sized_stack, 0
	.set _ZN9rocsolver6v33100L18trti2_kernel_smallILi16EdPdEEv13rocblas_fill_17rocblas_diagonal_T1_iil.has_recursion, 0
	.set _ZN9rocsolver6v33100L18trti2_kernel_smallILi16EdPdEEv13rocblas_fill_17rocblas_diagonal_T1_iil.has_indirect_call, 0
	.section	.AMDGPU.csdata,"",@progbits
; Kernel info:
; codeLenInByte = 33056
; TotalNumSgprs: 56
; NumVgprs: 126
; NumAgprs: 0
; TotalNumVgprs: 126
; ScratchSize: 0
; MemoryBound: 0
; FloatMode: 240
; IeeeMode: 1
; LDSByteSize: 256 bytes/workgroup (compile time only)
; SGPRBlocks: 6
; VGPRBlocks: 15
; NumSGPRsForWavesPerEU: 56
; NumVGPRsForWavesPerEU: 126
; AccumOffset: 128
; Occupancy: 4
; WaveLimiterHint : 0
; COMPUTE_PGM_RSRC2:SCRATCH_EN: 0
; COMPUTE_PGM_RSRC2:USER_SGPR: 2
; COMPUTE_PGM_RSRC2:TRAP_HANDLER: 0
; COMPUTE_PGM_RSRC2:TGID_X_EN: 1
; COMPUTE_PGM_RSRC2:TGID_Y_EN: 0
; COMPUTE_PGM_RSRC2:TGID_Z_EN: 0
; COMPUTE_PGM_RSRC2:TIDIG_COMP_CNT: 0
; COMPUTE_PGM_RSRC3_GFX90A:ACCUM_OFFSET: 31
; COMPUTE_PGM_RSRC3_GFX90A:TG_SPLIT: 0
	.section	.text._ZN9rocsolver6v33100L18trti2_kernel_smallILi17EdPdEEv13rocblas_fill_17rocblas_diagonal_T1_iil,"axG",@progbits,_ZN9rocsolver6v33100L18trti2_kernel_smallILi17EdPdEEv13rocblas_fill_17rocblas_diagonal_T1_iil,comdat
	.globl	_ZN9rocsolver6v33100L18trti2_kernel_smallILi17EdPdEEv13rocblas_fill_17rocblas_diagonal_T1_iil ; -- Begin function _ZN9rocsolver6v33100L18trti2_kernel_smallILi17EdPdEEv13rocblas_fill_17rocblas_diagonal_T1_iil
	.p2align	8
	.type	_ZN9rocsolver6v33100L18trti2_kernel_smallILi17EdPdEEv13rocblas_fill_17rocblas_diagonal_T1_iil,@function
_ZN9rocsolver6v33100L18trti2_kernel_smallILi17EdPdEEv13rocblas_fill_17rocblas_diagonal_T1_iil: ; @_ZN9rocsolver6v33100L18trti2_kernel_smallILi17EdPdEEv13rocblas_fill_17rocblas_diagonal_T1_iil
; %bb.0:
	v_cmp_gt_u32_e32 vcc, 17, v0
	s_and_saveexec_b64 s[4:5], vcc
	s_cbranch_execz .LBB16_310
; %bb.1:
	s_load_dwordx8 s[4:11], s[0:1], 0x0
	s_ashr_i32 s3, s2, 31
	v_lshlrev_b32_e32 v20, 3, v0
	v_mov_b32_e32 v21, 0
	s_waitcnt lgkmcnt(0)
	s_ashr_i32 s1, s8, 31
	s_mov_b32 s0, s8
	s_mul_hi_u32 s8, s10, s2
	s_mul_i32 s3, s10, s3
	s_add_i32 s3, s8, s3
	s_mul_i32 s8, s11, s2
	s_add_i32 s3, s3, s8
	s_mul_i32 s2, s10, s2
	s_lshl_b64 s[2:3], s[2:3], 3
	s_add_u32 s2, s6, s2
	s_addc_u32 s3, s7, s3
	s_lshl_b64 s[0:1], s[0:1], 3
	s_add_u32 s0, s2, s0
	s_addc_u32 s1, s3, s1
	v_lshl_add_u64 v[2:3], s[0:1], 0, v[20:21]
	s_ashr_i32 s3, s9, 31
	s_mov_b32 s2, s9
	v_lshl_add_u64 v[4:5], s[2:3], 3, v[2:3]
	global_load_dwordx2 v[6:7], v20, s[0:1]
	global_load_dwordx2 v[8:9], v[4:5], off
	s_add_i32 s2, s9, s9
	s_cmpk_lg_i32 s5, 0x84
	s_cselect_b64 s[6:7], -1, 0
	s_cmpk_eq_i32 s5, 0x84
	s_waitcnt vmcnt(0)
	scratch_store_dwordx4 off, v[6:9], off
	s_nop 1
	v_add_u32_e32 v8, s2, v0
	v_add_u32_e32 v10, s9, v8
	v_ashrrev_i32_e32 v9, 31, v8
	v_ashrrev_i32_e32 v11, 31, v10
	v_lshl_add_u64 v[6:7], v[8:9], 3, s[0:1]
	v_lshl_add_u64 v[8:9], v[10:11], 3, s[0:1]
	global_load_dwordx2 v[12:13], v[6:7], off
	global_load_dwordx2 v[14:15], v[8:9], off
	s_waitcnt vmcnt(0)
	scratch_store_dwordx4 off, v[12:15], off offset:16
	s_nop 1
	v_add_u32_e32 v12, s9, v10
	v_add_u32_e32 v14, s9, v12
	v_ashrrev_i32_e32 v13, 31, v12
	v_ashrrev_i32_e32 v15, 31, v14
	v_lshl_add_u64 v[10:11], v[12:13], 3, s[0:1]
	v_lshl_add_u64 v[12:13], v[14:15], 3, s[0:1]
	global_load_dwordx2 v[16:17], v[10:11], off
	global_load_dwordx2 v[18:19], v[12:13], off
	s_waitcnt vmcnt(0)
	scratch_store_dwordx4 off, v[16:19], off offset:32
	;; [unrolled: 11-line block ×5, first 2 shown]
	s_nop 1
	v_add_u32_e32 v30, s9, v28
	v_add_u32_e32 v32, s9, v30
	v_ashrrev_i32_e32 v31, 31, v30
	v_ashrrev_i32_e32 v33, 31, v32
	v_lshl_add_u64 v[28:29], v[30:31], 3, s[0:1]
	v_lshl_add_u64 v[30:31], v[32:33], 3, s[0:1]
	global_load_dwordx2 v[34:35], v[28:29], off
	global_load_dwordx2 v[36:37], v[30:31], off
	v_add_u32_e32 v32, s9, v32
	v_ashrrev_i32_e32 v33, 31, v32
	s_waitcnt vmcnt(0)
	scratch_store_dwordx4 off, v[34:37], off offset:96
	s_nop 1
	v_lshl_add_u64 v[34:35], v[32:33], 3, s[0:1]
	v_add_u32_e32 v32, s9, v32
	v_ashrrev_i32_e32 v33, 31, v32
	v_lshl_add_u64 v[36:37], v[32:33], 3, s[0:1]
	global_load_dwordx2 v[38:39], v[34:35], off
	global_load_dwordx2 v[40:41], v[36:37], off
	v_add_u32_e32 v32, s9, v32
	v_ashrrev_i32_e32 v33, 31, v32
	v_lshl_add_u64 v[32:33], v[32:33], 3, s[0:1]
	s_waitcnt vmcnt(0)
	scratch_store_dwordx4 off, v[38:41], off offset:112
	global_load_dwordx2 v[38:39], v[32:33], off
	s_waitcnt vmcnt(0)
	scratch_store_dwordx2 off, v[38:39], off offset:128
	v_mov_b64_e32 v[38:39], -1.0
	s_cbranch_scc1 .LBB16_3
; %bb.2:
	scratch_load_dwordx2 v[38:39], v20, off
	s_waitcnt vmcnt(0)
	v_div_scale_f64 v[40:41], s[0:1], v[38:39], v[38:39], 1.0
	v_rcp_f64_e32 v[42:43], v[40:41]
	v_div_scale_f64 v[44:45], vcc, 1.0, v[38:39], 1.0
	v_fma_f64 v[46:47], -v[40:41], v[42:43], 1.0
	v_fmac_f64_e32 v[42:43], v[42:43], v[46:47]
	v_fma_f64 v[46:47], -v[40:41], v[42:43], 1.0
	v_fmac_f64_e32 v[42:43], v[42:43], v[46:47]
	v_mul_f64 v[46:47], v[44:45], v[42:43]
	v_fma_f64 v[40:41], -v[40:41], v[46:47], v[44:45]
	v_div_fmas_f64 v[40:41], v[40:41], v[42:43], v[46:47]
	v_div_fixup_f64 v[38:39], v[40:41], v[38:39], 1.0
	scratch_store_dwordx2 v20, v[38:39], off
	v_xor_b32_e32 v39, 0x80000000, v39
.LBB16_3:
	s_cmpk_eq_i32 s4, 0x79
	v_add_u32_e32 v1, 0x90, v20
	v_mov_b32_e32 v21, v20
	s_mov_b64 s[0:1], -1
	ds_write_b64 v20, v[38:39]
	s_cbranch_scc1 .LBB16_157
; %bb.4:
	scratch_load_dwordx2 v[38:39], off, off offset:120
	s_movk_i32 s8, 0x50
	s_movk_i32 s9, 0x60
	;; [unrolled: 1-line block ×3, first 2 shown]
	v_cmp_eq_u32_e64 s[0:1], 16, v0
	s_waitcnt vmcnt(0)
	ds_write_b64 v1, v[38:39]
	s_waitcnt lgkmcnt(0)
	; wave barrier
	s_and_saveexec_b64 s[2:3], s[0:1]
	s_cbranch_execz .LBB16_10
; %bb.5:
	s_and_b64 vcc, exec, s[6:7]
	s_cbranch_vccz .LBB16_7
; %bb.6:
	scratch_load_dwordx2 v[38:39], v21, off
	ds_read_b64 v[40:41], v1
	s_waitcnt vmcnt(0) lgkmcnt(0)
	v_mul_f64 v[38:39], v[38:39], v[40:41]
	s_cbranch_execz .LBB16_8
	s_branch .LBB16_9
.LBB16_7:
                                        ; implicit-def: $vgpr38_vgpr39
.LBB16_8:
	ds_read_b64 v[38:39], v1
.LBB16_9:
	v_mov_b32_e32 v40, 0
	ds_read_b64 v[40:41], v40 offset:120
	s_waitcnt lgkmcnt(0)
	v_mul_f64 v[38:39], v[38:39], v[40:41]
	scratch_store_dwordx2 off, v[38:39], off offset:120
.LBB16_10:
	s_or_b64 exec, exec, s[2:3]
	scratch_load_dwordx2 v[38:39], off, off offset:112
	s_mov_b32 s10, 16
	s_mov_b32 s11, 32
	s_mov_b32 s12, 48
	s_mov_b32 s13, 64
	s_mov_b32 s14, s8
	s_mov_b32 s15, s9
	v_cmp_lt_u32_e64 s[4:5], 14, v0
	s_waitcnt vmcnt(0)
	ds_write_b64 v1, v[38:39]
	s_waitcnt lgkmcnt(0)
	; wave barrier
	s_and_saveexec_b64 s[2:3], s[4:5]
	s_cbranch_execz .LBB16_16
; %bb.11:
	s_andn2_b64 vcc, exec, s[6:7]
	s_cbranch_vccnz .LBB16_13
; %bb.12:
	scratch_load_dwordx2 v[38:39], v21, off
	ds_read_b64 v[40:41], v1
	s_waitcnt vmcnt(0) lgkmcnt(0)
	v_mul_f64 v[38:39], v[38:39], v[40:41]
	s_cbranch_execz .LBB16_14
	s_branch .LBB16_15
.LBB16_13:
                                        ; implicit-def: $vgpr38_vgpr39
.LBB16_14:
	ds_read_b64 v[38:39], v1
.LBB16_15:
	scratch_load_dwordx2 v[44:45], off, off offset:120
	v_mov_b32_e32 v40, 0
	ds_read2_b64 v[40:43], v40 offset0:14 offset1:33
	s_waitcnt vmcnt(0) lgkmcnt(0)
	v_fma_f64 v[42:43], v[44:45], v[42:43], v[38:39]
	v_cndmask_b32_e64 v39, v39, v43, s[0:1]
	v_cndmask_b32_e64 v38, v38, v42, s[0:1]
	v_mul_f64 v[38:39], v[38:39], v[40:41]
	scratch_store_dwordx2 off, v[38:39], off offset:112
.LBB16_16:
	s_or_b64 exec, exec, s[2:3]
	scratch_load_dwordx2 v[38:39], off, off offset:104
	v_cmp_lt_u32_e64 s[2:3], 13, v0
	s_waitcnt vmcnt(0)
	ds_write_b64 v1, v[38:39]
	s_waitcnt lgkmcnt(0)
	; wave barrier
	s_and_saveexec_b64 s[0:1], s[2:3]
	s_cbranch_execz .LBB16_26
; %bb.17:
	s_andn2_b64 vcc, exec, s[6:7]
	s_cbranch_vccnz .LBB16_19
; %bb.18:
	scratch_load_dwordx2 v[38:39], v21, off
	ds_read_b64 v[40:41], v1
	s_waitcnt vmcnt(0) lgkmcnt(0)
	v_mul_f64 v[38:39], v[38:39], v[40:41]
	s_cbranch_execz .LBB16_20
	s_branch .LBB16_21
.LBB16_19:
                                        ; implicit-def: $vgpr38_vgpr39
.LBB16_20:
	ds_read_b64 v[38:39], v1
.LBB16_21:
	s_and_saveexec_b64 s[8:9], s[4:5]
	s_cbranch_execz .LBB16_25
; %bb.22:
	v_add_u32_e32 v40, -14, v0
	s_movk_i32 s17, 0x100
	s_mov_b64 s[4:5], 0
.LBB16_23:                              ; =>This Inner Loop Header: Depth=1
	scratch_load_dwordx2 v[42:43], off, s16
	v_mov_b32_e32 v41, s17
	ds_read_b64 v[44:45], v41
	v_add_u32_e32 v40, -1, v40
	s_add_i32 s17, s17, 8
	s_add_i32 s16, s16, 8
	v_cmp_eq_u32_e32 vcc, 0, v40
	s_or_b64 s[4:5], vcc, s[4:5]
	s_waitcnt vmcnt(0) lgkmcnt(0)
	v_fmac_f64_e32 v[38:39], v[42:43], v[44:45]
	s_andn2_b64 exec, exec, s[4:5]
	s_cbranch_execnz .LBB16_23
; %bb.24:
	s_or_b64 exec, exec, s[4:5]
.LBB16_25:
	s_or_b64 exec, exec, s[8:9]
	v_mov_b32_e32 v40, 0
	ds_read_b64 v[40:41], v40 offset:104
	s_waitcnt lgkmcnt(0)
	v_mul_f64 v[38:39], v[38:39], v[40:41]
	scratch_store_dwordx2 off, v[38:39], off offset:104
.LBB16_26:
	s_or_b64 exec, exec, s[0:1]
	scratch_load_dwordx2 v[38:39], off, off offset:96
	v_cmp_lt_u32_e64 s[0:1], 12, v0
	s_waitcnt vmcnt(0)
	ds_write_b64 v1, v[38:39]
	s_waitcnt lgkmcnt(0)
	; wave barrier
	s_and_saveexec_b64 s[4:5], s[0:1]
	s_cbranch_execz .LBB16_36
; %bb.27:
	s_andn2_b64 vcc, exec, s[6:7]
	s_cbranch_vccnz .LBB16_29
; %bb.28:
	scratch_load_dwordx2 v[38:39], v21, off
	ds_read_b64 v[40:41], v1
	s_waitcnt vmcnt(0) lgkmcnt(0)
	v_mul_f64 v[38:39], v[38:39], v[40:41]
	s_cbranch_execz .LBB16_30
	s_branch .LBB16_31
.LBB16_29:
                                        ; implicit-def: $vgpr38_vgpr39
.LBB16_30:
	ds_read_b64 v[38:39], v1
.LBB16_31:
	s_and_saveexec_b64 s[8:9], s[2:3]
	s_cbranch_execz .LBB16_35
; %bb.32:
	s_movk_i32 s16, 0x68
	v_add_u32_e32 v40, -13, v0
	s_movk_i32 s17, 0xf8
	s_mov_b64 s[2:3], 0
.LBB16_33:                              ; =>This Inner Loop Header: Depth=1
	scratch_load_dwordx2 v[42:43], off, s16
	v_mov_b32_e32 v41, s17
	ds_read_b64 v[44:45], v41
	v_add_u32_e32 v40, -1, v40
	s_add_i32 s17, s17, 8
	s_add_i32 s16, s16, 8
	v_cmp_eq_u32_e32 vcc, 0, v40
	s_or_b64 s[2:3], vcc, s[2:3]
	s_waitcnt vmcnt(0) lgkmcnt(0)
	v_fmac_f64_e32 v[38:39], v[42:43], v[44:45]
	s_andn2_b64 exec, exec, s[2:3]
	s_cbranch_execnz .LBB16_33
; %bb.34:
	s_or_b64 exec, exec, s[2:3]
.LBB16_35:
	s_or_b64 exec, exec, s[8:9]
	v_mov_b32_e32 v40, 0
	ds_read_b64 v[40:41], v40 offset:96
	s_waitcnt lgkmcnt(0)
	v_mul_f64 v[38:39], v[38:39], v[40:41]
	scratch_store_dwordx2 off, v[38:39], off offset:96
.LBB16_36:
	s_or_b64 exec, exec, s[4:5]
	scratch_load_dwordx2 v[38:39], off, off offset:88
	v_cmp_lt_u32_e64 s[2:3], 11, v0
	s_waitcnt vmcnt(0)
	ds_write_b64 v1, v[38:39]
	s_waitcnt lgkmcnt(0)
	; wave barrier
	s_and_saveexec_b64 s[4:5], s[2:3]
	s_cbranch_execz .LBB16_46
; %bb.37:
	s_andn2_b64 vcc, exec, s[6:7]
	s_cbranch_vccnz .LBB16_39
; %bb.38:
	scratch_load_dwordx2 v[38:39], v21, off
	ds_read_b64 v[40:41], v1
	s_waitcnt vmcnt(0) lgkmcnt(0)
	v_mul_f64 v[38:39], v[38:39], v[40:41]
	s_cbranch_execz .LBB16_40
	s_branch .LBB16_41
.LBB16_39:
                                        ; implicit-def: $vgpr38_vgpr39
.LBB16_40:
	ds_read_b64 v[38:39], v1
.LBB16_41:
	s_and_saveexec_b64 s[8:9], s[0:1]
	s_cbranch_execz .LBB16_45
; %bb.42:
	v_add_u32_e32 v40, -12, v0
	s_movk_i32 s16, 0xf0
	s_mov_b64 s[0:1], 0
.LBB16_43:                              ; =>This Inner Loop Header: Depth=1
	scratch_load_dwordx2 v[42:43], off, s15
	v_mov_b32_e32 v41, s16
	ds_read_b64 v[44:45], v41
	v_add_u32_e32 v40, -1, v40
	s_add_i32 s16, s16, 8
	s_add_i32 s15, s15, 8
	v_cmp_eq_u32_e32 vcc, 0, v40
	s_or_b64 s[0:1], vcc, s[0:1]
	s_waitcnt vmcnt(0) lgkmcnt(0)
	v_fmac_f64_e32 v[38:39], v[42:43], v[44:45]
	s_andn2_b64 exec, exec, s[0:1]
	s_cbranch_execnz .LBB16_43
; %bb.44:
	s_or_b64 exec, exec, s[0:1]
.LBB16_45:
	s_or_b64 exec, exec, s[8:9]
	v_mov_b32_e32 v40, 0
	ds_read_b64 v[40:41], v40 offset:88
	s_waitcnt lgkmcnt(0)
	v_mul_f64 v[38:39], v[38:39], v[40:41]
	scratch_store_dwordx2 off, v[38:39], off offset:88
.LBB16_46:
	s_or_b64 exec, exec, s[4:5]
	scratch_load_dwordx2 v[38:39], off, off offset:80
	v_cmp_lt_u32_e64 s[0:1], 10, v0
	s_waitcnt vmcnt(0)
	ds_write_b64 v1, v[38:39]
	s_waitcnt lgkmcnt(0)
	; wave barrier
	s_and_saveexec_b64 s[4:5], s[0:1]
	s_cbranch_execz .LBB16_56
; %bb.47:
	s_andn2_b64 vcc, exec, s[6:7]
	s_cbranch_vccnz .LBB16_49
; %bb.48:
	scratch_load_dwordx2 v[38:39], v21, off
	ds_read_b64 v[40:41], v1
	s_waitcnt vmcnt(0) lgkmcnt(0)
	v_mul_f64 v[38:39], v[38:39], v[40:41]
	s_cbranch_execz .LBB16_50
	s_branch .LBB16_51
.LBB16_49:
                                        ; implicit-def: $vgpr38_vgpr39
.LBB16_50:
	ds_read_b64 v[38:39], v1
.LBB16_51:
	s_and_saveexec_b64 s[8:9], s[2:3]
	s_cbranch_execz .LBB16_55
; %bb.52:
	s_movk_i32 s15, 0x58
	v_add_u32_e32 v40, -11, v0
	s_movk_i32 s16, 0xe8
	s_mov_b64 s[2:3], 0
.LBB16_53:                              ; =>This Inner Loop Header: Depth=1
	scratch_load_dwordx2 v[42:43], off, s15
	v_mov_b32_e32 v41, s16
	ds_read_b64 v[44:45], v41
	v_add_u32_e32 v40, -1, v40
	s_add_i32 s16, s16, 8
	s_add_i32 s15, s15, 8
	v_cmp_eq_u32_e32 vcc, 0, v40
	s_or_b64 s[2:3], vcc, s[2:3]
	s_waitcnt vmcnt(0) lgkmcnt(0)
	v_fmac_f64_e32 v[38:39], v[42:43], v[44:45]
	s_andn2_b64 exec, exec, s[2:3]
	s_cbranch_execnz .LBB16_53
; %bb.54:
	s_or_b64 exec, exec, s[2:3]
.LBB16_55:
	s_or_b64 exec, exec, s[8:9]
	v_mov_b32_e32 v40, 0
	ds_read_b64 v[40:41], v40 offset:80
	s_waitcnt lgkmcnt(0)
	v_mul_f64 v[38:39], v[38:39], v[40:41]
	scratch_store_dwordx2 off, v[38:39], off offset:80
.LBB16_56:
	s_or_b64 exec, exec, s[4:5]
	scratch_load_dwordx2 v[38:39], off, off offset:72
	v_cmp_lt_u32_e64 s[2:3], 9, v0
	s_waitcnt vmcnt(0)
	ds_write_b64 v1, v[38:39]
	s_waitcnt lgkmcnt(0)
	; wave barrier
	s_and_saveexec_b64 s[4:5], s[2:3]
	s_cbranch_execz .LBB16_66
; %bb.57:
	s_andn2_b64 vcc, exec, s[6:7]
	s_cbranch_vccnz .LBB16_59
; %bb.58:
	scratch_load_dwordx2 v[38:39], v21, off
	ds_read_b64 v[40:41], v1
	s_waitcnt vmcnt(0) lgkmcnt(0)
	v_mul_f64 v[38:39], v[38:39], v[40:41]
	s_cbranch_execz .LBB16_60
	s_branch .LBB16_61
.LBB16_59:
                                        ; implicit-def: $vgpr38_vgpr39
.LBB16_60:
	ds_read_b64 v[38:39], v1
.LBB16_61:
	s_and_saveexec_b64 s[8:9], s[0:1]
	s_cbranch_execz .LBB16_65
; %bb.62:
	v_add_u32_e32 v40, -10, v0
	s_movk_i32 s15, 0xe0
	s_mov_b64 s[0:1], 0
.LBB16_63:                              ; =>This Inner Loop Header: Depth=1
	scratch_load_dwordx2 v[42:43], off, s14
	v_mov_b32_e32 v41, s15
	ds_read_b64 v[44:45], v41
	v_add_u32_e32 v40, -1, v40
	s_add_i32 s15, s15, 8
	s_add_i32 s14, s14, 8
	v_cmp_eq_u32_e32 vcc, 0, v40
	s_or_b64 s[0:1], vcc, s[0:1]
	s_waitcnt vmcnt(0) lgkmcnt(0)
	v_fmac_f64_e32 v[38:39], v[42:43], v[44:45]
	s_andn2_b64 exec, exec, s[0:1]
	s_cbranch_execnz .LBB16_63
; %bb.64:
	s_or_b64 exec, exec, s[0:1]
.LBB16_65:
	s_or_b64 exec, exec, s[8:9]
	v_mov_b32_e32 v40, 0
	ds_read_b64 v[40:41], v40 offset:72
	s_waitcnt lgkmcnt(0)
	v_mul_f64 v[38:39], v[38:39], v[40:41]
	scratch_store_dwordx2 off, v[38:39], off offset:72
.LBB16_66:
	s_or_b64 exec, exec, s[4:5]
	scratch_load_dwordx2 v[38:39], off, off offset:64
	v_cmp_lt_u32_e64 s[0:1], 8, v0
	s_waitcnt vmcnt(0)
	ds_write_b64 v1, v[38:39]
	s_waitcnt lgkmcnt(0)
	; wave barrier
	s_and_saveexec_b64 s[4:5], s[0:1]
	s_cbranch_execz .LBB16_76
; %bb.67:
	s_andn2_b64 vcc, exec, s[6:7]
	s_cbranch_vccnz .LBB16_69
; %bb.68:
	scratch_load_dwordx2 v[38:39], v21, off
	ds_read_b64 v[40:41], v1
	s_waitcnt vmcnt(0) lgkmcnt(0)
	v_mul_f64 v[38:39], v[38:39], v[40:41]
	s_cbranch_execz .LBB16_70
	s_branch .LBB16_71
.LBB16_69:
                                        ; implicit-def: $vgpr38_vgpr39
.LBB16_70:
	ds_read_b64 v[38:39], v1
.LBB16_71:
	s_and_saveexec_b64 s[8:9], s[2:3]
	s_cbranch_execz .LBB16_75
; %bb.72:
	s_movk_i32 s14, 0x48
	v_add_u32_e32 v40, -9, v0
	s_movk_i32 s15, 0xd8
	s_mov_b64 s[2:3], 0
.LBB16_73:                              ; =>This Inner Loop Header: Depth=1
	scratch_load_dwordx2 v[42:43], off, s14
	v_mov_b32_e32 v41, s15
	ds_read_b64 v[44:45], v41
	v_add_u32_e32 v40, -1, v40
	s_add_i32 s15, s15, 8
	s_add_i32 s14, s14, 8
	v_cmp_eq_u32_e32 vcc, 0, v40
	s_or_b64 s[2:3], vcc, s[2:3]
	s_waitcnt vmcnt(0) lgkmcnt(0)
	v_fmac_f64_e32 v[38:39], v[42:43], v[44:45]
	s_andn2_b64 exec, exec, s[2:3]
	s_cbranch_execnz .LBB16_73
; %bb.74:
	s_or_b64 exec, exec, s[2:3]
.LBB16_75:
	s_or_b64 exec, exec, s[8:9]
	v_mov_b32_e32 v40, 0
	ds_read_b64 v[40:41], v40 offset:64
	s_waitcnt lgkmcnt(0)
	v_mul_f64 v[38:39], v[38:39], v[40:41]
	scratch_store_dwordx2 off, v[38:39], off offset:64
.LBB16_76:
	s_or_b64 exec, exec, s[4:5]
	scratch_load_dwordx2 v[38:39], off, off offset:56
	v_cmp_lt_u32_e64 s[2:3], 7, v0
	s_waitcnt vmcnt(0)
	ds_write_b64 v1, v[38:39]
	s_waitcnt lgkmcnt(0)
	; wave barrier
	s_and_saveexec_b64 s[4:5], s[2:3]
	s_cbranch_execz .LBB16_86
; %bb.77:
	s_andn2_b64 vcc, exec, s[6:7]
	s_cbranch_vccnz .LBB16_79
; %bb.78:
	scratch_load_dwordx2 v[38:39], v21, off
	ds_read_b64 v[40:41], v1
	s_waitcnt vmcnt(0) lgkmcnt(0)
	v_mul_f64 v[38:39], v[38:39], v[40:41]
	s_cbranch_execz .LBB16_80
	s_branch .LBB16_81
.LBB16_79:
                                        ; implicit-def: $vgpr38_vgpr39
.LBB16_80:
	ds_read_b64 v[38:39], v1
.LBB16_81:
	s_and_saveexec_b64 s[8:9], s[0:1]
	s_cbranch_execz .LBB16_85
; %bb.82:
	v_add_u32_e32 v40, -8, v0
	s_movk_i32 s14, 0xd0
	s_mov_b64 s[0:1], 0
.LBB16_83:                              ; =>This Inner Loop Header: Depth=1
	scratch_load_dwordx2 v[42:43], off, s13
	v_mov_b32_e32 v41, s14
	ds_read_b64 v[44:45], v41
	v_add_u32_e32 v40, -1, v40
	s_add_i32 s14, s14, 8
	s_add_i32 s13, s13, 8
	v_cmp_eq_u32_e32 vcc, 0, v40
	s_or_b64 s[0:1], vcc, s[0:1]
	s_waitcnt vmcnt(0) lgkmcnt(0)
	v_fmac_f64_e32 v[38:39], v[42:43], v[44:45]
	s_andn2_b64 exec, exec, s[0:1]
	s_cbranch_execnz .LBB16_83
; %bb.84:
	s_or_b64 exec, exec, s[0:1]
.LBB16_85:
	s_or_b64 exec, exec, s[8:9]
	v_mov_b32_e32 v40, 0
	ds_read_b64 v[40:41], v40 offset:56
	s_waitcnt lgkmcnt(0)
	v_mul_f64 v[38:39], v[38:39], v[40:41]
	scratch_store_dwordx2 off, v[38:39], off offset:56
.LBB16_86:
	s_or_b64 exec, exec, s[4:5]
	scratch_load_dwordx2 v[38:39], off, off offset:48
	v_cmp_lt_u32_e64 s[0:1], 6, v0
	s_waitcnt vmcnt(0)
	ds_write_b64 v1, v[38:39]
	s_waitcnt lgkmcnt(0)
	; wave barrier
	s_and_saveexec_b64 s[4:5], s[0:1]
	s_cbranch_execz .LBB16_96
; %bb.87:
	s_andn2_b64 vcc, exec, s[6:7]
	s_cbranch_vccnz .LBB16_89
; %bb.88:
	scratch_load_dwordx2 v[38:39], v21, off
	ds_read_b64 v[40:41], v1
	s_waitcnt vmcnt(0) lgkmcnt(0)
	v_mul_f64 v[38:39], v[38:39], v[40:41]
	s_cbranch_execz .LBB16_90
	s_branch .LBB16_91
.LBB16_89:
                                        ; implicit-def: $vgpr38_vgpr39
.LBB16_90:
	ds_read_b64 v[38:39], v1
.LBB16_91:
	s_and_saveexec_b64 s[8:9], s[2:3]
	s_cbranch_execz .LBB16_95
; %bb.92:
	s_mov_b32 s13, 56
	v_add_u32_e32 v40, -7, v0
	s_movk_i32 s14, 0xc8
	s_mov_b64 s[2:3], 0
.LBB16_93:                              ; =>This Inner Loop Header: Depth=1
	scratch_load_dwordx2 v[42:43], off, s13
	v_mov_b32_e32 v41, s14
	ds_read_b64 v[44:45], v41
	v_add_u32_e32 v40, -1, v40
	s_add_i32 s14, s14, 8
	s_add_i32 s13, s13, 8
	v_cmp_eq_u32_e32 vcc, 0, v40
	s_or_b64 s[2:3], vcc, s[2:3]
	s_waitcnt vmcnt(0) lgkmcnt(0)
	v_fmac_f64_e32 v[38:39], v[42:43], v[44:45]
	s_andn2_b64 exec, exec, s[2:3]
	s_cbranch_execnz .LBB16_93
; %bb.94:
	s_or_b64 exec, exec, s[2:3]
.LBB16_95:
	s_or_b64 exec, exec, s[8:9]
	v_mov_b32_e32 v40, 0
	ds_read_b64 v[40:41], v40 offset:48
	s_waitcnt lgkmcnt(0)
	v_mul_f64 v[38:39], v[38:39], v[40:41]
	scratch_store_dwordx2 off, v[38:39], off offset:48
.LBB16_96:
	s_or_b64 exec, exec, s[4:5]
	scratch_load_dwordx2 v[38:39], off, off offset:40
	v_cmp_lt_u32_e64 s[2:3], 5, v0
	s_waitcnt vmcnt(0)
	ds_write_b64 v1, v[38:39]
	s_waitcnt lgkmcnt(0)
	; wave barrier
	s_and_saveexec_b64 s[4:5], s[2:3]
	s_cbranch_execz .LBB16_106
; %bb.97:
	s_andn2_b64 vcc, exec, s[6:7]
	s_cbranch_vccnz .LBB16_99
; %bb.98:
	scratch_load_dwordx2 v[38:39], v21, off
	ds_read_b64 v[40:41], v1
	s_waitcnt vmcnt(0) lgkmcnt(0)
	v_mul_f64 v[38:39], v[38:39], v[40:41]
	s_cbranch_execz .LBB16_100
	s_branch .LBB16_101
.LBB16_99:
                                        ; implicit-def: $vgpr38_vgpr39
.LBB16_100:
	ds_read_b64 v[38:39], v1
.LBB16_101:
	s_and_saveexec_b64 s[8:9], s[0:1]
	s_cbranch_execz .LBB16_105
; %bb.102:
	v_add_u32_e32 v40, -6, v0
	s_movk_i32 s13, 0xc0
	s_mov_b64 s[0:1], 0
.LBB16_103:                             ; =>This Inner Loop Header: Depth=1
	scratch_load_dwordx2 v[42:43], off, s12
	v_mov_b32_e32 v41, s13
	ds_read_b64 v[44:45], v41
	v_add_u32_e32 v40, -1, v40
	s_add_i32 s13, s13, 8
	s_add_i32 s12, s12, 8
	v_cmp_eq_u32_e32 vcc, 0, v40
	s_or_b64 s[0:1], vcc, s[0:1]
	s_waitcnt vmcnt(0) lgkmcnt(0)
	v_fmac_f64_e32 v[38:39], v[42:43], v[44:45]
	s_andn2_b64 exec, exec, s[0:1]
	s_cbranch_execnz .LBB16_103
; %bb.104:
	s_or_b64 exec, exec, s[0:1]
.LBB16_105:
	s_or_b64 exec, exec, s[8:9]
	v_mov_b32_e32 v40, 0
	ds_read_b64 v[40:41], v40 offset:40
	s_waitcnt lgkmcnt(0)
	v_mul_f64 v[38:39], v[38:39], v[40:41]
	scratch_store_dwordx2 off, v[38:39], off offset:40
.LBB16_106:
	s_or_b64 exec, exec, s[4:5]
	scratch_load_dwordx2 v[38:39], off, off offset:32
	v_cmp_lt_u32_e64 s[0:1], 4, v0
	s_waitcnt vmcnt(0)
	ds_write_b64 v1, v[38:39]
	s_waitcnt lgkmcnt(0)
	; wave barrier
	s_and_saveexec_b64 s[4:5], s[0:1]
	s_cbranch_execz .LBB16_116
; %bb.107:
	s_andn2_b64 vcc, exec, s[6:7]
	s_cbranch_vccnz .LBB16_109
; %bb.108:
	scratch_load_dwordx2 v[38:39], v21, off
	ds_read_b64 v[40:41], v1
	s_waitcnt vmcnt(0) lgkmcnt(0)
	v_mul_f64 v[38:39], v[38:39], v[40:41]
	s_cbranch_execz .LBB16_110
	s_branch .LBB16_111
.LBB16_109:
                                        ; implicit-def: $vgpr38_vgpr39
.LBB16_110:
	ds_read_b64 v[38:39], v1
.LBB16_111:
	s_and_saveexec_b64 s[8:9], s[2:3]
	s_cbranch_execz .LBB16_115
; %bb.112:
	s_mov_b32 s12, 40
	v_add_u32_e32 v40, -5, v0
	s_movk_i32 s13, 0xb8
	s_mov_b64 s[2:3], 0
.LBB16_113:                             ; =>This Inner Loop Header: Depth=1
	scratch_load_dwordx2 v[42:43], off, s12
	v_mov_b32_e32 v41, s13
	ds_read_b64 v[44:45], v41
	v_add_u32_e32 v40, -1, v40
	s_add_i32 s13, s13, 8
	s_add_i32 s12, s12, 8
	v_cmp_eq_u32_e32 vcc, 0, v40
	s_or_b64 s[2:3], vcc, s[2:3]
	s_waitcnt vmcnt(0) lgkmcnt(0)
	v_fmac_f64_e32 v[38:39], v[42:43], v[44:45]
	s_andn2_b64 exec, exec, s[2:3]
	s_cbranch_execnz .LBB16_113
; %bb.114:
	s_or_b64 exec, exec, s[2:3]
.LBB16_115:
	s_or_b64 exec, exec, s[8:9]
	v_mov_b32_e32 v40, 0
	ds_read_b64 v[40:41], v40 offset:32
	s_waitcnt lgkmcnt(0)
	v_mul_f64 v[38:39], v[38:39], v[40:41]
	scratch_store_dwordx2 off, v[38:39], off offset:32
.LBB16_116:
	s_or_b64 exec, exec, s[4:5]
	scratch_load_dwordx2 v[38:39], off, off offset:24
	v_cmp_lt_u32_e64 s[2:3], 3, v0
	s_waitcnt vmcnt(0)
	ds_write_b64 v1, v[38:39]
	s_waitcnt lgkmcnt(0)
	; wave barrier
	s_and_saveexec_b64 s[4:5], s[2:3]
	s_cbranch_execz .LBB16_126
; %bb.117:
	s_andn2_b64 vcc, exec, s[6:7]
	s_cbranch_vccnz .LBB16_119
; %bb.118:
	scratch_load_dwordx2 v[38:39], v21, off
	ds_read_b64 v[40:41], v1
	s_waitcnt vmcnt(0) lgkmcnt(0)
	v_mul_f64 v[38:39], v[38:39], v[40:41]
	s_cbranch_execz .LBB16_120
	s_branch .LBB16_121
.LBB16_119:
                                        ; implicit-def: $vgpr38_vgpr39
.LBB16_120:
	ds_read_b64 v[38:39], v1
.LBB16_121:
	s_and_saveexec_b64 s[8:9], s[0:1]
	s_cbranch_execz .LBB16_125
; %bb.122:
	v_add_u32_e32 v40, -4, v0
	s_movk_i32 s12, 0xb0
	s_mov_b64 s[0:1], 0
.LBB16_123:                             ; =>This Inner Loop Header: Depth=1
	scratch_load_dwordx2 v[42:43], off, s11
	v_mov_b32_e32 v41, s12
	ds_read_b64 v[44:45], v41
	v_add_u32_e32 v40, -1, v40
	s_add_i32 s12, s12, 8
	s_add_i32 s11, s11, 8
	v_cmp_eq_u32_e32 vcc, 0, v40
	s_or_b64 s[0:1], vcc, s[0:1]
	s_waitcnt vmcnt(0) lgkmcnt(0)
	v_fmac_f64_e32 v[38:39], v[42:43], v[44:45]
	s_andn2_b64 exec, exec, s[0:1]
	s_cbranch_execnz .LBB16_123
; %bb.124:
	s_or_b64 exec, exec, s[0:1]
.LBB16_125:
	s_or_b64 exec, exec, s[8:9]
	v_mov_b32_e32 v40, 0
	ds_read_b64 v[40:41], v40 offset:24
	s_waitcnt lgkmcnt(0)
	v_mul_f64 v[38:39], v[38:39], v[40:41]
	scratch_store_dwordx2 off, v[38:39], off offset:24
.LBB16_126:
	s_or_b64 exec, exec, s[4:5]
	scratch_load_dwordx2 v[38:39], off, off offset:16
	v_cmp_lt_u32_e64 s[0:1], 2, v0
	s_waitcnt vmcnt(0)
	ds_write_b64 v1, v[38:39]
	s_waitcnt lgkmcnt(0)
	; wave barrier
	s_and_saveexec_b64 s[4:5], s[0:1]
	s_cbranch_execz .LBB16_136
; %bb.127:
	s_andn2_b64 vcc, exec, s[6:7]
	s_cbranch_vccnz .LBB16_129
; %bb.128:
	scratch_load_dwordx2 v[38:39], v21, off
	ds_read_b64 v[40:41], v1
	s_waitcnt vmcnt(0) lgkmcnt(0)
	v_mul_f64 v[38:39], v[38:39], v[40:41]
	s_cbranch_execz .LBB16_130
	s_branch .LBB16_131
.LBB16_129:
                                        ; implicit-def: $vgpr38_vgpr39
.LBB16_130:
	ds_read_b64 v[38:39], v1
.LBB16_131:
	s_and_saveexec_b64 s[8:9], s[2:3]
	s_cbranch_execz .LBB16_135
; %bb.132:
	s_mov_b32 s11, 24
	v_add_u32_e32 v40, -3, v0
	s_movk_i32 s12, 0xa8
	s_mov_b64 s[2:3], 0
.LBB16_133:                             ; =>This Inner Loop Header: Depth=1
	scratch_load_dwordx2 v[42:43], off, s11
	v_mov_b32_e32 v41, s12
	ds_read_b64 v[44:45], v41
	v_add_u32_e32 v40, -1, v40
	s_add_i32 s12, s12, 8
	s_add_i32 s11, s11, 8
	v_cmp_eq_u32_e32 vcc, 0, v40
	s_or_b64 s[2:3], vcc, s[2:3]
	s_waitcnt vmcnt(0) lgkmcnt(0)
	v_fmac_f64_e32 v[38:39], v[42:43], v[44:45]
	s_andn2_b64 exec, exec, s[2:3]
	s_cbranch_execnz .LBB16_133
; %bb.134:
	s_or_b64 exec, exec, s[2:3]
.LBB16_135:
	s_or_b64 exec, exec, s[8:9]
	v_mov_b32_e32 v40, 0
	ds_read_b64 v[40:41], v40 offset:16
	s_waitcnt lgkmcnt(0)
	v_mul_f64 v[38:39], v[38:39], v[40:41]
	scratch_store_dwordx2 off, v[38:39], off offset:16
.LBB16_136:
	s_or_b64 exec, exec, s[4:5]
	scratch_load_dwordx2 v[38:39], off, off offset:8
	v_cmp_lt_u32_e64 s[2:3], 1, v0
	s_waitcnt vmcnt(0)
	ds_write_b64 v1, v[38:39]
	s_waitcnt lgkmcnt(0)
	; wave barrier
	s_and_saveexec_b64 s[4:5], s[2:3]
	s_cbranch_execz .LBB16_146
; %bb.137:
	s_andn2_b64 vcc, exec, s[6:7]
	s_cbranch_vccnz .LBB16_139
; %bb.138:
	scratch_load_dwordx2 v[38:39], v21, off
	ds_read_b64 v[40:41], v1
	s_waitcnt vmcnt(0) lgkmcnt(0)
	v_mul_f64 v[38:39], v[38:39], v[40:41]
	s_cbranch_execz .LBB16_140
	s_branch .LBB16_141
.LBB16_139:
                                        ; implicit-def: $vgpr38_vgpr39
.LBB16_140:
	ds_read_b64 v[38:39], v1
.LBB16_141:
	s_and_saveexec_b64 s[8:9], s[0:1]
	s_cbranch_execz .LBB16_145
; %bb.142:
	v_add_u32_e32 v40, -2, v0
	s_movk_i32 s11, 0xa0
	s_mov_b64 s[0:1], 0
.LBB16_143:                             ; =>This Inner Loop Header: Depth=1
	scratch_load_dwordx2 v[42:43], off, s10
	v_mov_b32_e32 v41, s11
	ds_read_b64 v[44:45], v41
	v_add_u32_e32 v40, -1, v40
	s_add_i32 s11, s11, 8
	s_add_i32 s10, s10, 8
	v_cmp_eq_u32_e32 vcc, 0, v40
	s_or_b64 s[0:1], vcc, s[0:1]
	s_waitcnt vmcnt(0) lgkmcnt(0)
	v_fmac_f64_e32 v[38:39], v[42:43], v[44:45]
	s_andn2_b64 exec, exec, s[0:1]
	s_cbranch_execnz .LBB16_143
; %bb.144:
	s_or_b64 exec, exec, s[0:1]
.LBB16_145:
	s_or_b64 exec, exec, s[8:9]
	v_mov_b32_e32 v40, 0
	ds_read_b64 v[40:41], v40 offset:8
	s_waitcnt lgkmcnt(0)
	v_mul_f64 v[38:39], v[38:39], v[40:41]
	scratch_store_dwordx2 off, v[38:39], off offset:8
.LBB16_146:
	s_or_b64 exec, exec, s[4:5]
	scratch_load_dwordx2 v[38:39], off, off
	v_cmp_ne_u32_e32 vcc, 0, v0
	s_waitcnt vmcnt(0)
	ds_write_b64 v1, v[38:39]
	s_waitcnt lgkmcnt(0)
	; wave barrier
	s_and_saveexec_b64 s[0:1], vcc
	s_cbranch_execz .LBB16_156
; %bb.147:
	s_andn2_b64 vcc, exec, s[6:7]
	s_cbranch_vccnz .LBB16_149
; %bb.148:
	scratch_load_dwordx2 v[38:39], v21, off
	ds_read_b64 v[40:41], v1
	s_waitcnt vmcnt(0) lgkmcnt(0)
	v_mul_f64 v[38:39], v[38:39], v[40:41]
	s_cbranch_execz .LBB16_150
	s_branch .LBB16_151
.LBB16_149:
                                        ; implicit-def: $vgpr38_vgpr39
.LBB16_150:
	ds_read_b64 v[38:39], v1
.LBB16_151:
	s_and_saveexec_b64 s[4:5], s[2:3]
	s_cbranch_execz .LBB16_155
; %bb.152:
	s_or_b32 s8, 0, 8
	v_add_u32_e32 v40, -1, v0
	s_movk_i32 s9, 0x98
	s_mov_b64 s[2:3], 0
.LBB16_153:                             ; =>This Inner Loop Header: Depth=1
	scratch_load_dwordx2 v[42:43], off, s8
	v_mov_b32_e32 v41, s9
	ds_read_b64 v[44:45], v41
	v_add_u32_e32 v40, -1, v40
	s_add_i32 s9, s9, 8
	s_add_i32 s8, s8, 8
	v_cmp_eq_u32_e32 vcc, 0, v40
	s_or_b64 s[2:3], vcc, s[2:3]
	s_waitcnt vmcnt(0) lgkmcnt(0)
	v_fmac_f64_e32 v[38:39], v[42:43], v[44:45]
	s_andn2_b64 exec, exec, s[2:3]
	s_cbranch_execnz .LBB16_153
; %bb.154:
	s_or_b64 exec, exec, s[2:3]
.LBB16_155:
	s_or_b64 exec, exec, s[4:5]
	v_mov_b32_e32 v40, 0
	ds_read_b64 v[40:41], v40
	s_waitcnt lgkmcnt(0)
	v_mul_f64 v[38:39], v[38:39], v[40:41]
	scratch_store_dwordx2 off, v[38:39], off
.LBB16_156:
	s_or_b64 exec, exec, s[0:1]
	s_mov_b64 s[0:1], 0
.LBB16_157:
	s_and_b64 vcc, exec, s[0:1]
	s_cbranch_vccz .LBB16_309
; %bb.158:
	scratch_load_dwordx2 v[38:39], off, off offset:8
	v_cmp_eq_u32_e64 s[2:3], 0, v0
	s_waitcnt vmcnt(0)
	ds_write_b64 v1, v[38:39]
	s_waitcnt lgkmcnt(0)
	; wave barrier
	s_and_saveexec_b64 s[0:1], s[2:3]
	s_cbranch_execz .LBB16_164
; %bb.159:
	s_and_b64 vcc, exec, s[6:7]
	s_cbranch_vccz .LBB16_161
; %bb.160:
	scratch_load_dwordx2 v[38:39], v21, off
	ds_read_b64 v[40:41], v1
	s_waitcnt vmcnt(0) lgkmcnt(0)
	v_mul_f64 v[38:39], v[38:39], v[40:41]
	s_cbranch_execz .LBB16_162
	s_branch .LBB16_163
.LBB16_161:
                                        ; implicit-def: $vgpr38_vgpr39
.LBB16_162:
	ds_read_b64 v[38:39], v1
.LBB16_163:
	v_mov_b32_e32 v40, 0
	ds_read_b64 v[40:41], v40 offset:8
	s_waitcnt lgkmcnt(0)
	v_mul_f64 v[38:39], v[38:39], v[40:41]
	scratch_store_dwordx2 off, v[38:39], off offset:8
.LBB16_164:
	s_or_b64 exec, exec, s[0:1]
	scratch_load_dwordx2 v[38:39], off, off offset:16
	v_cndmask_b32_e64 v40, 0, 1, s[6:7]
	v_cmp_gt_u32_e32 vcc, 2, v0
	v_cmp_ne_u32_e64 s[0:1], 1, v40
	s_waitcnt vmcnt(0)
	ds_write_b64 v1, v[38:39]
	s_waitcnt lgkmcnt(0)
	; wave barrier
	s_and_saveexec_b64 s[4:5], vcc
	s_cbranch_execz .LBB16_170
; %bb.165:
	s_and_b64 vcc, exec, s[0:1]
	s_cbranch_vccnz .LBB16_167
; %bb.166:
	scratch_load_dwordx2 v[38:39], v21, off
	ds_read_b64 v[40:41], v1
	s_waitcnt vmcnt(0) lgkmcnt(0)
	v_mul_f64 v[38:39], v[38:39], v[40:41]
	s_cbranch_execz .LBB16_168
	s_branch .LBB16_169
.LBB16_167:
                                        ; implicit-def: $vgpr38_vgpr39
.LBB16_168:
	ds_read_b64 v[38:39], v1
.LBB16_169:
	scratch_load_dwordx2 v[44:45], off, off offset:8
	v_mov_b32_e32 v40, 0
	ds_read2_b64 v[40:43], v40 offset0:2 offset1:19
	s_waitcnt vmcnt(0) lgkmcnt(0)
	v_fma_f64 v[42:43], v[44:45], v[42:43], v[38:39]
	v_cndmask_b32_e64 v39, v39, v43, s[2:3]
	v_cndmask_b32_e64 v38, v38, v42, s[2:3]
	v_mul_f64 v[38:39], v[38:39], v[40:41]
	scratch_store_dwordx2 off, v[38:39], off offset:16
.LBB16_170:
	s_or_b64 exec, exec, s[4:5]
	scratch_load_dwordx2 v[38:39], off, off offset:24
	v_cmp_gt_u32_e32 vcc, 3, v0
	s_waitcnt vmcnt(0)
	ds_write_b64 v1, v[38:39]
	s_waitcnt lgkmcnt(0)
	; wave barrier
	s_and_saveexec_b64 s[4:5], vcc
	s_cbranch_execz .LBB16_178
; %bb.171:
	s_and_b64 vcc, exec, s[0:1]
	s_cbranch_vccnz .LBB16_173
; %bb.172:
	scratch_load_dwordx2 v[38:39], v21, off
	ds_read_b64 v[40:41], v1
	s_waitcnt vmcnt(0) lgkmcnt(0)
	v_mul_f64 v[38:39], v[38:39], v[40:41]
	s_cbranch_execz .LBB16_174
	s_branch .LBB16_175
.LBB16_173:
                                        ; implicit-def: $vgpr38_vgpr39
.LBB16_174:
	ds_read_b64 v[38:39], v1
.LBB16_175:
	v_cmp_ne_u32_e32 vcc, 2, v0
	s_and_saveexec_b64 s[6:7], vcc
	s_cbranch_execz .LBB16_177
; %bb.176:
	scratch_load_dwordx2 v[40:41], v21, off offset:8
	scratch_load_dwordx2 v[42:43], off, off offset:16
	ds_read_b64 v[44:45], v1 offset:8
	v_mov_b32_e32 v46, 0
	ds_read_b64 v[46:47], v46 offset:160
	s_waitcnt vmcnt(1) lgkmcnt(1)
	v_fmac_f64_e32 v[38:39], v[40:41], v[44:45]
	s_waitcnt vmcnt(0) lgkmcnt(0)
	v_fma_f64 v[40:41], v[42:43], v[46:47], v[38:39]
	v_cndmask_b32_e64 v39, v39, v41, s[2:3]
	v_cndmask_b32_e64 v38, v38, v40, s[2:3]
.LBB16_177:
	s_or_b64 exec, exec, s[6:7]
	v_mov_b32_e32 v40, 0
	ds_read_b64 v[40:41], v40 offset:24
	s_waitcnt lgkmcnt(0)
	v_mul_f64 v[38:39], v[38:39], v[40:41]
	scratch_store_dwordx2 off, v[38:39], off offset:24
.LBB16_178:
	s_or_b64 exec, exec, s[4:5]
	scratch_load_dwordx2 v[38:39], off, off offset:32
	v_cmp_gt_u32_e32 vcc, 4, v0
	s_waitcnt vmcnt(0)
	ds_write_b64 v1, v[38:39]
	s_waitcnt lgkmcnt(0)
	; wave barrier
	s_and_saveexec_b64 s[2:3], vcc
	s_cbranch_execz .LBB16_188
; %bb.179:
	s_and_b64 vcc, exec, s[0:1]
	s_cbranch_vccnz .LBB16_181
; %bb.180:
	scratch_load_dwordx2 v[38:39], v21, off
	ds_read_b64 v[40:41], v1
	s_waitcnt vmcnt(0) lgkmcnt(0)
	v_mul_f64 v[38:39], v[38:39], v[40:41]
	s_cbranch_execz .LBB16_182
	s_branch .LBB16_183
.LBB16_181:
                                        ; implicit-def: $vgpr38_vgpr39
.LBB16_182:
	ds_read_b64 v[38:39], v1
.LBB16_183:
	v_cmp_ne_u32_e32 vcc, 3, v0
	s_and_saveexec_b64 s[4:5], vcc
	s_cbranch_execz .LBB16_187
; %bb.184:
	s_mov_b32 s6, 0
	v_add_u32_e32 v40, 0x98, v20
	v_add3_u32 v41, v20, s6, 8
	s_mov_b64 s[6:7], 0
	v_mov_b32_e32 v42, v0
.LBB16_185:                             ; =>This Inner Loop Header: Depth=1
	scratch_load_dwordx2 v[44:45], v41, off
	ds_read_b64 v[46:47], v40
	v_add_u32_e32 v42, 1, v42
	v_cmp_lt_u32_e32 vcc, 2, v42
	v_add_u32_e32 v40, 8, v40
	v_add_u32_e32 v41, 8, v41
	s_or_b64 s[6:7], vcc, s[6:7]
	s_waitcnt vmcnt(0) lgkmcnt(0)
	v_fmac_f64_e32 v[38:39], v[44:45], v[46:47]
	s_andn2_b64 exec, exec, s[6:7]
	s_cbranch_execnz .LBB16_185
; %bb.186:
	s_or_b64 exec, exec, s[6:7]
.LBB16_187:
	s_or_b64 exec, exec, s[4:5]
	v_mov_b32_e32 v40, 0
	ds_read_b64 v[40:41], v40 offset:32
	s_waitcnt lgkmcnt(0)
	v_mul_f64 v[38:39], v[38:39], v[40:41]
	scratch_store_dwordx2 off, v[38:39], off offset:32
.LBB16_188:
	s_or_b64 exec, exec, s[2:3]
	scratch_load_dwordx2 v[38:39], off, off offset:40
	v_cmp_gt_u32_e32 vcc, 5, v0
	s_waitcnt vmcnt(0)
	ds_write_b64 v1, v[38:39]
	s_waitcnt lgkmcnt(0)
	; wave barrier
	s_and_saveexec_b64 s[2:3], vcc
	s_cbranch_execz .LBB16_198
; %bb.189:
	s_and_b64 vcc, exec, s[0:1]
	s_cbranch_vccnz .LBB16_191
; %bb.190:
	scratch_load_dwordx2 v[38:39], v21, off
	ds_read_b64 v[40:41], v1
	s_waitcnt vmcnt(0) lgkmcnt(0)
	v_mul_f64 v[38:39], v[38:39], v[40:41]
	s_cbranch_execz .LBB16_192
	s_branch .LBB16_193
.LBB16_191:
                                        ; implicit-def: $vgpr38_vgpr39
.LBB16_192:
	ds_read_b64 v[38:39], v1
.LBB16_193:
	v_cmp_ne_u32_e32 vcc, 4, v0
	s_and_saveexec_b64 s[4:5], vcc
	s_cbranch_execz .LBB16_197
; %bb.194:
	s_mov_b32 s6, 0
	v_add_u32_e32 v40, 0x98, v20
	v_add3_u32 v41, v20, s6, 8
	s_mov_b64 s[6:7], 0
	v_mov_b32_e32 v42, v0
.LBB16_195:                             ; =>This Inner Loop Header: Depth=1
	scratch_load_dwordx2 v[44:45], v41, off
	ds_read_b64 v[46:47], v40
	v_add_u32_e32 v42, 1, v42
	v_cmp_lt_u32_e32 vcc, 3, v42
	v_add_u32_e32 v40, 8, v40
	v_add_u32_e32 v41, 8, v41
	s_or_b64 s[6:7], vcc, s[6:7]
	s_waitcnt vmcnt(0) lgkmcnt(0)
	v_fmac_f64_e32 v[38:39], v[44:45], v[46:47]
	s_andn2_b64 exec, exec, s[6:7]
	s_cbranch_execnz .LBB16_195
; %bb.196:
	s_or_b64 exec, exec, s[6:7]
.LBB16_197:
	s_or_b64 exec, exec, s[4:5]
	v_mov_b32_e32 v40, 0
	ds_read_b64 v[40:41], v40 offset:40
	s_waitcnt lgkmcnt(0)
	v_mul_f64 v[38:39], v[38:39], v[40:41]
	scratch_store_dwordx2 off, v[38:39], off offset:40
.LBB16_198:
	;; [unrolled: 55-line block ×11, first 2 shown]
	s_or_b64 exec, exec, s[2:3]
	scratch_load_dwordx2 v[38:39], off, off offset:120
	v_cmp_gt_u32_e64 s[2:3], 15, v0
	s_waitcnt vmcnt(0)
	ds_write_b64 v1, v[38:39]
	s_waitcnt lgkmcnt(0)
	; wave barrier
	s_and_saveexec_b64 s[4:5], s[2:3]
	s_cbranch_execz .LBB16_298
; %bb.289:
	s_and_b64 vcc, exec, s[0:1]
	s_cbranch_vccnz .LBB16_291
; %bb.290:
	scratch_load_dwordx2 v[38:39], v21, off
	ds_read_b64 v[40:41], v1
	s_waitcnt vmcnt(0) lgkmcnt(0)
	v_mul_f64 v[38:39], v[38:39], v[40:41]
	s_cbranch_execz .LBB16_292
	s_branch .LBB16_293
.LBB16_291:
                                        ; implicit-def: $vgpr38_vgpr39
.LBB16_292:
	ds_read_b64 v[38:39], v1
.LBB16_293:
	v_cmp_ne_u32_e32 vcc, 14, v0
	s_and_saveexec_b64 s[6:7], vcc
	s_cbranch_execz .LBB16_297
; %bb.294:
	s_mov_b32 s8, 0
	v_add_u32_e32 v40, 0x98, v20
	v_add3_u32 v41, v20, s8, 8
	s_mov_b64 s[8:9], 0
	v_mov_b32_e32 v42, v0
.LBB16_295:                             ; =>This Inner Loop Header: Depth=1
	scratch_load_dwordx2 v[44:45], v41, off
	ds_read_b64 v[46:47], v40
	v_add_u32_e32 v42, 1, v42
	v_cmp_lt_u32_e32 vcc, 13, v42
	v_add_u32_e32 v40, 8, v40
	v_add_u32_e32 v41, 8, v41
	s_or_b64 s[8:9], vcc, s[8:9]
	s_waitcnt vmcnt(0) lgkmcnt(0)
	v_fmac_f64_e32 v[38:39], v[44:45], v[46:47]
	s_andn2_b64 exec, exec, s[8:9]
	s_cbranch_execnz .LBB16_295
; %bb.296:
	s_or_b64 exec, exec, s[8:9]
.LBB16_297:
	s_or_b64 exec, exec, s[6:7]
	v_mov_b32_e32 v40, 0
	ds_read_b64 v[40:41], v40 offset:120
	s_waitcnt lgkmcnt(0)
	v_mul_f64 v[38:39], v[38:39], v[40:41]
	scratch_store_dwordx2 off, v[38:39], off offset:120
.LBB16_298:
	s_or_b64 exec, exec, s[4:5]
	scratch_load_dwordx2 v[38:39], off, off offset:128
	v_cmp_ne_u32_e32 vcc, 16, v0
	s_waitcnt vmcnt(0)
	ds_write_b64 v1, v[38:39]
	s_waitcnt lgkmcnt(0)
	; wave barrier
	s_and_saveexec_b64 s[4:5], vcc
	s_cbranch_execz .LBB16_308
; %bb.299:
	s_and_b64 vcc, exec, s[0:1]
	s_cbranch_vccnz .LBB16_301
; %bb.300:
	scratch_load_dwordx2 v[38:39], v21, off
	ds_read_b64 v[40:41], v1
	s_waitcnt vmcnt(0) lgkmcnt(0)
	v_mul_f64 v[38:39], v[38:39], v[40:41]
	s_cbranch_execz .LBB16_302
	s_branch .LBB16_303
.LBB16_301:
                                        ; implicit-def: $vgpr38_vgpr39
.LBB16_302:
	ds_read_b64 v[38:39], v1
.LBB16_303:
	s_and_saveexec_b64 s[0:1], s[2:3]
	s_cbranch_execz .LBB16_307
; %bb.304:
	s_mov_b32 s2, 0
	v_add_u32_e32 v1, 0x98, v20
	v_add3_u32 v20, v20, s2, 8
	s_mov_b64 s[2:3], 0
.LBB16_305:                             ; =>This Inner Loop Header: Depth=1
	scratch_load_dwordx2 v[40:41], v20, off
	ds_read_b64 v[42:43], v1
	v_add_u32_e32 v0, 1, v0
	v_cmp_lt_u32_e32 vcc, 14, v0
	v_add_u32_e32 v1, 8, v1
	v_add_u32_e32 v20, 8, v20
	s_or_b64 s[2:3], vcc, s[2:3]
	s_waitcnt vmcnt(0) lgkmcnt(0)
	v_fmac_f64_e32 v[38:39], v[40:41], v[42:43]
	s_andn2_b64 exec, exec, s[2:3]
	s_cbranch_execnz .LBB16_305
; %bb.306:
	s_or_b64 exec, exec, s[2:3]
.LBB16_307:
	s_or_b64 exec, exec, s[0:1]
	v_mov_b32_e32 v0, 0
	ds_read_b64 v[0:1], v0 offset:128
	s_waitcnt lgkmcnt(0)
	v_mul_f64 v[0:1], v[38:39], v[0:1]
	scratch_store_dwordx2 off, v[0:1], off offset:128
.LBB16_308:
	s_or_b64 exec, exec, s[4:5]
.LBB16_309:
	scratch_load_dwordx4 v[38:41], off, off
	s_waitcnt vmcnt(0)
	global_store_dwordx2 v[2:3], v[38:39], off
	global_store_dwordx2 v[4:5], v[40:41], off
	scratch_load_dwordx4 v[0:3], off, off offset:16
	s_waitcnt vmcnt(0)
	global_store_dwordx2 v[6:7], v[0:1], off
	global_store_dwordx2 v[8:9], v[2:3], off
	scratch_load_dwordx4 v[0:3], off, off offset:32
	;; [unrolled: 4-line block ×7, first 2 shown]
	s_waitcnt vmcnt(0)
	global_store_dwordx2 v[34:35], v[0:1], off
	global_store_dwordx2 v[36:37], v[2:3], off
	scratch_load_dwordx2 v[0:1], off, off offset:128
	s_waitcnt vmcnt(0)
	global_store_dwordx2 v[32:33], v[0:1], off
.LBB16_310:
	s_endpgm
	.section	.rodata,"a",@progbits
	.p2align	6, 0x0
	.amdhsa_kernel _ZN9rocsolver6v33100L18trti2_kernel_smallILi17EdPdEEv13rocblas_fill_17rocblas_diagonal_T1_iil
		.amdhsa_group_segment_fixed_size 280
		.amdhsa_private_segment_fixed_size 144
		.amdhsa_kernarg_size 32
		.amdhsa_user_sgpr_count 2
		.amdhsa_user_sgpr_dispatch_ptr 0
		.amdhsa_user_sgpr_queue_ptr 0
		.amdhsa_user_sgpr_kernarg_segment_ptr 1
		.amdhsa_user_sgpr_dispatch_id 0
		.amdhsa_user_sgpr_kernarg_preload_length 0
		.amdhsa_user_sgpr_kernarg_preload_offset 0
		.amdhsa_user_sgpr_private_segment_size 0
		.amdhsa_uses_dynamic_stack 0
		.amdhsa_enable_private_segment 1
		.amdhsa_system_sgpr_workgroup_id_x 1
		.amdhsa_system_sgpr_workgroup_id_y 0
		.amdhsa_system_sgpr_workgroup_id_z 0
		.amdhsa_system_sgpr_workgroup_info 0
		.amdhsa_system_vgpr_workitem_id 0
		.amdhsa_next_free_vgpr 48
		.amdhsa_next_free_sgpr 18
		.amdhsa_accum_offset 48
		.amdhsa_reserve_vcc 1
		.amdhsa_float_round_mode_32 0
		.amdhsa_float_round_mode_16_64 0
		.amdhsa_float_denorm_mode_32 3
		.amdhsa_float_denorm_mode_16_64 3
		.amdhsa_dx10_clamp 1
		.amdhsa_ieee_mode 1
		.amdhsa_fp16_overflow 0
		.amdhsa_tg_split 0
		.amdhsa_exception_fp_ieee_invalid_op 0
		.amdhsa_exception_fp_denorm_src 0
		.amdhsa_exception_fp_ieee_div_zero 0
		.amdhsa_exception_fp_ieee_overflow 0
		.amdhsa_exception_fp_ieee_underflow 0
		.amdhsa_exception_fp_ieee_inexact 0
		.amdhsa_exception_int_div_zero 0
	.end_amdhsa_kernel
	.section	.text._ZN9rocsolver6v33100L18trti2_kernel_smallILi17EdPdEEv13rocblas_fill_17rocblas_diagonal_T1_iil,"axG",@progbits,_ZN9rocsolver6v33100L18trti2_kernel_smallILi17EdPdEEv13rocblas_fill_17rocblas_diagonal_T1_iil,comdat
.Lfunc_end16:
	.size	_ZN9rocsolver6v33100L18trti2_kernel_smallILi17EdPdEEv13rocblas_fill_17rocblas_diagonal_T1_iil, .Lfunc_end16-_ZN9rocsolver6v33100L18trti2_kernel_smallILi17EdPdEEv13rocblas_fill_17rocblas_diagonal_T1_iil
                                        ; -- End function
	.set _ZN9rocsolver6v33100L18trti2_kernel_smallILi17EdPdEEv13rocblas_fill_17rocblas_diagonal_T1_iil.num_vgpr, 48
	.set _ZN9rocsolver6v33100L18trti2_kernel_smallILi17EdPdEEv13rocblas_fill_17rocblas_diagonal_T1_iil.num_agpr, 0
	.set _ZN9rocsolver6v33100L18trti2_kernel_smallILi17EdPdEEv13rocblas_fill_17rocblas_diagonal_T1_iil.numbered_sgpr, 18
	.set _ZN9rocsolver6v33100L18trti2_kernel_smallILi17EdPdEEv13rocblas_fill_17rocblas_diagonal_T1_iil.num_named_barrier, 0
	.set _ZN9rocsolver6v33100L18trti2_kernel_smallILi17EdPdEEv13rocblas_fill_17rocblas_diagonal_T1_iil.private_seg_size, 144
	.set _ZN9rocsolver6v33100L18trti2_kernel_smallILi17EdPdEEv13rocblas_fill_17rocblas_diagonal_T1_iil.uses_vcc, 1
	.set _ZN9rocsolver6v33100L18trti2_kernel_smallILi17EdPdEEv13rocblas_fill_17rocblas_diagonal_T1_iil.uses_flat_scratch, 0
	.set _ZN9rocsolver6v33100L18trti2_kernel_smallILi17EdPdEEv13rocblas_fill_17rocblas_diagonal_T1_iil.has_dyn_sized_stack, 0
	.set _ZN9rocsolver6v33100L18trti2_kernel_smallILi17EdPdEEv13rocblas_fill_17rocblas_diagonal_T1_iil.has_recursion, 0
	.set _ZN9rocsolver6v33100L18trti2_kernel_smallILi17EdPdEEv13rocblas_fill_17rocblas_diagonal_T1_iil.has_indirect_call, 0
	.section	.AMDGPU.csdata,"",@progbits
; Kernel info:
; codeLenInByte = 7784
; TotalNumSgprs: 24
; NumVgprs: 48
; NumAgprs: 0
; TotalNumVgprs: 48
; ScratchSize: 144
; MemoryBound: 0
; FloatMode: 240
; IeeeMode: 1
; LDSByteSize: 280 bytes/workgroup (compile time only)
; SGPRBlocks: 2
; VGPRBlocks: 5
; NumSGPRsForWavesPerEU: 24
; NumVGPRsForWavesPerEU: 48
; AccumOffset: 48
; Occupancy: 8
; WaveLimiterHint : 0
; COMPUTE_PGM_RSRC2:SCRATCH_EN: 1
; COMPUTE_PGM_RSRC2:USER_SGPR: 2
; COMPUTE_PGM_RSRC2:TRAP_HANDLER: 0
; COMPUTE_PGM_RSRC2:TGID_X_EN: 1
; COMPUTE_PGM_RSRC2:TGID_Y_EN: 0
; COMPUTE_PGM_RSRC2:TGID_Z_EN: 0
; COMPUTE_PGM_RSRC2:TIDIG_COMP_CNT: 0
; COMPUTE_PGM_RSRC3_GFX90A:ACCUM_OFFSET: 11
; COMPUTE_PGM_RSRC3_GFX90A:TG_SPLIT: 0
	.section	.text._ZN9rocsolver6v33100L18trti2_kernel_smallILi18EdPdEEv13rocblas_fill_17rocblas_diagonal_T1_iil,"axG",@progbits,_ZN9rocsolver6v33100L18trti2_kernel_smallILi18EdPdEEv13rocblas_fill_17rocblas_diagonal_T1_iil,comdat
	.globl	_ZN9rocsolver6v33100L18trti2_kernel_smallILi18EdPdEEv13rocblas_fill_17rocblas_diagonal_T1_iil ; -- Begin function _ZN9rocsolver6v33100L18trti2_kernel_smallILi18EdPdEEv13rocblas_fill_17rocblas_diagonal_T1_iil
	.p2align	8
	.type	_ZN9rocsolver6v33100L18trti2_kernel_smallILi18EdPdEEv13rocblas_fill_17rocblas_diagonal_T1_iil,@function
_ZN9rocsolver6v33100L18trti2_kernel_smallILi18EdPdEEv13rocblas_fill_17rocblas_diagonal_T1_iil: ; @_ZN9rocsolver6v33100L18trti2_kernel_smallILi18EdPdEEv13rocblas_fill_17rocblas_diagonal_T1_iil
; %bb.0:
	v_cmp_gt_u32_e32 vcc, 18, v0
	s_and_saveexec_b64 s[4:5], vcc
	s_cbranch_execz .LBB17_330
; %bb.1:
	s_load_dwordx8 s[4:11], s[0:1], 0x0
	s_ashr_i32 s3, s2, 31
	v_lshlrev_b32_e32 v20, 3, v0
	v_mov_b32_e32 v21, 0
	s_waitcnt lgkmcnt(0)
	s_ashr_i32 s1, s8, 31
	s_mov_b32 s0, s8
	s_mul_hi_u32 s8, s10, s2
	s_mul_i32 s3, s10, s3
	s_add_i32 s3, s8, s3
	s_mul_i32 s8, s11, s2
	s_add_i32 s3, s3, s8
	s_mul_i32 s2, s10, s2
	s_lshl_b64 s[2:3], s[2:3], 3
	s_add_u32 s2, s6, s2
	s_addc_u32 s3, s7, s3
	s_lshl_b64 s[0:1], s[0:1], 3
	s_add_u32 s0, s2, s0
	s_addc_u32 s1, s3, s1
	v_lshl_add_u64 v[2:3], s[0:1], 0, v[20:21]
	s_ashr_i32 s3, s9, 31
	s_mov_b32 s2, s9
	v_lshl_add_u64 v[4:5], s[2:3], 3, v[2:3]
	global_load_dwordx2 v[6:7], v20, s[0:1]
	global_load_dwordx2 v[8:9], v[4:5], off
	s_add_i32 s2, s9, s9
	s_cmpk_lg_i32 s5, 0x84
	s_cselect_b64 s[6:7], -1, 0
	s_cmpk_eq_i32 s5, 0x84
	s_waitcnt vmcnt(0)
	scratch_store_dwordx4 off, v[6:9], off
	s_nop 1
	v_add_u32_e32 v8, s2, v0
	v_add_u32_e32 v10, s9, v8
	v_ashrrev_i32_e32 v9, 31, v8
	v_ashrrev_i32_e32 v11, 31, v10
	v_lshl_add_u64 v[6:7], v[8:9], 3, s[0:1]
	v_lshl_add_u64 v[8:9], v[10:11], 3, s[0:1]
	global_load_dwordx2 v[12:13], v[6:7], off
	global_load_dwordx2 v[14:15], v[8:9], off
	s_waitcnt vmcnt(0)
	scratch_store_dwordx4 off, v[12:15], off offset:16
	s_nop 1
	v_add_u32_e32 v12, s9, v10
	v_add_u32_e32 v14, s9, v12
	v_ashrrev_i32_e32 v13, 31, v12
	v_ashrrev_i32_e32 v15, 31, v14
	v_lshl_add_u64 v[10:11], v[12:13], 3, s[0:1]
	v_lshl_add_u64 v[12:13], v[14:15], 3, s[0:1]
	global_load_dwordx2 v[16:17], v[10:11], off
	global_load_dwordx2 v[18:19], v[12:13], off
	s_waitcnt vmcnt(0)
	scratch_store_dwordx4 off, v[16:19], off offset:32
	;; [unrolled: 11-line block ×5, first 2 shown]
	s_nop 1
	v_add_u32_e32 v30, s9, v28
	v_ashrrev_i32_e32 v31, 31, v30
	v_lshl_add_u64 v[28:29], v[30:31], 3, s[0:1]
	v_add_u32_e32 v30, s9, v30
	v_ashrrev_i32_e32 v31, 31, v30
	v_lshl_add_u64 v[32:33], v[30:31], 3, s[0:1]
	global_load_dwordx2 v[34:35], v[28:29], off
	global_load_dwordx2 v[36:37], v[32:33], off
	v_add_u32_e32 v30, s9, v30
	v_ashrrev_i32_e32 v31, 31, v30
	s_waitcnt vmcnt(0)
	scratch_store_dwordx4 off, v[34:37], off offset:96
	s_nop 1
	v_lshl_add_u64 v[36:37], v[30:31], 3, s[0:1]
	v_add_u32_e32 v30, s9, v30
	v_ashrrev_i32_e32 v31, 31, v30
	v_lshl_add_u64 v[38:39], v[30:31], 3, s[0:1]
	global_load_dwordx2 v[40:41], v[36:37], off
	global_load_dwordx2 v[42:43], v[38:39], off
	v_add_u32_e32 v34, s9, v30
	v_ashrrev_i32_e32 v35, 31, v34
	v_lshl_add_u64 v[30:31], v[34:35], 3, s[0:1]
	v_add_u32_e32 v34, s9, v34
	v_ashrrev_i32_e32 v35, 31, v34
	v_lshl_add_u64 v[34:35], v[34:35], 3, s[0:1]
	s_waitcnt vmcnt(0)
	scratch_store_dwordx4 off, v[40:43], off offset:112
	global_load_dwordx2 v[40:41], v[30:31], off
	s_nop 0
	global_load_dwordx2 v[42:43], v[34:35], off
	s_waitcnt vmcnt(0)
	scratch_store_dwordx4 off, v[40:43], off offset:128
	s_nop 1
	v_mov_b64_e32 v[40:41], -1.0
	s_cbranch_scc1 .LBB17_3
; %bb.2:
	scratch_load_dwordx2 v[40:41], v20, off
	s_waitcnt vmcnt(0)
	v_div_scale_f64 v[42:43], s[0:1], v[40:41], v[40:41], 1.0
	v_rcp_f64_e32 v[44:45], v[42:43]
	v_div_scale_f64 v[46:47], vcc, 1.0, v[40:41], 1.0
	v_fma_f64 v[48:49], -v[42:43], v[44:45], 1.0
	v_fmac_f64_e32 v[44:45], v[44:45], v[48:49]
	v_fma_f64 v[48:49], -v[42:43], v[44:45], 1.0
	v_fmac_f64_e32 v[44:45], v[44:45], v[48:49]
	v_mul_f64 v[48:49], v[46:47], v[44:45]
	v_fma_f64 v[42:43], -v[42:43], v[48:49], v[46:47]
	v_div_fmas_f64 v[42:43], v[42:43], v[44:45], v[48:49]
	v_div_fixup_f64 v[40:41], v[42:43], v[40:41], 1.0
	scratch_store_dwordx2 v20, v[40:41], off
	v_xor_b32_e32 v41, 0x80000000, v41
.LBB17_3:
	s_cmpk_eq_i32 s4, 0x79
	v_add_u32_e32 v1, 0x90, v20
	v_mov_b32_e32 v21, v20
	s_mov_b64 s[0:1], -1
	ds_write_b64 v20, v[40:41]
	s_cbranch_scc1 .LBB17_167
; %bb.4:
	scratch_load_dwordx2 v[40:41], off, off offset:128
	s_movk_i32 s8, 0x50
	s_movk_i32 s9, 0x60
	;; [unrolled: 1-line block ×3, first 2 shown]
	v_cmp_eq_u32_e64 s[0:1], 17, v0
	s_waitcnt vmcnt(0)
	ds_write_b64 v1, v[40:41]
	s_waitcnt lgkmcnt(0)
	; wave barrier
	s_and_saveexec_b64 s[2:3], s[0:1]
	s_cbranch_execz .LBB17_10
; %bb.5:
	s_and_b64 vcc, exec, s[6:7]
	s_cbranch_vccz .LBB17_7
; %bb.6:
	scratch_load_dwordx2 v[40:41], v21, off
	ds_read_b64 v[42:43], v1
	s_waitcnt vmcnt(0) lgkmcnt(0)
	v_mul_f64 v[40:41], v[40:41], v[42:43]
	s_cbranch_execz .LBB17_8
	s_branch .LBB17_9
.LBB17_7:
                                        ; implicit-def: $vgpr40_vgpr41
.LBB17_8:
	ds_read_b64 v[40:41], v1
.LBB17_9:
	v_mov_b32_e32 v42, 0
	ds_read_b64 v[42:43], v42 offset:128
	s_waitcnt lgkmcnt(0)
	v_mul_f64 v[40:41], v[40:41], v[42:43]
	scratch_store_dwordx2 off, v[40:41], off offset:128
.LBB17_10:
	s_or_b64 exec, exec, s[2:3]
	scratch_load_dwordx2 v[40:41], off, off offset:120
	s_mov_b32 s10, 16
	s_mov_b32 s11, 32
	s_mov_b32 s12, 48
	s_mov_b32 s13, 64
	s_mov_b32 s14, s8
	s_mov_b32 s15, s9
	v_cmp_lt_u32_e64 s[2:3], 15, v0
	s_waitcnt vmcnt(0)
	ds_write_b64 v1, v[40:41]
	s_waitcnt lgkmcnt(0)
	; wave barrier
	s_and_saveexec_b64 s[4:5], s[2:3]
	s_cbranch_execz .LBB17_16
; %bb.11:
	s_andn2_b64 vcc, exec, s[6:7]
	s_cbranch_vccnz .LBB17_13
; %bb.12:
	scratch_load_dwordx2 v[40:41], v21, off
	ds_read_b64 v[42:43], v1
	s_waitcnt vmcnt(0) lgkmcnt(0)
	v_mul_f64 v[40:41], v[40:41], v[42:43]
	s_cbranch_execz .LBB17_14
	s_branch .LBB17_15
.LBB17_13:
                                        ; implicit-def: $vgpr40_vgpr41
.LBB17_14:
	ds_read_b64 v[40:41], v1
.LBB17_15:
	scratch_load_dwordx2 v[46:47], off, off offset:128
	v_mov_b32_e32 v42, 0
	ds_read2_b64 v[42:45], v42 offset0:15 offset1:34
	s_waitcnt vmcnt(0) lgkmcnt(0)
	v_fma_f64 v[44:45], v[46:47], v[44:45], v[40:41]
	v_cndmask_b32_e64 v41, v41, v45, s[0:1]
	v_cndmask_b32_e64 v40, v40, v44, s[0:1]
	v_mul_f64 v[40:41], v[40:41], v[42:43]
	scratch_store_dwordx2 off, v[40:41], off offset:120
.LBB17_16:
	s_or_b64 exec, exec, s[4:5]
	scratch_load_dwordx2 v[40:41], off, off offset:112
	v_cmp_lt_u32_e64 s[0:1], 14, v0
	s_waitcnt vmcnt(0)
	ds_write_b64 v1, v[40:41]
	s_waitcnt lgkmcnt(0)
	; wave barrier
	s_and_saveexec_b64 s[4:5], s[0:1]
	s_cbranch_execz .LBB17_26
; %bb.17:
	s_andn2_b64 vcc, exec, s[6:7]
	s_cbranch_vccnz .LBB17_19
; %bb.18:
	scratch_load_dwordx2 v[40:41], v21, off
	ds_read_b64 v[42:43], v1
	s_waitcnt vmcnt(0) lgkmcnt(0)
	v_mul_f64 v[40:41], v[40:41], v[42:43]
	s_cbranch_execz .LBB17_20
	s_branch .LBB17_21
.LBB17_19:
                                        ; implicit-def: $vgpr40_vgpr41
.LBB17_20:
	ds_read_b64 v[40:41], v1
.LBB17_21:
	s_and_saveexec_b64 s[8:9], s[2:3]
	s_cbranch_execz .LBB17_25
; %bb.22:
	s_movk_i32 s17, 0x78
	v_add_u32_e32 v42, -15, v0
	s_movk_i32 s18, 0x108
	s_mov_b64 s[2:3], 0
.LBB17_23:                              ; =>This Inner Loop Header: Depth=1
	scratch_load_dwordx2 v[44:45], off, s17
	v_mov_b32_e32 v43, s18
	ds_read_b64 v[46:47], v43
	v_add_u32_e32 v42, -1, v42
	s_add_i32 s18, s18, 8
	s_add_i32 s17, s17, 8
	v_cmp_eq_u32_e32 vcc, 0, v42
	s_or_b64 s[2:3], vcc, s[2:3]
	s_waitcnt vmcnt(0) lgkmcnt(0)
	v_fmac_f64_e32 v[40:41], v[44:45], v[46:47]
	s_andn2_b64 exec, exec, s[2:3]
	s_cbranch_execnz .LBB17_23
; %bb.24:
	s_or_b64 exec, exec, s[2:3]
.LBB17_25:
	s_or_b64 exec, exec, s[8:9]
	v_mov_b32_e32 v42, 0
	ds_read_b64 v[42:43], v42 offset:112
	s_waitcnt lgkmcnt(0)
	v_mul_f64 v[40:41], v[40:41], v[42:43]
	scratch_store_dwordx2 off, v[40:41], off offset:112
.LBB17_26:
	s_or_b64 exec, exec, s[4:5]
	scratch_load_dwordx2 v[40:41], off, off offset:104
	v_cmp_lt_u32_e64 s[2:3], 13, v0
	s_waitcnt vmcnt(0)
	ds_write_b64 v1, v[40:41]
	s_waitcnt lgkmcnt(0)
	; wave barrier
	s_and_saveexec_b64 s[4:5], s[2:3]
	s_cbranch_execz .LBB17_36
; %bb.27:
	s_andn2_b64 vcc, exec, s[6:7]
	s_cbranch_vccnz .LBB17_29
; %bb.28:
	scratch_load_dwordx2 v[40:41], v21, off
	ds_read_b64 v[42:43], v1
	s_waitcnt vmcnt(0) lgkmcnt(0)
	v_mul_f64 v[40:41], v[40:41], v[42:43]
	s_cbranch_execz .LBB17_30
	s_branch .LBB17_31
.LBB17_29:
                                        ; implicit-def: $vgpr40_vgpr41
.LBB17_30:
	ds_read_b64 v[40:41], v1
.LBB17_31:
	s_and_saveexec_b64 s[8:9], s[0:1]
	s_cbranch_execz .LBB17_35
; %bb.32:
	v_add_u32_e32 v42, -14, v0
	s_movk_i32 s17, 0x100
	s_mov_b64 s[0:1], 0
.LBB17_33:                              ; =>This Inner Loop Header: Depth=1
	scratch_load_dwordx2 v[44:45], off, s16
	v_mov_b32_e32 v43, s17
	ds_read_b64 v[46:47], v43
	v_add_u32_e32 v42, -1, v42
	s_add_i32 s17, s17, 8
	s_add_i32 s16, s16, 8
	v_cmp_eq_u32_e32 vcc, 0, v42
	s_or_b64 s[0:1], vcc, s[0:1]
	s_waitcnt vmcnt(0) lgkmcnt(0)
	v_fmac_f64_e32 v[40:41], v[44:45], v[46:47]
	s_andn2_b64 exec, exec, s[0:1]
	s_cbranch_execnz .LBB17_33
; %bb.34:
	s_or_b64 exec, exec, s[0:1]
.LBB17_35:
	s_or_b64 exec, exec, s[8:9]
	v_mov_b32_e32 v42, 0
	ds_read_b64 v[42:43], v42 offset:104
	s_waitcnt lgkmcnt(0)
	v_mul_f64 v[40:41], v[40:41], v[42:43]
	scratch_store_dwordx2 off, v[40:41], off offset:104
.LBB17_36:
	s_or_b64 exec, exec, s[4:5]
	scratch_load_dwordx2 v[40:41], off, off offset:96
	v_cmp_lt_u32_e64 s[0:1], 12, v0
	s_waitcnt vmcnt(0)
	ds_write_b64 v1, v[40:41]
	s_waitcnt lgkmcnt(0)
	; wave barrier
	s_and_saveexec_b64 s[4:5], s[0:1]
	s_cbranch_execz .LBB17_46
; %bb.37:
	s_andn2_b64 vcc, exec, s[6:7]
	s_cbranch_vccnz .LBB17_39
; %bb.38:
	scratch_load_dwordx2 v[40:41], v21, off
	ds_read_b64 v[42:43], v1
	s_waitcnt vmcnt(0) lgkmcnt(0)
	v_mul_f64 v[40:41], v[40:41], v[42:43]
	s_cbranch_execz .LBB17_40
	s_branch .LBB17_41
.LBB17_39:
                                        ; implicit-def: $vgpr40_vgpr41
.LBB17_40:
	ds_read_b64 v[40:41], v1
.LBB17_41:
	s_and_saveexec_b64 s[8:9], s[2:3]
	s_cbranch_execz .LBB17_45
; %bb.42:
	s_movk_i32 s16, 0x68
	v_add_u32_e32 v42, -13, v0
	s_movk_i32 s17, 0xf8
	s_mov_b64 s[2:3], 0
.LBB17_43:                              ; =>This Inner Loop Header: Depth=1
	scratch_load_dwordx2 v[44:45], off, s16
	v_mov_b32_e32 v43, s17
	ds_read_b64 v[46:47], v43
	v_add_u32_e32 v42, -1, v42
	s_add_i32 s17, s17, 8
	s_add_i32 s16, s16, 8
	v_cmp_eq_u32_e32 vcc, 0, v42
	s_or_b64 s[2:3], vcc, s[2:3]
	s_waitcnt vmcnt(0) lgkmcnt(0)
	v_fmac_f64_e32 v[40:41], v[44:45], v[46:47]
	s_andn2_b64 exec, exec, s[2:3]
	s_cbranch_execnz .LBB17_43
; %bb.44:
	s_or_b64 exec, exec, s[2:3]
.LBB17_45:
	s_or_b64 exec, exec, s[8:9]
	v_mov_b32_e32 v42, 0
	ds_read_b64 v[42:43], v42 offset:96
	s_waitcnt lgkmcnt(0)
	v_mul_f64 v[40:41], v[40:41], v[42:43]
	scratch_store_dwordx2 off, v[40:41], off offset:96
.LBB17_46:
	s_or_b64 exec, exec, s[4:5]
	scratch_load_dwordx2 v[40:41], off, off offset:88
	v_cmp_lt_u32_e64 s[2:3], 11, v0
	s_waitcnt vmcnt(0)
	ds_write_b64 v1, v[40:41]
	s_waitcnt lgkmcnt(0)
	; wave barrier
	s_and_saveexec_b64 s[4:5], s[2:3]
	s_cbranch_execz .LBB17_56
; %bb.47:
	s_andn2_b64 vcc, exec, s[6:7]
	s_cbranch_vccnz .LBB17_49
; %bb.48:
	scratch_load_dwordx2 v[40:41], v21, off
	ds_read_b64 v[42:43], v1
	s_waitcnt vmcnt(0) lgkmcnt(0)
	v_mul_f64 v[40:41], v[40:41], v[42:43]
	s_cbranch_execz .LBB17_50
	s_branch .LBB17_51
.LBB17_49:
                                        ; implicit-def: $vgpr40_vgpr41
.LBB17_50:
	ds_read_b64 v[40:41], v1
.LBB17_51:
	s_and_saveexec_b64 s[8:9], s[0:1]
	s_cbranch_execz .LBB17_55
; %bb.52:
	v_add_u32_e32 v42, -12, v0
	s_movk_i32 s16, 0xf0
	s_mov_b64 s[0:1], 0
.LBB17_53:                              ; =>This Inner Loop Header: Depth=1
	scratch_load_dwordx2 v[44:45], off, s15
	v_mov_b32_e32 v43, s16
	ds_read_b64 v[46:47], v43
	v_add_u32_e32 v42, -1, v42
	s_add_i32 s16, s16, 8
	s_add_i32 s15, s15, 8
	v_cmp_eq_u32_e32 vcc, 0, v42
	s_or_b64 s[0:1], vcc, s[0:1]
	s_waitcnt vmcnt(0) lgkmcnt(0)
	v_fmac_f64_e32 v[40:41], v[44:45], v[46:47]
	s_andn2_b64 exec, exec, s[0:1]
	s_cbranch_execnz .LBB17_53
; %bb.54:
	s_or_b64 exec, exec, s[0:1]
.LBB17_55:
	s_or_b64 exec, exec, s[8:9]
	v_mov_b32_e32 v42, 0
	ds_read_b64 v[42:43], v42 offset:88
	s_waitcnt lgkmcnt(0)
	v_mul_f64 v[40:41], v[40:41], v[42:43]
	scratch_store_dwordx2 off, v[40:41], off offset:88
.LBB17_56:
	s_or_b64 exec, exec, s[4:5]
	scratch_load_dwordx2 v[40:41], off, off offset:80
	v_cmp_lt_u32_e64 s[0:1], 10, v0
	s_waitcnt vmcnt(0)
	ds_write_b64 v1, v[40:41]
	s_waitcnt lgkmcnt(0)
	; wave barrier
	s_and_saveexec_b64 s[4:5], s[0:1]
	s_cbranch_execz .LBB17_66
; %bb.57:
	s_andn2_b64 vcc, exec, s[6:7]
	s_cbranch_vccnz .LBB17_59
; %bb.58:
	scratch_load_dwordx2 v[40:41], v21, off
	ds_read_b64 v[42:43], v1
	s_waitcnt vmcnt(0) lgkmcnt(0)
	v_mul_f64 v[40:41], v[40:41], v[42:43]
	s_cbranch_execz .LBB17_60
	s_branch .LBB17_61
.LBB17_59:
                                        ; implicit-def: $vgpr40_vgpr41
.LBB17_60:
	ds_read_b64 v[40:41], v1
.LBB17_61:
	s_and_saveexec_b64 s[8:9], s[2:3]
	s_cbranch_execz .LBB17_65
; %bb.62:
	s_movk_i32 s15, 0x58
	v_add_u32_e32 v42, -11, v0
	s_movk_i32 s16, 0xe8
	s_mov_b64 s[2:3], 0
.LBB17_63:                              ; =>This Inner Loop Header: Depth=1
	scratch_load_dwordx2 v[44:45], off, s15
	v_mov_b32_e32 v43, s16
	ds_read_b64 v[46:47], v43
	v_add_u32_e32 v42, -1, v42
	s_add_i32 s16, s16, 8
	s_add_i32 s15, s15, 8
	v_cmp_eq_u32_e32 vcc, 0, v42
	s_or_b64 s[2:3], vcc, s[2:3]
	s_waitcnt vmcnt(0) lgkmcnt(0)
	v_fmac_f64_e32 v[40:41], v[44:45], v[46:47]
	s_andn2_b64 exec, exec, s[2:3]
	s_cbranch_execnz .LBB17_63
; %bb.64:
	s_or_b64 exec, exec, s[2:3]
.LBB17_65:
	s_or_b64 exec, exec, s[8:9]
	v_mov_b32_e32 v42, 0
	ds_read_b64 v[42:43], v42 offset:80
	s_waitcnt lgkmcnt(0)
	v_mul_f64 v[40:41], v[40:41], v[42:43]
	scratch_store_dwordx2 off, v[40:41], off offset:80
.LBB17_66:
	s_or_b64 exec, exec, s[4:5]
	scratch_load_dwordx2 v[40:41], off, off offset:72
	v_cmp_lt_u32_e64 s[2:3], 9, v0
	s_waitcnt vmcnt(0)
	ds_write_b64 v1, v[40:41]
	s_waitcnt lgkmcnt(0)
	; wave barrier
	s_and_saveexec_b64 s[4:5], s[2:3]
	s_cbranch_execz .LBB17_76
; %bb.67:
	s_andn2_b64 vcc, exec, s[6:7]
	s_cbranch_vccnz .LBB17_69
; %bb.68:
	scratch_load_dwordx2 v[40:41], v21, off
	ds_read_b64 v[42:43], v1
	s_waitcnt vmcnt(0) lgkmcnt(0)
	v_mul_f64 v[40:41], v[40:41], v[42:43]
	s_cbranch_execz .LBB17_70
	s_branch .LBB17_71
.LBB17_69:
                                        ; implicit-def: $vgpr40_vgpr41
.LBB17_70:
	ds_read_b64 v[40:41], v1
.LBB17_71:
	s_and_saveexec_b64 s[8:9], s[0:1]
	s_cbranch_execz .LBB17_75
; %bb.72:
	v_add_u32_e32 v42, -10, v0
	s_movk_i32 s15, 0xe0
	s_mov_b64 s[0:1], 0
.LBB17_73:                              ; =>This Inner Loop Header: Depth=1
	scratch_load_dwordx2 v[44:45], off, s14
	v_mov_b32_e32 v43, s15
	ds_read_b64 v[46:47], v43
	v_add_u32_e32 v42, -1, v42
	s_add_i32 s15, s15, 8
	s_add_i32 s14, s14, 8
	v_cmp_eq_u32_e32 vcc, 0, v42
	s_or_b64 s[0:1], vcc, s[0:1]
	s_waitcnt vmcnt(0) lgkmcnt(0)
	v_fmac_f64_e32 v[40:41], v[44:45], v[46:47]
	s_andn2_b64 exec, exec, s[0:1]
	s_cbranch_execnz .LBB17_73
; %bb.74:
	s_or_b64 exec, exec, s[0:1]
.LBB17_75:
	s_or_b64 exec, exec, s[8:9]
	v_mov_b32_e32 v42, 0
	ds_read_b64 v[42:43], v42 offset:72
	s_waitcnt lgkmcnt(0)
	v_mul_f64 v[40:41], v[40:41], v[42:43]
	scratch_store_dwordx2 off, v[40:41], off offset:72
.LBB17_76:
	s_or_b64 exec, exec, s[4:5]
	scratch_load_dwordx2 v[40:41], off, off offset:64
	v_cmp_lt_u32_e64 s[0:1], 8, v0
	s_waitcnt vmcnt(0)
	ds_write_b64 v1, v[40:41]
	s_waitcnt lgkmcnt(0)
	; wave barrier
	s_and_saveexec_b64 s[4:5], s[0:1]
	s_cbranch_execz .LBB17_86
; %bb.77:
	s_andn2_b64 vcc, exec, s[6:7]
	s_cbranch_vccnz .LBB17_79
; %bb.78:
	scratch_load_dwordx2 v[40:41], v21, off
	ds_read_b64 v[42:43], v1
	s_waitcnt vmcnt(0) lgkmcnt(0)
	v_mul_f64 v[40:41], v[40:41], v[42:43]
	s_cbranch_execz .LBB17_80
	s_branch .LBB17_81
.LBB17_79:
                                        ; implicit-def: $vgpr40_vgpr41
.LBB17_80:
	ds_read_b64 v[40:41], v1
.LBB17_81:
	s_and_saveexec_b64 s[8:9], s[2:3]
	s_cbranch_execz .LBB17_85
; %bb.82:
	s_movk_i32 s14, 0x48
	v_add_u32_e32 v42, -9, v0
	s_movk_i32 s15, 0xd8
	s_mov_b64 s[2:3], 0
.LBB17_83:                              ; =>This Inner Loop Header: Depth=1
	scratch_load_dwordx2 v[44:45], off, s14
	v_mov_b32_e32 v43, s15
	ds_read_b64 v[46:47], v43
	v_add_u32_e32 v42, -1, v42
	s_add_i32 s15, s15, 8
	s_add_i32 s14, s14, 8
	v_cmp_eq_u32_e32 vcc, 0, v42
	s_or_b64 s[2:3], vcc, s[2:3]
	s_waitcnt vmcnt(0) lgkmcnt(0)
	v_fmac_f64_e32 v[40:41], v[44:45], v[46:47]
	s_andn2_b64 exec, exec, s[2:3]
	s_cbranch_execnz .LBB17_83
; %bb.84:
	s_or_b64 exec, exec, s[2:3]
.LBB17_85:
	s_or_b64 exec, exec, s[8:9]
	v_mov_b32_e32 v42, 0
	ds_read_b64 v[42:43], v42 offset:64
	s_waitcnt lgkmcnt(0)
	v_mul_f64 v[40:41], v[40:41], v[42:43]
	scratch_store_dwordx2 off, v[40:41], off offset:64
.LBB17_86:
	s_or_b64 exec, exec, s[4:5]
	scratch_load_dwordx2 v[40:41], off, off offset:56
	v_cmp_lt_u32_e64 s[2:3], 7, v0
	s_waitcnt vmcnt(0)
	ds_write_b64 v1, v[40:41]
	s_waitcnt lgkmcnt(0)
	; wave barrier
	s_and_saveexec_b64 s[4:5], s[2:3]
	s_cbranch_execz .LBB17_96
; %bb.87:
	s_andn2_b64 vcc, exec, s[6:7]
	s_cbranch_vccnz .LBB17_89
; %bb.88:
	scratch_load_dwordx2 v[40:41], v21, off
	ds_read_b64 v[42:43], v1
	s_waitcnt vmcnt(0) lgkmcnt(0)
	v_mul_f64 v[40:41], v[40:41], v[42:43]
	s_cbranch_execz .LBB17_90
	s_branch .LBB17_91
.LBB17_89:
                                        ; implicit-def: $vgpr40_vgpr41
.LBB17_90:
	ds_read_b64 v[40:41], v1
.LBB17_91:
	s_and_saveexec_b64 s[8:9], s[0:1]
	s_cbranch_execz .LBB17_95
; %bb.92:
	v_add_u32_e32 v42, -8, v0
	s_movk_i32 s14, 0xd0
	s_mov_b64 s[0:1], 0
.LBB17_93:                              ; =>This Inner Loop Header: Depth=1
	scratch_load_dwordx2 v[44:45], off, s13
	v_mov_b32_e32 v43, s14
	ds_read_b64 v[46:47], v43
	v_add_u32_e32 v42, -1, v42
	s_add_i32 s14, s14, 8
	s_add_i32 s13, s13, 8
	v_cmp_eq_u32_e32 vcc, 0, v42
	s_or_b64 s[0:1], vcc, s[0:1]
	s_waitcnt vmcnt(0) lgkmcnt(0)
	v_fmac_f64_e32 v[40:41], v[44:45], v[46:47]
	s_andn2_b64 exec, exec, s[0:1]
	s_cbranch_execnz .LBB17_93
; %bb.94:
	s_or_b64 exec, exec, s[0:1]
.LBB17_95:
	s_or_b64 exec, exec, s[8:9]
	v_mov_b32_e32 v42, 0
	ds_read_b64 v[42:43], v42 offset:56
	s_waitcnt lgkmcnt(0)
	v_mul_f64 v[40:41], v[40:41], v[42:43]
	scratch_store_dwordx2 off, v[40:41], off offset:56
.LBB17_96:
	s_or_b64 exec, exec, s[4:5]
	scratch_load_dwordx2 v[40:41], off, off offset:48
	v_cmp_lt_u32_e64 s[0:1], 6, v0
	s_waitcnt vmcnt(0)
	ds_write_b64 v1, v[40:41]
	s_waitcnt lgkmcnt(0)
	; wave barrier
	s_and_saveexec_b64 s[4:5], s[0:1]
	s_cbranch_execz .LBB17_106
; %bb.97:
	s_andn2_b64 vcc, exec, s[6:7]
	s_cbranch_vccnz .LBB17_99
; %bb.98:
	scratch_load_dwordx2 v[40:41], v21, off
	ds_read_b64 v[42:43], v1
	s_waitcnt vmcnt(0) lgkmcnt(0)
	v_mul_f64 v[40:41], v[40:41], v[42:43]
	s_cbranch_execz .LBB17_100
	s_branch .LBB17_101
.LBB17_99:
                                        ; implicit-def: $vgpr40_vgpr41
.LBB17_100:
	ds_read_b64 v[40:41], v1
.LBB17_101:
	s_and_saveexec_b64 s[8:9], s[2:3]
	s_cbranch_execz .LBB17_105
; %bb.102:
	s_mov_b32 s13, 56
	v_add_u32_e32 v42, -7, v0
	s_movk_i32 s14, 0xc8
	s_mov_b64 s[2:3], 0
.LBB17_103:                             ; =>This Inner Loop Header: Depth=1
	scratch_load_dwordx2 v[44:45], off, s13
	v_mov_b32_e32 v43, s14
	ds_read_b64 v[46:47], v43
	v_add_u32_e32 v42, -1, v42
	s_add_i32 s14, s14, 8
	s_add_i32 s13, s13, 8
	v_cmp_eq_u32_e32 vcc, 0, v42
	s_or_b64 s[2:3], vcc, s[2:3]
	s_waitcnt vmcnt(0) lgkmcnt(0)
	v_fmac_f64_e32 v[40:41], v[44:45], v[46:47]
	s_andn2_b64 exec, exec, s[2:3]
	s_cbranch_execnz .LBB17_103
; %bb.104:
	s_or_b64 exec, exec, s[2:3]
.LBB17_105:
	s_or_b64 exec, exec, s[8:9]
	v_mov_b32_e32 v42, 0
	ds_read_b64 v[42:43], v42 offset:48
	s_waitcnt lgkmcnt(0)
	v_mul_f64 v[40:41], v[40:41], v[42:43]
	scratch_store_dwordx2 off, v[40:41], off offset:48
.LBB17_106:
	s_or_b64 exec, exec, s[4:5]
	scratch_load_dwordx2 v[40:41], off, off offset:40
	v_cmp_lt_u32_e64 s[2:3], 5, v0
	s_waitcnt vmcnt(0)
	ds_write_b64 v1, v[40:41]
	s_waitcnt lgkmcnt(0)
	; wave barrier
	s_and_saveexec_b64 s[4:5], s[2:3]
	s_cbranch_execz .LBB17_116
; %bb.107:
	s_andn2_b64 vcc, exec, s[6:7]
	s_cbranch_vccnz .LBB17_109
; %bb.108:
	scratch_load_dwordx2 v[40:41], v21, off
	ds_read_b64 v[42:43], v1
	s_waitcnt vmcnt(0) lgkmcnt(0)
	v_mul_f64 v[40:41], v[40:41], v[42:43]
	s_cbranch_execz .LBB17_110
	s_branch .LBB17_111
.LBB17_109:
                                        ; implicit-def: $vgpr40_vgpr41
.LBB17_110:
	ds_read_b64 v[40:41], v1
.LBB17_111:
	s_and_saveexec_b64 s[8:9], s[0:1]
	s_cbranch_execz .LBB17_115
; %bb.112:
	v_add_u32_e32 v42, -6, v0
	s_movk_i32 s13, 0xc0
	s_mov_b64 s[0:1], 0
.LBB17_113:                             ; =>This Inner Loop Header: Depth=1
	scratch_load_dwordx2 v[44:45], off, s12
	v_mov_b32_e32 v43, s13
	ds_read_b64 v[46:47], v43
	v_add_u32_e32 v42, -1, v42
	s_add_i32 s13, s13, 8
	s_add_i32 s12, s12, 8
	v_cmp_eq_u32_e32 vcc, 0, v42
	s_or_b64 s[0:1], vcc, s[0:1]
	s_waitcnt vmcnt(0) lgkmcnt(0)
	v_fmac_f64_e32 v[40:41], v[44:45], v[46:47]
	s_andn2_b64 exec, exec, s[0:1]
	s_cbranch_execnz .LBB17_113
; %bb.114:
	s_or_b64 exec, exec, s[0:1]
.LBB17_115:
	s_or_b64 exec, exec, s[8:9]
	v_mov_b32_e32 v42, 0
	ds_read_b64 v[42:43], v42 offset:40
	s_waitcnt lgkmcnt(0)
	v_mul_f64 v[40:41], v[40:41], v[42:43]
	scratch_store_dwordx2 off, v[40:41], off offset:40
.LBB17_116:
	s_or_b64 exec, exec, s[4:5]
	scratch_load_dwordx2 v[40:41], off, off offset:32
	v_cmp_lt_u32_e64 s[0:1], 4, v0
	s_waitcnt vmcnt(0)
	ds_write_b64 v1, v[40:41]
	s_waitcnt lgkmcnt(0)
	; wave barrier
	s_and_saveexec_b64 s[4:5], s[0:1]
	s_cbranch_execz .LBB17_126
; %bb.117:
	s_andn2_b64 vcc, exec, s[6:7]
	s_cbranch_vccnz .LBB17_119
; %bb.118:
	scratch_load_dwordx2 v[40:41], v21, off
	ds_read_b64 v[42:43], v1
	s_waitcnt vmcnt(0) lgkmcnt(0)
	v_mul_f64 v[40:41], v[40:41], v[42:43]
	s_cbranch_execz .LBB17_120
	s_branch .LBB17_121
.LBB17_119:
                                        ; implicit-def: $vgpr40_vgpr41
.LBB17_120:
	ds_read_b64 v[40:41], v1
.LBB17_121:
	s_and_saveexec_b64 s[8:9], s[2:3]
	s_cbranch_execz .LBB17_125
; %bb.122:
	s_mov_b32 s12, 40
	v_add_u32_e32 v42, -5, v0
	s_movk_i32 s13, 0xb8
	s_mov_b64 s[2:3], 0
.LBB17_123:                             ; =>This Inner Loop Header: Depth=1
	scratch_load_dwordx2 v[44:45], off, s12
	v_mov_b32_e32 v43, s13
	ds_read_b64 v[46:47], v43
	v_add_u32_e32 v42, -1, v42
	s_add_i32 s13, s13, 8
	s_add_i32 s12, s12, 8
	v_cmp_eq_u32_e32 vcc, 0, v42
	s_or_b64 s[2:3], vcc, s[2:3]
	s_waitcnt vmcnt(0) lgkmcnt(0)
	v_fmac_f64_e32 v[40:41], v[44:45], v[46:47]
	s_andn2_b64 exec, exec, s[2:3]
	s_cbranch_execnz .LBB17_123
; %bb.124:
	s_or_b64 exec, exec, s[2:3]
.LBB17_125:
	s_or_b64 exec, exec, s[8:9]
	v_mov_b32_e32 v42, 0
	ds_read_b64 v[42:43], v42 offset:32
	s_waitcnt lgkmcnt(0)
	v_mul_f64 v[40:41], v[40:41], v[42:43]
	scratch_store_dwordx2 off, v[40:41], off offset:32
.LBB17_126:
	s_or_b64 exec, exec, s[4:5]
	scratch_load_dwordx2 v[40:41], off, off offset:24
	v_cmp_lt_u32_e64 s[2:3], 3, v0
	s_waitcnt vmcnt(0)
	ds_write_b64 v1, v[40:41]
	s_waitcnt lgkmcnt(0)
	; wave barrier
	s_and_saveexec_b64 s[4:5], s[2:3]
	s_cbranch_execz .LBB17_136
; %bb.127:
	s_andn2_b64 vcc, exec, s[6:7]
	s_cbranch_vccnz .LBB17_129
; %bb.128:
	scratch_load_dwordx2 v[40:41], v21, off
	ds_read_b64 v[42:43], v1
	s_waitcnt vmcnt(0) lgkmcnt(0)
	v_mul_f64 v[40:41], v[40:41], v[42:43]
	s_cbranch_execz .LBB17_130
	s_branch .LBB17_131
.LBB17_129:
                                        ; implicit-def: $vgpr40_vgpr41
.LBB17_130:
	ds_read_b64 v[40:41], v1
.LBB17_131:
	s_and_saveexec_b64 s[8:9], s[0:1]
	s_cbranch_execz .LBB17_135
; %bb.132:
	v_add_u32_e32 v42, -4, v0
	s_movk_i32 s12, 0xb0
	s_mov_b64 s[0:1], 0
.LBB17_133:                             ; =>This Inner Loop Header: Depth=1
	scratch_load_dwordx2 v[44:45], off, s11
	v_mov_b32_e32 v43, s12
	ds_read_b64 v[46:47], v43
	v_add_u32_e32 v42, -1, v42
	s_add_i32 s12, s12, 8
	s_add_i32 s11, s11, 8
	v_cmp_eq_u32_e32 vcc, 0, v42
	s_or_b64 s[0:1], vcc, s[0:1]
	s_waitcnt vmcnt(0) lgkmcnt(0)
	v_fmac_f64_e32 v[40:41], v[44:45], v[46:47]
	s_andn2_b64 exec, exec, s[0:1]
	s_cbranch_execnz .LBB17_133
; %bb.134:
	s_or_b64 exec, exec, s[0:1]
.LBB17_135:
	s_or_b64 exec, exec, s[8:9]
	v_mov_b32_e32 v42, 0
	ds_read_b64 v[42:43], v42 offset:24
	s_waitcnt lgkmcnt(0)
	v_mul_f64 v[40:41], v[40:41], v[42:43]
	scratch_store_dwordx2 off, v[40:41], off offset:24
.LBB17_136:
	s_or_b64 exec, exec, s[4:5]
	scratch_load_dwordx2 v[40:41], off, off offset:16
	v_cmp_lt_u32_e64 s[0:1], 2, v0
	s_waitcnt vmcnt(0)
	ds_write_b64 v1, v[40:41]
	s_waitcnt lgkmcnt(0)
	; wave barrier
	s_and_saveexec_b64 s[4:5], s[0:1]
	s_cbranch_execz .LBB17_146
; %bb.137:
	s_andn2_b64 vcc, exec, s[6:7]
	s_cbranch_vccnz .LBB17_139
; %bb.138:
	scratch_load_dwordx2 v[40:41], v21, off
	ds_read_b64 v[42:43], v1
	s_waitcnt vmcnt(0) lgkmcnt(0)
	v_mul_f64 v[40:41], v[40:41], v[42:43]
	s_cbranch_execz .LBB17_140
	s_branch .LBB17_141
.LBB17_139:
                                        ; implicit-def: $vgpr40_vgpr41
.LBB17_140:
	ds_read_b64 v[40:41], v1
.LBB17_141:
	s_and_saveexec_b64 s[8:9], s[2:3]
	s_cbranch_execz .LBB17_145
; %bb.142:
	s_mov_b32 s11, 24
	v_add_u32_e32 v42, -3, v0
	s_movk_i32 s12, 0xa8
	s_mov_b64 s[2:3], 0
.LBB17_143:                             ; =>This Inner Loop Header: Depth=1
	scratch_load_dwordx2 v[44:45], off, s11
	v_mov_b32_e32 v43, s12
	ds_read_b64 v[46:47], v43
	v_add_u32_e32 v42, -1, v42
	s_add_i32 s12, s12, 8
	s_add_i32 s11, s11, 8
	v_cmp_eq_u32_e32 vcc, 0, v42
	s_or_b64 s[2:3], vcc, s[2:3]
	s_waitcnt vmcnt(0) lgkmcnt(0)
	v_fmac_f64_e32 v[40:41], v[44:45], v[46:47]
	s_andn2_b64 exec, exec, s[2:3]
	s_cbranch_execnz .LBB17_143
; %bb.144:
	s_or_b64 exec, exec, s[2:3]
.LBB17_145:
	s_or_b64 exec, exec, s[8:9]
	v_mov_b32_e32 v42, 0
	ds_read_b64 v[42:43], v42 offset:16
	s_waitcnt lgkmcnt(0)
	v_mul_f64 v[40:41], v[40:41], v[42:43]
	scratch_store_dwordx2 off, v[40:41], off offset:16
.LBB17_146:
	s_or_b64 exec, exec, s[4:5]
	scratch_load_dwordx2 v[40:41], off, off offset:8
	v_cmp_lt_u32_e64 s[2:3], 1, v0
	s_waitcnt vmcnt(0)
	ds_write_b64 v1, v[40:41]
	s_waitcnt lgkmcnt(0)
	; wave barrier
	s_and_saveexec_b64 s[4:5], s[2:3]
	s_cbranch_execz .LBB17_156
; %bb.147:
	s_andn2_b64 vcc, exec, s[6:7]
	s_cbranch_vccnz .LBB17_149
; %bb.148:
	scratch_load_dwordx2 v[40:41], v21, off
	ds_read_b64 v[42:43], v1
	s_waitcnt vmcnt(0) lgkmcnt(0)
	v_mul_f64 v[40:41], v[40:41], v[42:43]
	s_cbranch_execz .LBB17_150
	s_branch .LBB17_151
.LBB17_149:
                                        ; implicit-def: $vgpr40_vgpr41
.LBB17_150:
	ds_read_b64 v[40:41], v1
.LBB17_151:
	s_and_saveexec_b64 s[8:9], s[0:1]
	s_cbranch_execz .LBB17_155
; %bb.152:
	v_add_u32_e32 v42, -2, v0
	s_movk_i32 s11, 0xa0
	s_mov_b64 s[0:1], 0
.LBB17_153:                             ; =>This Inner Loop Header: Depth=1
	scratch_load_dwordx2 v[44:45], off, s10
	v_mov_b32_e32 v43, s11
	ds_read_b64 v[46:47], v43
	v_add_u32_e32 v42, -1, v42
	s_add_i32 s11, s11, 8
	s_add_i32 s10, s10, 8
	v_cmp_eq_u32_e32 vcc, 0, v42
	s_or_b64 s[0:1], vcc, s[0:1]
	s_waitcnt vmcnt(0) lgkmcnt(0)
	v_fmac_f64_e32 v[40:41], v[44:45], v[46:47]
	s_andn2_b64 exec, exec, s[0:1]
	s_cbranch_execnz .LBB17_153
; %bb.154:
	s_or_b64 exec, exec, s[0:1]
.LBB17_155:
	s_or_b64 exec, exec, s[8:9]
	v_mov_b32_e32 v42, 0
	ds_read_b64 v[42:43], v42 offset:8
	s_waitcnt lgkmcnt(0)
	v_mul_f64 v[40:41], v[40:41], v[42:43]
	scratch_store_dwordx2 off, v[40:41], off offset:8
.LBB17_156:
	s_or_b64 exec, exec, s[4:5]
	scratch_load_dwordx2 v[40:41], off, off
	v_cmp_ne_u32_e32 vcc, 0, v0
	s_waitcnt vmcnt(0)
	ds_write_b64 v1, v[40:41]
	s_waitcnt lgkmcnt(0)
	; wave barrier
	s_and_saveexec_b64 s[0:1], vcc
	s_cbranch_execz .LBB17_166
; %bb.157:
	s_andn2_b64 vcc, exec, s[6:7]
	s_cbranch_vccnz .LBB17_159
; %bb.158:
	scratch_load_dwordx2 v[40:41], v21, off
	ds_read_b64 v[42:43], v1
	s_waitcnt vmcnt(0) lgkmcnt(0)
	v_mul_f64 v[40:41], v[40:41], v[42:43]
	s_cbranch_execz .LBB17_160
	s_branch .LBB17_161
.LBB17_159:
                                        ; implicit-def: $vgpr40_vgpr41
.LBB17_160:
	ds_read_b64 v[40:41], v1
.LBB17_161:
	s_and_saveexec_b64 s[4:5], s[2:3]
	s_cbranch_execz .LBB17_165
; %bb.162:
	s_or_b32 s8, 0, 8
	v_add_u32_e32 v42, -1, v0
	s_movk_i32 s9, 0x98
	s_mov_b64 s[2:3], 0
.LBB17_163:                             ; =>This Inner Loop Header: Depth=1
	scratch_load_dwordx2 v[44:45], off, s8
	v_mov_b32_e32 v43, s9
	ds_read_b64 v[46:47], v43
	v_add_u32_e32 v42, -1, v42
	s_add_i32 s9, s9, 8
	s_add_i32 s8, s8, 8
	v_cmp_eq_u32_e32 vcc, 0, v42
	s_or_b64 s[2:3], vcc, s[2:3]
	s_waitcnt vmcnt(0) lgkmcnt(0)
	v_fmac_f64_e32 v[40:41], v[44:45], v[46:47]
	s_andn2_b64 exec, exec, s[2:3]
	s_cbranch_execnz .LBB17_163
; %bb.164:
	s_or_b64 exec, exec, s[2:3]
.LBB17_165:
	s_or_b64 exec, exec, s[4:5]
	v_mov_b32_e32 v42, 0
	ds_read_b64 v[42:43], v42
	s_waitcnt lgkmcnt(0)
	v_mul_f64 v[40:41], v[40:41], v[42:43]
	scratch_store_dwordx2 off, v[40:41], off
.LBB17_166:
	s_or_b64 exec, exec, s[0:1]
	s_mov_b64 s[0:1], 0
.LBB17_167:
	s_and_b64 vcc, exec, s[0:1]
	s_cbranch_vccz .LBB17_329
; %bb.168:
	scratch_load_dwordx2 v[40:41], off, off offset:8
	v_cmp_eq_u32_e64 s[2:3], 0, v0
	s_waitcnt vmcnt(0)
	ds_write_b64 v1, v[40:41]
	s_waitcnt lgkmcnt(0)
	; wave barrier
	s_and_saveexec_b64 s[0:1], s[2:3]
	s_cbranch_execz .LBB17_174
; %bb.169:
	s_and_b64 vcc, exec, s[6:7]
	s_cbranch_vccz .LBB17_171
; %bb.170:
	scratch_load_dwordx2 v[40:41], v21, off
	ds_read_b64 v[42:43], v1
	s_waitcnt vmcnt(0) lgkmcnt(0)
	v_mul_f64 v[40:41], v[40:41], v[42:43]
	s_cbranch_execz .LBB17_172
	s_branch .LBB17_173
.LBB17_171:
                                        ; implicit-def: $vgpr40_vgpr41
.LBB17_172:
	ds_read_b64 v[40:41], v1
.LBB17_173:
	v_mov_b32_e32 v42, 0
	ds_read_b64 v[42:43], v42 offset:8
	s_waitcnt lgkmcnt(0)
	v_mul_f64 v[40:41], v[40:41], v[42:43]
	scratch_store_dwordx2 off, v[40:41], off offset:8
.LBB17_174:
	s_or_b64 exec, exec, s[0:1]
	scratch_load_dwordx2 v[40:41], off, off offset:16
	v_cndmask_b32_e64 v42, 0, 1, s[6:7]
	v_cmp_gt_u32_e32 vcc, 2, v0
	v_cmp_ne_u32_e64 s[0:1], 1, v42
	s_waitcnt vmcnt(0)
	ds_write_b64 v1, v[40:41]
	s_waitcnt lgkmcnt(0)
	; wave barrier
	s_and_saveexec_b64 s[4:5], vcc
	s_cbranch_execz .LBB17_180
; %bb.175:
	s_and_b64 vcc, exec, s[0:1]
	s_cbranch_vccnz .LBB17_177
; %bb.176:
	scratch_load_dwordx2 v[40:41], v21, off
	ds_read_b64 v[42:43], v1
	s_waitcnt vmcnt(0) lgkmcnt(0)
	v_mul_f64 v[40:41], v[40:41], v[42:43]
	s_cbranch_execz .LBB17_178
	s_branch .LBB17_179
.LBB17_177:
                                        ; implicit-def: $vgpr40_vgpr41
.LBB17_178:
	ds_read_b64 v[40:41], v1
.LBB17_179:
	scratch_load_dwordx2 v[46:47], off, off offset:8
	v_mov_b32_e32 v42, 0
	ds_read2_b64 v[42:45], v42 offset0:2 offset1:19
	s_waitcnt vmcnt(0) lgkmcnt(0)
	v_fma_f64 v[44:45], v[46:47], v[44:45], v[40:41]
	v_cndmask_b32_e64 v41, v41, v45, s[2:3]
	v_cndmask_b32_e64 v40, v40, v44, s[2:3]
	v_mul_f64 v[40:41], v[40:41], v[42:43]
	scratch_store_dwordx2 off, v[40:41], off offset:16
.LBB17_180:
	s_or_b64 exec, exec, s[4:5]
	scratch_load_dwordx2 v[40:41], off, off offset:24
	v_cmp_gt_u32_e32 vcc, 3, v0
	s_waitcnt vmcnt(0)
	ds_write_b64 v1, v[40:41]
	s_waitcnt lgkmcnt(0)
	; wave barrier
	s_and_saveexec_b64 s[4:5], vcc
	s_cbranch_execz .LBB17_188
; %bb.181:
	s_and_b64 vcc, exec, s[0:1]
	s_cbranch_vccnz .LBB17_183
; %bb.182:
	scratch_load_dwordx2 v[40:41], v21, off
	ds_read_b64 v[42:43], v1
	s_waitcnt vmcnt(0) lgkmcnt(0)
	v_mul_f64 v[40:41], v[40:41], v[42:43]
	s_cbranch_execz .LBB17_184
	s_branch .LBB17_185
.LBB17_183:
                                        ; implicit-def: $vgpr40_vgpr41
.LBB17_184:
	ds_read_b64 v[40:41], v1
.LBB17_185:
	v_cmp_ne_u32_e32 vcc, 2, v0
	s_and_saveexec_b64 s[6:7], vcc
	s_cbranch_execz .LBB17_187
; %bb.186:
	scratch_load_dwordx2 v[42:43], v21, off offset:8
	scratch_load_dwordx2 v[44:45], off, off offset:16
	ds_read_b64 v[46:47], v1 offset:8
	v_mov_b32_e32 v48, 0
	ds_read_b64 v[48:49], v48 offset:160
	s_waitcnt vmcnt(1) lgkmcnt(1)
	v_fmac_f64_e32 v[40:41], v[42:43], v[46:47]
	s_waitcnt vmcnt(0) lgkmcnt(0)
	v_fma_f64 v[42:43], v[44:45], v[48:49], v[40:41]
	v_cndmask_b32_e64 v41, v41, v43, s[2:3]
	v_cndmask_b32_e64 v40, v40, v42, s[2:3]
.LBB17_187:
	s_or_b64 exec, exec, s[6:7]
	v_mov_b32_e32 v42, 0
	ds_read_b64 v[42:43], v42 offset:24
	s_waitcnt lgkmcnt(0)
	v_mul_f64 v[40:41], v[40:41], v[42:43]
	scratch_store_dwordx2 off, v[40:41], off offset:24
.LBB17_188:
	s_or_b64 exec, exec, s[4:5]
	scratch_load_dwordx2 v[40:41], off, off offset:32
	v_cmp_gt_u32_e32 vcc, 4, v0
	s_waitcnt vmcnt(0)
	ds_write_b64 v1, v[40:41]
	s_waitcnt lgkmcnt(0)
	; wave barrier
	s_and_saveexec_b64 s[2:3], vcc
	s_cbranch_execz .LBB17_198
; %bb.189:
	s_and_b64 vcc, exec, s[0:1]
	s_cbranch_vccnz .LBB17_191
; %bb.190:
	scratch_load_dwordx2 v[40:41], v21, off
	ds_read_b64 v[42:43], v1
	s_waitcnt vmcnt(0) lgkmcnt(0)
	v_mul_f64 v[40:41], v[40:41], v[42:43]
	s_cbranch_execz .LBB17_192
	s_branch .LBB17_193
.LBB17_191:
                                        ; implicit-def: $vgpr40_vgpr41
.LBB17_192:
	ds_read_b64 v[40:41], v1
.LBB17_193:
	v_cmp_ne_u32_e32 vcc, 3, v0
	s_and_saveexec_b64 s[4:5], vcc
	s_cbranch_execz .LBB17_197
; %bb.194:
	s_mov_b32 s6, 0
	v_add_u32_e32 v42, 0x98, v20
	v_add3_u32 v43, v20, s6, 8
	s_mov_b64 s[6:7], 0
	v_mov_b32_e32 v44, v0
.LBB17_195:                             ; =>This Inner Loop Header: Depth=1
	scratch_load_dwordx2 v[46:47], v43, off
	ds_read_b64 v[48:49], v42
	v_add_u32_e32 v44, 1, v44
	v_cmp_lt_u32_e32 vcc, 2, v44
	v_add_u32_e32 v42, 8, v42
	v_add_u32_e32 v43, 8, v43
	s_or_b64 s[6:7], vcc, s[6:7]
	s_waitcnt vmcnt(0) lgkmcnt(0)
	v_fmac_f64_e32 v[40:41], v[46:47], v[48:49]
	s_andn2_b64 exec, exec, s[6:7]
	s_cbranch_execnz .LBB17_195
; %bb.196:
	s_or_b64 exec, exec, s[6:7]
.LBB17_197:
	s_or_b64 exec, exec, s[4:5]
	v_mov_b32_e32 v42, 0
	ds_read_b64 v[42:43], v42 offset:32
	s_waitcnt lgkmcnt(0)
	v_mul_f64 v[40:41], v[40:41], v[42:43]
	scratch_store_dwordx2 off, v[40:41], off offset:32
.LBB17_198:
	s_or_b64 exec, exec, s[2:3]
	scratch_load_dwordx2 v[40:41], off, off offset:40
	v_cmp_gt_u32_e32 vcc, 5, v0
	s_waitcnt vmcnt(0)
	ds_write_b64 v1, v[40:41]
	s_waitcnt lgkmcnt(0)
	; wave barrier
	s_and_saveexec_b64 s[2:3], vcc
	s_cbranch_execz .LBB17_208
; %bb.199:
	s_and_b64 vcc, exec, s[0:1]
	s_cbranch_vccnz .LBB17_201
; %bb.200:
	scratch_load_dwordx2 v[40:41], v21, off
	ds_read_b64 v[42:43], v1
	s_waitcnt vmcnt(0) lgkmcnt(0)
	v_mul_f64 v[40:41], v[40:41], v[42:43]
	s_cbranch_execz .LBB17_202
	s_branch .LBB17_203
.LBB17_201:
                                        ; implicit-def: $vgpr40_vgpr41
.LBB17_202:
	ds_read_b64 v[40:41], v1
.LBB17_203:
	v_cmp_ne_u32_e32 vcc, 4, v0
	s_and_saveexec_b64 s[4:5], vcc
	s_cbranch_execz .LBB17_207
; %bb.204:
	s_mov_b32 s6, 0
	v_add_u32_e32 v42, 0x98, v20
	v_add3_u32 v43, v20, s6, 8
	s_mov_b64 s[6:7], 0
	v_mov_b32_e32 v44, v0
.LBB17_205:                             ; =>This Inner Loop Header: Depth=1
	scratch_load_dwordx2 v[46:47], v43, off
	ds_read_b64 v[48:49], v42
	v_add_u32_e32 v44, 1, v44
	v_cmp_lt_u32_e32 vcc, 3, v44
	v_add_u32_e32 v42, 8, v42
	v_add_u32_e32 v43, 8, v43
	s_or_b64 s[6:7], vcc, s[6:7]
	s_waitcnt vmcnt(0) lgkmcnt(0)
	v_fmac_f64_e32 v[40:41], v[46:47], v[48:49]
	s_andn2_b64 exec, exec, s[6:7]
	s_cbranch_execnz .LBB17_205
; %bb.206:
	s_or_b64 exec, exec, s[6:7]
.LBB17_207:
	s_or_b64 exec, exec, s[4:5]
	v_mov_b32_e32 v42, 0
	ds_read_b64 v[42:43], v42 offset:40
	s_waitcnt lgkmcnt(0)
	v_mul_f64 v[40:41], v[40:41], v[42:43]
	scratch_store_dwordx2 off, v[40:41], off offset:40
.LBB17_208:
	;; [unrolled: 55-line block ×12, first 2 shown]
	s_or_b64 exec, exec, s[2:3]
	scratch_load_dwordx2 v[40:41], off, off offset:128
	v_cmp_gt_u32_e64 s[2:3], 16, v0
	s_waitcnt vmcnt(0)
	ds_write_b64 v1, v[40:41]
	s_waitcnt lgkmcnt(0)
	; wave barrier
	s_and_saveexec_b64 s[4:5], s[2:3]
	s_cbranch_execz .LBB17_318
; %bb.309:
	s_and_b64 vcc, exec, s[0:1]
	s_cbranch_vccnz .LBB17_311
; %bb.310:
	scratch_load_dwordx2 v[40:41], v21, off
	ds_read_b64 v[42:43], v1
	s_waitcnt vmcnt(0) lgkmcnt(0)
	v_mul_f64 v[40:41], v[40:41], v[42:43]
	s_cbranch_execz .LBB17_312
	s_branch .LBB17_313
.LBB17_311:
                                        ; implicit-def: $vgpr40_vgpr41
.LBB17_312:
	ds_read_b64 v[40:41], v1
.LBB17_313:
	v_cmp_ne_u32_e32 vcc, 15, v0
	s_and_saveexec_b64 s[6:7], vcc
	s_cbranch_execz .LBB17_317
; %bb.314:
	s_mov_b32 s8, 0
	v_add_u32_e32 v42, 0x98, v20
	v_add3_u32 v43, v20, s8, 8
	s_mov_b64 s[8:9], 0
	v_mov_b32_e32 v44, v0
.LBB17_315:                             ; =>This Inner Loop Header: Depth=1
	scratch_load_dwordx2 v[46:47], v43, off
	ds_read_b64 v[48:49], v42
	v_add_u32_e32 v44, 1, v44
	v_cmp_lt_u32_e32 vcc, 14, v44
	v_add_u32_e32 v42, 8, v42
	v_add_u32_e32 v43, 8, v43
	s_or_b64 s[8:9], vcc, s[8:9]
	s_waitcnt vmcnt(0) lgkmcnt(0)
	v_fmac_f64_e32 v[40:41], v[46:47], v[48:49]
	s_andn2_b64 exec, exec, s[8:9]
	s_cbranch_execnz .LBB17_315
; %bb.316:
	s_or_b64 exec, exec, s[8:9]
.LBB17_317:
	s_or_b64 exec, exec, s[6:7]
	v_mov_b32_e32 v42, 0
	ds_read_b64 v[42:43], v42 offset:128
	s_waitcnt lgkmcnt(0)
	v_mul_f64 v[40:41], v[40:41], v[42:43]
	scratch_store_dwordx2 off, v[40:41], off offset:128
.LBB17_318:
	s_or_b64 exec, exec, s[4:5]
	scratch_load_dwordx2 v[40:41], off, off offset:136
	v_cmp_ne_u32_e32 vcc, 17, v0
	s_waitcnt vmcnt(0)
	ds_write_b64 v1, v[40:41]
	s_waitcnt lgkmcnt(0)
	; wave barrier
	s_and_saveexec_b64 s[4:5], vcc
	s_cbranch_execz .LBB17_328
; %bb.319:
	s_and_b64 vcc, exec, s[0:1]
	s_cbranch_vccnz .LBB17_321
; %bb.320:
	scratch_load_dwordx2 v[40:41], v21, off
	ds_read_b64 v[42:43], v1
	s_waitcnt vmcnt(0) lgkmcnt(0)
	v_mul_f64 v[40:41], v[40:41], v[42:43]
	s_cbranch_execz .LBB17_322
	s_branch .LBB17_323
.LBB17_321:
                                        ; implicit-def: $vgpr40_vgpr41
.LBB17_322:
	ds_read_b64 v[40:41], v1
.LBB17_323:
	s_and_saveexec_b64 s[0:1], s[2:3]
	s_cbranch_execz .LBB17_327
; %bb.324:
	s_mov_b32 s2, 0
	v_add_u32_e32 v1, 0x98, v20
	v_add3_u32 v20, v20, s2, 8
	s_mov_b64 s[2:3], 0
.LBB17_325:                             ; =>This Inner Loop Header: Depth=1
	scratch_load_dwordx2 v[42:43], v20, off
	ds_read_b64 v[44:45], v1
	v_add_u32_e32 v0, 1, v0
	v_cmp_lt_u32_e32 vcc, 15, v0
	v_add_u32_e32 v1, 8, v1
	v_add_u32_e32 v20, 8, v20
	s_or_b64 s[2:3], vcc, s[2:3]
	s_waitcnt vmcnt(0) lgkmcnt(0)
	v_fmac_f64_e32 v[40:41], v[42:43], v[44:45]
	s_andn2_b64 exec, exec, s[2:3]
	s_cbranch_execnz .LBB17_325
; %bb.326:
	s_or_b64 exec, exec, s[2:3]
.LBB17_327:
	s_or_b64 exec, exec, s[0:1]
	v_mov_b32_e32 v0, 0
	ds_read_b64 v[0:1], v0 offset:136
	s_waitcnt lgkmcnt(0)
	v_mul_f64 v[0:1], v[40:41], v[0:1]
	scratch_store_dwordx2 off, v[0:1], off offset:136
.LBB17_328:
	s_or_b64 exec, exec, s[4:5]
.LBB17_329:
	scratch_load_dwordx4 v[40:43], off, off
	s_waitcnt vmcnt(0)
	global_store_dwordx2 v[2:3], v[40:41], off
	global_store_dwordx2 v[4:5], v[42:43], off
	scratch_load_dwordx4 v[0:3], off, off offset:16
	s_waitcnt vmcnt(0)
	global_store_dwordx2 v[6:7], v[0:1], off
	global_store_dwordx2 v[8:9], v[2:3], off
	scratch_load_dwordx4 v[0:3], off, off offset:32
	;; [unrolled: 4-line block ×8, first 2 shown]
	s_waitcnt vmcnt(0)
	global_store_dwordx2 v[30:31], v[0:1], off
	global_store_dwordx2 v[34:35], v[2:3], off
.LBB17_330:
	s_endpgm
	.section	.rodata,"a",@progbits
	.p2align	6, 0x0
	.amdhsa_kernel _ZN9rocsolver6v33100L18trti2_kernel_smallILi18EdPdEEv13rocblas_fill_17rocblas_diagonal_T1_iil
		.amdhsa_group_segment_fixed_size 288
		.amdhsa_private_segment_fixed_size 160
		.amdhsa_kernarg_size 32
		.amdhsa_user_sgpr_count 2
		.amdhsa_user_sgpr_dispatch_ptr 0
		.amdhsa_user_sgpr_queue_ptr 0
		.amdhsa_user_sgpr_kernarg_segment_ptr 1
		.amdhsa_user_sgpr_dispatch_id 0
		.amdhsa_user_sgpr_kernarg_preload_length 0
		.amdhsa_user_sgpr_kernarg_preload_offset 0
		.amdhsa_user_sgpr_private_segment_size 0
		.amdhsa_uses_dynamic_stack 0
		.amdhsa_enable_private_segment 1
		.amdhsa_system_sgpr_workgroup_id_x 1
		.amdhsa_system_sgpr_workgroup_id_y 0
		.amdhsa_system_sgpr_workgroup_id_z 0
		.amdhsa_system_sgpr_workgroup_info 0
		.amdhsa_system_vgpr_workitem_id 0
		.amdhsa_next_free_vgpr 50
		.amdhsa_next_free_sgpr 19
		.amdhsa_accum_offset 52
		.amdhsa_reserve_vcc 1
		.amdhsa_float_round_mode_32 0
		.amdhsa_float_round_mode_16_64 0
		.amdhsa_float_denorm_mode_32 3
		.amdhsa_float_denorm_mode_16_64 3
		.amdhsa_dx10_clamp 1
		.amdhsa_ieee_mode 1
		.amdhsa_fp16_overflow 0
		.amdhsa_tg_split 0
		.amdhsa_exception_fp_ieee_invalid_op 0
		.amdhsa_exception_fp_denorm_src 0
		.amdhsa_exception_fp_ieee_div_zero 0
		.amdhsa_exception_fp_ieee_overflow 0
		.amdhsa_exception_fp_ieee_underflow 0
		.amdhsa_exception_fp_ieee_inexact 0
		.amdhsa_exception_int_div_zero 0
	.end_amdhsa_kernel
	.section	.text._ZN9rocsolver6v33100L18trti2_kernel_smallILi18EdPdEEv13rocblas_fill_17rocblas_diagonal_T1_iil,"axG",@progbits,_ZN9rocsolver6v33100L18trti2_kernel_smallILi18EdPdEEv13rocblas_fill_17rocblas_diagonal_T1_iil,comdat
.Lfunc_end17:
	.size	_ZN9rocsolver6v33100L18trti2_kernel_smallILi18EdPdEEv13rocblas_fill_17rocblas_diagonal_T1_iil, .Lfunc_end17-_ZN9rocsolver6v33100L18trti2_kernel_smallILi18EdPdEEv13rocblas_fill_17rocblas_diagonal_T1_iil
                                        ; -- End function
	.set _ZN9rocsolver6v33100L18trti2_kernel_smallILi18EdPdEEv13rocblas_fill_17rocblas_diagonal_T1_iil.num_vgpr, 50
	.set _ZN9rocsolver6v33100L18trti2_kernel_smallILi18EdPdEEv13rocblas_fill_17rocblas_diagonal_T1_iil.num_agpr, 0
	.set _ZN9rocsolver6v33100L18trti2_kernel_smallILi18EdPdEEv13rocblas_fill_17rocblas_diagonal_T1_iil.numbered_sgpr, 19
	.set _ZN9rocsolver6v33100L18trti2_kernel_smallILi18EdPdEEv13rocblas_fill_17rocblas_diagonal_T1_iil.num_named_barrier, 0
	.set _ZN9rocsolver6v33100L18trti2_kernel_smallILi18EdPdEEv13rocblas_fill_17rocblas_diagonal_T1_iil.private_seg_size, 160
	.set _ZN9rocsolver6v33100L18trti2_kernel_smallILi18EdPdEEv13rocblas_fill_17rocblas_diagonal_T1_iil.uses_vcc, 1
	.set _ZN9rocsolver6v33100L18trti2_kernel_smallILi18EdPdEEv13rocblas_fill_17rocblas_diagonal_T1_iil.uses_flat_scratch, 0
	.set _ZN9rocsolver6v33100L18trti2_kernel_smallILi18EdPdEEv13rocblas_fill_17rocblas_diagonal_T1_iil.has_dyn_sized_stack, 0
	.set _ZN9rocsolver6v33100L18trti2_kernel_smallILi18EdPdEEv13rocblas_fill_17rocblas_diagonal_T1_iil.has_recursion, 0
	.set _ZN9rocsolver6v33100L18trti2_kernel_smallILi18EdPdEEv13rocblas_fill_17rocblas_diagonal_T1_iil.has_indirect_call, 0
	.section	.AMDGPU.csdata,"",@progbits
; Kernel info:
; codeLenInByte = 8264
; TotalNumSgprs: 25
; NumVgprs: 50
; NumAgprs: 0
; TotalNumVgprs: 50
; ScratchSize: 160
; MemoryBound: 0
; FloatMode: 240
; IeeeMode: 1
; LDSByteSize: 288 bytes/workgroup (compile time only)
; SGPRBlocks: 3
; VGPRBlocks: 6
; NumSGPRsForWavesPerEU: 25
; NumVGPRsForWavesPerEU: 50
; AccumOffset: 52
; Occupancy: 8
; WaveLimiterHint : 0
; COMPUTE_PGM_RSRC2:SCRATCH_EN: 1
; COMPUTE_PGM_RSRC2:USER_SGPR: 2
; COMPUTE_PGM_RSRC2:TRAP_HANDLER: 0
; COMPUTE_PGM_RSRC2:TGID_X_EN: 1
; COMPUTE_PGM_RSRC2:TGID_Y_EN: 0
; COMPUTE_PGM_RSRC2:TGID_Z_EN: 0
; COMPUTE_PGM_RSRC2:TIDIG_COMP_CNT: 0
; COMPUTE_PGM_RSRC3_GFX90A:ACCUM_OFFSET: 12
; COMPUTE_PGM_RSRC3_GFX90A:TG_SPLIT: 0
	.section	.text._ZN9rocsolver6v33100L18trti2_kernel_smallILi19EdPdEEv13rocblas_fill_17rocblas_diagonal_T1_iil,"axG",@progbits,_ZN9rocsolver6v33100L18trti2_kernel_smallILi19EdPdEEv13rocblas_fill_17rocblas_diagonal_T1_iil,comdat
	.globl	_ZN9rocsolver6v33100L18trti2_kernel_smallILi19EdPdEEv13rocblas_fill_17rocblas_diagonal_T1_iil ; -- Begin function _ZN9rocsolver6v33100L18trti2_kernel_smallILi19EdPdEEv13rocblas_fill_17rocblas_diagonal_T1_iil
	.p2align	8
	.type	_ZN9rocsolver6v33100L18trti2_kernel_smallILi19EdPdEEv13rocblas_fill_17rocblas_diagonal_T1_iil,@function
_ZN9rocsolver6v33100L18trti2_kernel_smallILi19EdPdEEv13rocblas_fill_17rocblas_diagonal_T1_iil: ; @_ZN9rocsolver6v33100L18trti2_kernel_smallILi19EdPdEEv13rocblas_fill_17rocblas_diagonal_T1_iil
; %bb.0:
	v_cmp_gt_u32_e32 vcc, 19, v0
	s_and_saveexec_b64 s[4:5], vcc
	s_cbranch_execz .LBB18_350
; %bb.1:
	s_load_dwordx8 s[4:11], s[0:1], 0x0
	s_ashr_i32 s3, s2, 31
	v_lshlrev_b32_e32 v20, 3, v0
	v_mov_b32_e32 v21, 0
	s_waitcnt lgkmcnt(0)
	s_ashr_i32 s1, s8, 31
	s_mov_b32 s0, s8
	s_mul_hi_u32 s8, s10, s2
	s_mul_i32 s3, s10, s3
	s_add_i32 s3, s8, s3
	s_mul_i32 s8, s11, s2
	s_add_i32 s3, s3, s8
	s_mul_i32 s2, s10, s2
	s_lshl_b64 s[2:3], s[2:3], 3
	s_add_u32 s2, s6, s2
	s_addc_u32 s3, s7, s3
	s_lshl_b64 s[0:1], s[0:1], 3
	s_add_u32 s0, s2, s0
	s_addc_u32 s1, s3, s1
	v_lshl_add_u64 v[2:3], s[0:1], 0, v[20:21]
	s_ashr_i32 s3, s9, 31
	s_mov_b32 s2, s9
	v_lshl_add_u64 v[4:5], s[2:3], 3, v[2:3]
	global_load_dwordx2 v[6:7], v20, s[0:1]
	global_load_dwordx2 v[8:9], v[4:5], off
	s_add_i32 s2, s9, s9
	s_cmpk_lg_i32 s5, 0x84
	s_cselect_b64 s[6:7], -1, 0
	s_cmpk_eq_i32 s5, 0x84
	s_waitcnt vmcnt(0)
	scratch_store_dwordx4 off, v[6:9], off
	s_nop 1
	v_add_u32_e32 v8, s2, v0
	v_add_u32_e32 v10, s9, v8
	v_ashrrev_i32_e32 v9, 31, v8
	v_ashrrev_i32_e32 v11, 31, v10
	v_lshl_add_u64 v[6:7], v[8:9], 3, s[0:1]
	v_lshl_add_u64 v[8:9], v[10:11], 3, s[0:1]
	global_load_dwordx2 v[12:13], v[6:7], off
	global_load_dwordx2 v[14:15], v[8:9], off
	s_waitcnt vmcnt(0)
	scratch_store_dwordx4 off, v[12:15], off offset:16
	s_nop 1
	v_add_u32_e32 v12, s9, v10
	v_add_u32_e32 v14, s9, v12
	v_ashrrev_i32_e32 v13, 31, v12
	v_ashrrev_i32_e32 v15, 31, v14
	v_lshl_add_u64 v[10:11], v[12:13], 3, s[0:1]
	v_lshl_add_u64 v[12:13], v[14:15], 3, s[0:1]
	global_load_dwordx2 v[16:17], v[10:11], off
	global_load_dwordx2 v[18:19], v[12:13], off
	s_waitcnt vmcnt(0)
	scratch_store_dwordx4 off, v[16:19], off offset:32
	;; [unrolled: 11-line block ×6, first 2 shown]
	s_nop 1
	v_add_u32_e32 v34, s9, v32
	v_add_u32_e32 v36, s9, v34
	v_ashrrev_i32_e32 v35, 31, v34
	v_ashrrev_i32_e32 v37, 31, v36
	v_lshl_add_u64 v[32:33], v[34:35], 3, s[0:1]
	v_lshl_add_u64 v[34:35], v[36:37], 3, s[0:1]
	global_load_dwordx2 v[38:39], v[32:33], off
	global_load_dwordx2 v[40:41], v[34:35], off
	v_add_u32_e32 v36, s9, v36
	v_ashrrev_i32_e32 v37, 31, v36
	s_waitcnt vmcnt(0)
	scratch_store_dwordx4 off, v[38:41], off offset:112
	s_nop 1
	v_lshl_add_u64 v[38:39], v[36:37], 3, s[0:1]
	v_add_u32_e32 v36, s9, v36
	v_ashrrev_i32_e32 v37, 31, v36
	v_lshl_add_u64 v[40:41], v[36:37], 3, s[0:1]
	global_load_dwordx2 v[42:43], v[38:39], off
	global_load_dwordx2 v[44:45], v[40:41], off
	v_add_u32_e32 v36, s9, v36
	v_ashrrev_i32_e32 v37, 31, v36
	v_lshl_add_u64 v[36:37], v[36:37], 3, s[0:1]
	s_waitcnt vmcnt(0)
	scratch_store_dwordx4 off, v[42:45], off offset:128
	global_load_dwordx2 v[42:43], v[36:37], off
	s_waitcnt vmcnt(0)
	scratch_store_dwordx2 off, v[42:43], off offset:144
	v_mov_b64_e32 v[42:43], -1.0
	s_cbranch_scc1 .LBB18_3
; %bb.2:
	scratch_load_dwordx2 v[42:43], v20, off
	s_waitcnt vmcnt(0)
	v_div_scale_f64 v[44:45], s[0:1], v[42:43], v[42:43], 1.0
	v_rcp_f64_e32 v[46:47], v[44:45]
	v_div_scale_f64 v[48:49], vcc, 1.0, v[42:43], 1.0
	v_fma_f64 v[50:51], -v[44:45], v[46:47], 1.0
	v_fmac_f64_e32 v[46:47], v[46:47], v[50:51]
	v_fma_f64 v[50:51], -v[44:45], v[46:47], 1.0
	v_fmac_f64_e32 v[46:47], v[46:47], v[50:51]
	v_mul_f64 v[50:51], v[48:49], v[46:47]
	v_fma_f64 v[44:45], -v[44:45], v[50:51], v[48:49]
	v_div_fmas_f64 v[44:45], v[44:45], v[46:47], v[50:51]
	v_div_fixup_f64 v[42:43], v[44:45], v[42:43], 1.0
	scratch_store_dwordx2 v20, v[42:43], off
	v_xor_b32_e32 v43, 0x80000000, v43
.LBB18_3:
	s_cmpk_eq_i32 s4, 0x79
	v_add_u32_e32 v1, 0xa0, v20
	v_mov_b32_e32 v21, v20
	s_mov_b64 s[0:1], -1
	ds_write_b64 v20, v[42:43]
	s_cbranch_scc1 .LBB18_177
; %bb.4:
	scratch_load_dwordx2 v[42:43], off, off offset:136
	s_movk_i32 s8, 0x50
	s_movk_i32 s9, 0x60
	;; [unrolled: 1-line block ×4, first 2 shown]
	v_cmp_eq_u32_e64 s[0:1], 18, v0
	s_waitcnt vmcnt(0)
	ds_write_b64 v1, v[42:43]
	s_waitcnt lgkmcnt(0)
	; wave barrier
	s_and_saveexec_b64 s[2:3], s[0:1]
	s_cbranch_execz .LBB18_10
; %bb.5:
	s_and_b64 vcc, exec, s[6:7]
	s_cbranch_vccz .LBB18_7
; %bb.6:
	scratch_load_dwordx2 v[42:43], v21, off
	ds_read_b64 v[44:45], v1
	s_waitcnt vmcnt(0) lgkmcnt(0)
	v_mul_f64 v[42:43], v[42:43], v[44:45]
	s_cbranch_execz .LBB18_8
	s_branch .LBB18_9
.LBB18_7:
                                        ; implicit-def: $vgpr42_vgpr43
.LBB18_8:
	ds_read_b64 v[42:43], v1
.LBB18_9:
	v_mov_b32_e32 v44, 0
	ds_read_b64 v[44:45], v44 offset:136
	s_waitcnt lgkmcnt(0)
	v_mul_f64 v[42:43], v[42:43], v[44:45]
	scratch_store_dwordx2 off, v[42:43], off offset:136
.LBB18_10:
	s_or_b64 exec, exec, s[2:3]
	scratch_load_dwordx2 v[42:43], off, off offset:128
	s_mov_b32 s10, 16
	s_mov_b32 s11, 32
	;; [unrolled: 1-line block ×6, first 2 shown]
	v_cmp_lt_u32_e64 s[4:5], 16, v0
	s_waitcnt vmcnt(0)
	ds_write_b64 v1, v[42:43]
	s_waitcnt lgkmcnt(0)
	; wave barrier
	s_and_saveexec_b64 s[2:3], s[4:5]
	s_cbranch_execz .LBB18_16
; %bb.11:
	s_andn2_b64 vcc, exec, s[6:7]
	s_cbranch_vccnz .LBB18_13
; %bb.12:
	scratch_load_dwordx2 v[42:43], v21, off
	ds_read_b64 v[44:45], v1
	s_waitcnt vmcnt(0) lgkmcnt(0)
	v_mul_f64 v[42:43], v[42:43], v[44:45]
	s_cbranch_execz .LBB18_14
	s_branch .LBB18_15
.LBB18_13:
                                        ; implicit-def: $vgpr42_vgpr43
.LBB18_14:
	ds_read_b64 v[42:43], v1
.LBB18_15:
	scratch_load_dwordx2 v[48:49], off, off offset:136
	v_mov_b32_e32 v44, 0
	ds_read2_b64 v[44:47], v44 offset0:16 offset1:37
	s_waitcnt vmcnt(0) lgkmcnt(0)
	v_fma_f64 v[46:47], v[48:49], v[46:47], v[42:43]
	v_cndmask_b32_e64 v43, v43, v47, s[0:1]
	v_cndmask_b32_e64 v42, v42, v46, s[0:1]
	v_mul_f64 v[42:43], v[42:43], v[44:45]
	scratch_store_dwordx2 off, v[42:43], off offset:128
.LBB18_16:
	s_or_b64 exec, exec, s[2:3]
	scratch_load_dwordx2 v[42:43], off, off offset:120
	v_cmp_lt_u32_e64 s[2:3], 15, v0
	s_waitcnt vmcnt(0)
	ds_write_b64 v1, v[42:43]
	s_waitcnt lgkmcnt(0)
	; wave barrier
	s_and_saveexec_b64 s[0:1], s[2:3]
	s_cbranch_execz .LBB18_26
; %bb.17:
	s_andn2_b64 vcc, exec, s[6:7]
	s_cbranch_vccnz .LBB18_19
; %bb.18:
	scratch_load_dwordx2 v[42:43], v21, off
	ds_read_b64 v[44:45], v1
	s_waitcnt vmcnt(0) lgkmcnt(0)
	v_mul_f64 v[42:43], v[42:43], v[44:45]
	s_cbranch_execz .LBB18_20
	s_branch .LBB18_21
.LBB18_19:
                                        ; implicit-def: $vgpr42_vgpr43
.LBB18_20:
	ds_read_b64 v[42:43], v1
.LBB18_21:
	s_and_saveexec_b64 s[8:9], s[4:5]
	s_cbranch_execz .LBB18_25
; %bb.22:
	v_add_u32_e32 v44, -16, v0
	s_movk_i32 s18, 0x120
	s_mov_b64 s[4:5], 0
.LBB18_23:                              ; =>This Inner Loop Header: Depth=1
	scratch_load_dwordx2 v[46:47], off, s17
	v_mov_b32_e32 v45, s18
	ds_read_b64 v[48:49], v45
	v_add_u32_e32 v44, -1, v44
	s_add_i32 s18, s18, 8
	s_add_i32 s17, s17, 8
	v_cmp_eq_u32_e32 vcc, 0, v44
	s_or_b64 s[4:5], vcc, s[4:5]
	s_waitcnt vmcnt(0) lgkmcnt(0)
	v_fmac_f64_e32 v[42:43], v[46:47], v[48:49]
	s_andn2_b64 exec, exec, s[4:5]
	s_cbranch_execnz .LBB18_23
; %bb.24:
	s_or_b64 exec, exec, s[4:5]
.LBB18_25:
	s_or_b64 exec, exec, s[8:9]
	v_mov_b32_e32 v44, 0
	ds_read_b64 v[44:45], v44 offset:120
	s_waitcnt lgkmcnt(0)
	v_mul_f64 v[42:43], v[42:43], v[44:45]
	scratch_store_dwordx2 off, v[42:43], off offset:120
.LBB18_26:
	s_or_b64 exec, exec, s[0:1]
	scratch_load_dwordx2 v[42:43], off, off offset:112
	v_cmp_lt_u32_e64 s[0:1], 14, v0
	s_waitcnt vmcnt(0)
	ds_write_b64 v1, v[42:43]
	s_waitcnt lgkmcnt(0)
	; wave barrier
	s_and_saveexec_b64 s[4:5], s[0:1]
	s_cbranch_execz .LBB18_36
; %bb.27:
	s_andn2_b64 vcc, exec, s[6:7]
	s_cbranch_vccnz .LBB18_29
; %bb.28:
	scratch_load_dwordx2 v[42:43], v21, off
	ds_read_b64 v[44:45], v1
	s_waitcnt vmcnt(0) lgkmcnt(0)
	v_mul_f64 v[42:43], v[42:43], v[44:45]
	s_cbranch_execz .LBB18_30
	s_branch .LBB18_31
.LBB18_29:
                                        ; implicit-def: $vgpr42_vgpr43
.LBB18_30:
	ds_read_b64 v[42:43], v1
.LBB18_31:
	s_and_saveexec_b64 s[8:9], s[2:3]
	s_cbranch_execz .LBB18_35
; %bb.32:
	s_movk_i32 s17, 0x78
	v_add_u32_e32 v44, -15, v0
	s_movk_i32 s18, 0x118
	s_mov_b64 s[2:3], 0
.LBB18_33:                              ; =>This Inner Loop Header: Depth=1
	scratch_load_dwordx2 v[46:47], off, s17
	v_mov_b32_e32 v45, s18
	ds_read_b64 v[48:49], v45
	v_add_u32_e32 v44, -1, v44
	s_add_i32 s18, s18, 8
	s_add_i32 s17, s17, 8
	v_cmp_eq_u32_e32 vcc, 0, v44
	s_or_b64 s[2:3], vcc, s[2:3]
	s_waitcnt vmcnt(0) lgkmcnt(0)
	v_fmac_f64_e32 v[42:43], v[46:47], v[48:49]
	s_andn2_b64 exec, exec, s[2:3]
	s_cbranch_execnz .LBB18_33
; %bb.34:
	s_or_b64 exec, exec, s[2:3]
.LBB18_35:
	s_or_b64 exec, exec, s[8:9]
	v_mov_b32_e32 v44, 0
	ds_read_b64 v[44:45], v44 offset:112
	s_waitcnt lgkmcnt(0)
	v_mul_f64 v[42:43], v[42:43], v[44:45]
	scratch_store_dwordx2 off, v[42:43], off offset:112
.LBB18_36:
	s_or_b64 exec, exec, s[4:5]
	scratch_load_dwordx2 v[42:43], off, off offset:104
	v_cmp_lt_u32_e64 s[2:3], 13, v0
	s_waitcnt vmcnt(0)
	ds_write_b64 v1, v[42:43]
	s_waitcnt lgkmcnt(0)
	; wave barrier
	s_and_saveexec_b64 s[4:5], s[2:3]
	s_cbranch_execz .LBB18_46
; %bb.37:
	s_andn2_b64 vcc, exec, s[6:7]
	s_cbranch_vccnz .LBB18_39
; %bb.38:
	scratch_load_dwordx2 v[42:43], v21, off
	ds_read_b64 v[44:45], v1
	s_waitcnt vmcnt(0) lgkmcnt(0)
	v_mul_f64 v[42:43], v[42:43], v[44:45]
	s_cbranch_execz .LBB18_40
	s_branch .LBB18_41
.LBB18_39:
                                        ; implicit-def: $vgpr42_vgpr43
.LBB18_40:
	ds_read_b64 v[42:43], v1
.LBB18_41:
	s_and_saveexec_b64 s[8:9], s[0:1]
	s_cbranch_execz .LBB18_45
; %bb.42:
	v_add_u32_e32 v44, -14, v0
	s_movk_i32 s17, 0x110
	s_mov_b64 s[0:1], 0
.LBB18_43:                              ; =>This Inner Loop Header: Depth=1
	scratch_load_dwordx2 v[46:47], off, s16
	v_mov_b32_e32 v45, s17
	ds_read_b64 v[48:49], v45
	v_add_u32_e32 v44, -1, v44
	s_add_i32 s17, s17, 8
	s_add_i32 s16, s16, 8
	v_cmp_eq_u32_e32 vcc, 0, v44
	s_or_b64 s[0:1], vcc, s[0:1]
	s_waitcnt vmcnt(0) lgkmcnt(0)
	v_fmac_f64_e32 v[42:43], v[46:47], v[48:49]
	s_andn2_b64 exec, exec, s[0:1]
	s_cbranch_execnz .LBB18_43
; %bb.44:
	s_or_b64 exec, exec, s[0:1]
.LBB18_45:
	s_or_b64 exec, exec, s[8:9]
	v_mov_b32_e32 v44, 0
	ds_read_b64 v[44:45], v44 offset:104
	s_waitcnt lgkmcnt(0)
	v_mul_f64 v[42:43], v[42:43], v[44:45]
	scratch_store_dwordx2 off, v[42:43], off offset:104
.LBB18_46:
	s_or_b64 exec, exec, s[4:5]
	scratch_load_dwordx2 v[42:43], off, off offset:96
	v_cmp_lt_u32_e64 s[0:1], 12, v0
	s_waitcnt vmcnt(0)
	ds_write_b64 v1, v[42:43]
	s_waitcnt lgkmcnt(0)
	; wave barrier
	s_and_saveexec_b64 s[4:5], s[0:1]
	s_cbranch_execz .LBB18_56
; %bb.47:
	s_andn2_b64 vcc, exec, s[6:7]
	s_cbranch_vccnz .LBB18_49
; %bb.48:
	scratch_load_dwordx2 v[42:43], v21, off
	ds_read_b64 v[44:45], v1
	s_waitcnt vmcnt(0) lgkmcnt(0)
	v_mul_f64 v[42:43], v[42:43], v[44:45]
	s_cbranch_execz .LBB18_50
	s_branch .LBB18_51
.LBB18_49:
                                        ; implicit-def: $vgpr42_vgpr43
.LBB18_50:
	ds_read_b64 v[42:43], v1
.LBB18_51:
	s_and_saveexec_b64 s[8:9], s[2:3]
	s_cbranch_execz .LBB18_55
; %bb.52:
	s_movk_i32 s16, 0x68
	v_add_u32_e32 v44, -13, v0
	s_movk_i32 s17, 0x108
	s_mov_b64 s[2:3], 0
.LBB18_53:                              ; =>This Inner Loop Header: Depth=1
	scratch_load_dwordx2 v[46:47], off, s16
	v_mov_b32_e32 v45, s17
	ds_read_b64 v[48:49], v45
	v_add_u32_e32 v44, -1, v44
	s_add_i32 s17, s17, 8
	s_add_i32 s16, s16, 8
	v_cmp_eq_u32_e32 vcc, 0, v44
	s_or_b64 s[2:3], vcc, s[2:3]
	s_waitcnt vmcnt(0) lgkmcnt(0)
	v_fmac_f64_e32 v[42:43], v[46:47], v[48:49]
	s_andn2_b64 exec, exec, s[2:3]
	s_cbranch_execnz .LBB18_53
; %bb.54:
	s_or_b64 exec, exec, s[2:3]
.LBB18_55:
	s_or_b64 exec, exec, s[8:9]
	v_mov_b32_e32 v44, 0
	ds_read_b64 v[44:45], v44 offset:96
	s_waitcnt lgkmcnt(0)
	v_mul_f64 v[42:43], v[42:43], v[44:45]
	scratch_store_dwordx2 off, v[42:43], off offset:96
.LBB18_56:
	s_or_b64 exec, exec, s[4:5]
	scratch_load_dwordx2 v[42:43], off, off offset:88
	v_cmp_lt_u32_e64 s[2:3], 11, v0
	s_waitcnt vmcnt(0)
	ds_write_b64 v1, v[42:43]
	s_waitcnt lgkmcnt(0)
	; wave barrier
	s_and_saveexec_b64 s[4:5], s[2:3]
	s_cbranch_execz .LBB18_66
; %bb.57:
	s_andn2_b64 vcc, exec, s[6:7]
	s_cbranch_vccnz .LBB18_59
; %bb.58:
	scratch_load_dwordx2 v[42:43], v21, off
	ds_read_b64 v[44:45], v1
	s_waitcnt vmcnt(0) lgkmcnt(0)
	v_mul_f64 v[42:43], v[42:43], v[44:45]
	s_cbranch_execz .LBB18_60
	s_branch .LBB18_61
.LBB18_59:
                                        ; implicit-def: $vgpr42_vgpr43
.LBB18_60:
	ds_read_b64 v[42:43], v1
.LBB18_61:
	s_and_saveexec_b64 s[8:9], s[0:1]
	s_cbranch_execz .LBB18_65
; %bb.62:
	v_add_u32_e32 v44, -12, v0
	s_movk_i32 s16, 0x100
	s_mov_b64 s[0:1], 0
.LBB18_63:                              ; =>This Inner Loop Header: Depth=1
	scratch_load_dwordx2 v[46:47], off, s15
	v_mov_b32_e32 v45, s16
	ds_read_b64 v[48:49], v45
	v_add_u32_e32 v44, -1, v44
	s_add_i32 s16, s16, 8
	s_add_i32 s15, s15, 8
	v_cmp_eq_u32_e32 vcc, 0, v44
	s_or_b64 s[0:1], vcc, s[0:1]
	s_waitcnt vmcnt(0) lgkmcnt(0)
	v_fmac_f64_e32 v[42:43], v[46:47], v[48:49]
	s_andn2_b64 exec, exec, s[0:1]
	s_cbranch_execnz .LBB18_63
; %bb.64:
	s_or_b64 exec, exec, s[0:1]
.LBB18_65:
	s_or_b64 exec, exec, s[8:9]
	v_mov_b32_e32 v44, 0
	ds_read_b64 v[44:45], v44 offset:88
	s_waitcnt lgkmcnt(0)
	v_mul_f64 v[42:43], v[42:43], v[44:45]
	scratch_store_dwordx2 off, v[42:43], off offset:88
.LBB18_66:
	s_or_b64 exec, exec, s[4:5]
	scratch_load_dwordx2 v[42:43], off, off offset:80
	v_cmp_lt_u32_e64 s[0:1], 10, v0
	s_waitcnt vmcnt(0)
	ds_write_b64 v1, v[42:43]
	s_waitcnt lgkmcnt(0)
	; wave barrier
	s_and_saveexec_b64 s[4:5], s[0:1]
	s_cbranch_execz .LBB18_76
; %bb.67:
	s_andn2_b64 vcc, exec, s[6:7]
	s_cbranch_vccnz .LBB18_69
; %bb.68:
	scratch_load_dwordx2 v[42:43], v21, off
	ds_read_b64 v[44:45], v1
	s_waitcnt vmcnt(0) lgkmcnt(0)
	v_mul_f64 v[42:43], v[42:43], v[44:45]
	s_cbranch_execz .LBB18_70
	s_branch .LBB18_71
.LBB18_69:
                                        ; implicit-def: $vgpr42_vgpr43
.LBB18_70:
	ds_read_b64 v[42:43], v1
.LBB18_71:
	s_and_saveexec_b64 s[8:9], s[2:3]
	s_cbranch_execz .LBB18_75
; %bb.72:
	s_movk_i32 s15, 0x58
	v_add_u32_e32 v44, -11, v0
	s_movk_i32 s16, 0xf8
	s_mov_b64 s[2:3], 0
.LBB18_73:                              ; =>This Inner Loop Header: Depth=1
	scratch_load_dwordx2 v[46:47], off, s15
	v_mov_b32_e32 v45, s16
	ds_read_b64 v[48:49], v45
	v_add_u32_e32 v44, -1, v44
	s_add_i32 s16, s16, 8
	s_add_i32 s15, s15, 8
	v_cmp_eq_u32_e32 vcc, 0, v44
	s_or_b64 s[2:3], vcc, s[2:3]
	s_waitcnt vmcnt(0) lgkmcnt(0)
	v_fmac_f64_e32 v[42:43], v[46:47], v[48:49]
	s_andn2_b64 exec, exec, s[2:3]
	s_cbranch_execnz .LBB18_73
; %bb.74:
	s_or_b64 exec, exec, s[2:3]
.LBB18_75:
	s_or_b64 exec, exec, s[8:9]
	v_mov_b32_e32 v44, 0
	ds_read_b64 v[44:45], v44 offset:80
	s_waitcnt lgkmcnt(0)
	v_mul_f64 v[42:43], v[42:43], v[44:45]
	scratch_store_dwordx2 off, v[42:43], off offset:80
.LBB18_76:
	s_or_b64 exec, exec, s[4:5]
	scratch_load_dwordx2 v[42:43], off, off offset:72
	v_cmp_lt_u32_e64 s[2:3], 9, v0
	s_waitcnt vmcnt(0)
	ds_write_b64 v1, v[42:43]
	s_waitcnt lgkmcnt(0)
	; wave barrier
	s_and_saveexec_b64 s[4:5], s[2:3]
	s_cbranch_execz .LBB18_86
; %bb.77:
	s_andn2_b64 vcc, exec, s[6:7]
	s_cbranch_vccnz .LBB18_79
; %bb.78:
	scratch_load_dwordx2 v[42:43], v21, off
	ds_read_b64 v[44:45], v1
	s_waitcnt vmcnt(0) lgkmcnt(0)
	v_mul_f64 v[42:43], v[42:43], v[44:45]
	s_cbranch_execz .LBB18_80
	s_branch .LBB18_81
.LBB18_79:
                                        ; implicit-def: $vgpr42_vgpr43
.LBB18_80:
	ds_read_b64 v[42:43], v1
.LBB18_81:
	s_and_saveexec_b64 s[8:9], s[0:1]
	s_cbranch_execz .LBB18_85
; %bb.82:
	v_add_u32_e32 v44, -10, v0
	s_movk_i32 s15, 0xf0
	s_mov_b64 s[0:1], 0
.LBB18_83:                              ; =>This Inner Loop Header: Depth=1
	scratch_load_dwordx2 v[46:47], off, s14
	v_mov_b32_e32 v45, s15
	ds_read_b64 v[48:49], v45
	v_add_u32_e32 v44, -1, v44
	s_add_i32 s15, s15, 8
	s_add_i32 s14, s14, 8
	v_cmp_eq_u32_e32 vcc, 0, v44
	s_or_b64 s[0:1], vcc, s[0:1]
	s_waitcnt vmcnt(0) lgkmcnt(0)
	v_fmac_f64_e32 v[42:43], v[46:47], v[48:49]
	s_andn2_b64 exec, exec, s[0:1]
	s_cbranch_execnz .LBB18_83
; %bb.84:
	s_or_b64 exec, exec, s[0:1]
.LBB18_85:
	s_or_b64 exec, exec, s[8:9]
	v_mov_b32_e32 v44, 0
	ds_read_b64 v[44:45], v44 offset:72
	s_waitcnt lgkmcnt(0)
	v_mul_f64 v[42:43], v[42:43], v[44:45]
	scratch_store_dwordx2 off, v[42:43], off offset:72
.LBB18_86:
	s_or_b64 exec, exec, s[4:5]
	scratch_load_dwordx2 v[42:43], off, off offset:64
	v_cmp_lt_u32_e64 s[0:1], 8, v0
	s_waitcnt vmcnt(0)
	ds_write_b64 v1, v[42:43]
	s_waitcnt lgkmcnt(0)
	; wave barrier
	s_and_saveexec_b64 s[4:5], s[0:1]
	s_cbranch_execz .LBB18_96
; %bb.87:
	s_andn2_b64 vcc, exec, s[6:7]
	s_cbranch_vccnz .LBB18_89
; %bb.88:
	scratch_load_dwordx2 v[42:43], v21, off
	ds_read_b64 v[44:45], v1
	s_waitcnt vmcnt(0) lgkmcnt(0)
	v_mul_f64 v[42:43], v[42:43], v[44:45]
	s_cbranch_execz .LBB18_90
	s_branch .LBB18_91
.LBB18_89:
                                        ; implicit-def: $vgpr42_vgpr43
.LBB18_90:
	ds_read_b64 v[42:43], v1
.LBB18_91:
	s_and_saveexec_b64 s[8:9], s[2:3]
	s_cbranch_execz .LBB18_95
; %bb.92:
	s_movk_i32 s14, 0x48
	v_add_u32_e32 v44, -9, v0
	s_movk_i32 s15, 0xe8
	s_mov_b64 s[2:3], 0
.LBB18_93:                              ; =>This Inner Loop Header: Depth=1
	scratch_load_dwordx2 v[46:47], off, s14
	v_mov_b32_e32 v45, s15
	ds_read_b64 v[48:49], v45
	v_add_u32_e32 v44, -1, v44
	s_add_i32 s15, s15, 8
	s_add_i32 s14, s14, 8
	v_cmp_eq_u32_e32 vcc, 0, v44
	s_or_b64 s[2:3], vcc, s[2:3]
	s_waitcnt vmcnt(0) lgkmcnt(0)
	v_fmac_f64_e32 v[42:43], v[46:47], v[48:49]
	s_andn2_b64 exec, exec, s[2:3]
	s_cbranch_execnz .LBB18_93
; %bb.94:
	s_or_b64 exec, exec, s[2:3]
.LBB18_95:
	s_or_b64 exec, exec, s[8:9]
	v_mov_b32_e32 v44, 0
	ds_read_b64 v[44:45], v44 offset:64
	s_waitcnt lgkmcnt(0)
	v_mul_f64 v[42:43], v[42:43], v[44:45]
	scratch_store_dwordx2 off, v[42:43], off offset:64
.LBB18_96:
	s_or_b64 exec, exec, s[4:5]
	scratch_load_dwordx2 v[42:43], off, off offset:56
	v_cmp_lt_u32_e64 s[2:3], 7, v0
	s_waitcnt vmcnt(0)
	ds_write_b64 v1, v[42:43]
	s_waitcnt lgkmcnt(0)
	; wave barrier
	s_and_saveexec_b64 s[4:5], s[2:3]
	s_cbranch_execz .LBB18_106
; %bb.97:
	s_andn2_b64 vcc, exec, s[6:7]
	s_cbranch_vccnz .LBB18_99
; %bb.98:
	scratch_load_dwordx2 v[42:43], v21, off
	ds_read_b64 v[44:45], v1
	s_waitcnt vmcnt(0) lgkmcnt(0)
	v_mul_f64 v[42:43], v[42:43], v[44:45]
	s_cbranch_execz .LBB18_100
	s_branch .LBB18_101
.LBB18_99:
                                        ; implicit-def: $vgpr42_vgpr43
.LBB18_100:
	ds_read_b64 v[42:43], v1
.LBB18_101:
	s_and_saveexec_b64 s[8:9], s[0:1]
	s_cbranch_execz .LBB18_105
; %bb.102:
	v_add_u32_e32 v44, -8, v0
	s_movk_i32 s14, 0xe0
	s_mov_b64 s[0:1], 0
.LBB18_103:                             ; =>This Inner Loop Header: Depth=1
	scratch_load_dwordx2 v[46:47], off, s13
	v_mov_b32_e32 v45, s14
	ds_read_b64 v[48:49], v45
	v_add_u32_e32 v44, -1, v44
	s_add_i32 s14, s14, 8
	s_add_i32 s13, s13, 8
	v_cmp_eq_u32_e32 vcc, 0, v44
	s_or_b64 s[0:1], vcc, s[0:1]
	s_waitcnt vmcnt(0) lgkmcnt(0)
	v_fmac_f64_e32 v[42:43], v[46:47], v[48:49]
	s_andn2_b64 exec, exec, s[0:1]
	s_cbranch_execnz .LBB18_103
; %bb.104:
	s_or_b64 exec, exec, s[0:1]
.LBB18_105:
	s_or_b64 exec, exec, s[8:9]
	v_mov_b32_e32 v44, 0
	ds_read_b64 v[44:45], v44 offset:56
	s_waitcnt lgkmcnt(0)
	v_mul_f64 v[42:43], v[42:43], v[44:45]
	scratch_store_dwordx2 off, v[42:43], off offset:56
.LBB18_106:
	s_or_b64 exec, exec, s[4:5]
	scratch_load_dwordx2 v[42:43], off, off offset:48
	v_cmp_lt_u32_e64 s[0:1], 6, v0
	s_waitcnt vmcnt(0)
	ds_write_b64 v1, v[42:43]
	s_waitcnt lgkmcnt(0)
	; wave barrier
	s_and_saveexec_b64 s[4:5], s[0:1]
	s_cbranch_execz .LBB18_116
; %bb.107:
	s_andn2_b64 vcc, exec, s[6:7]
	s_cbranch_vccnz .LBB18_109
; %bb.108:
	scratch_load_dwordx2 v[42:43], v21, off
	ds_read_b64 v[44:45], v1
	s_waitcnt vmcnt(0) lgkmcnt(0)
	v_mul_f64 v[42:43], v[42:43], v[44:45]
	s_cbranch_execz .LBB18_110
	s_branch .LBB18_111
.LBB18_109:
                                        ; implicit-def: $vgpr42_vgpr43
.LBB18_110:
	ds_read_b64 v[42:43], v1
.LBB18_111:
	s_and_saveexec_b64 s[8:9], s[2:3]
	s_cbranch_execz .LBB18_115
; %bb.112:
	s_mov_b32 s13, 56
	v_add_u32_e32 v44, -7, v0
	s_movk_i32 s14, 0xd8
	s_mov_b64 s[2:3], 0
.LBB18_113:                             ; =>This Inner Loop Header: Depth=1
	scratch_load_dwordx2 v[46:47], off, s13
	v_mov_b32_e32 v45, s14
	ds_read_b64 v[48:49], v45
	v_add_u32_e32 v44, -1, v44
	s_add_i32 s14, s14, 8
	s_add_i32 s13, s13, 8
	v_cmp_eq_u32_e32 vcc, 0, v44
	s_or_b64 s[2:3], vcc, s[2:3]
	s_waitcnt vmcnt(0) lgkmcnt(0)
	v_fmac_f64_e32 v[42:43], v[46:47], v[48:49]
	s_andn2_b64 exec, exec, s[2:3]
	s_cbranch_execnz .LBB18_113
; %bb.114:
	s_or_b64 exec, exec, s[2:3]
.LBB18_115:
	s_or_b64 exec, exec, s[8:9]
	v_mov_b32_e32 v44, 0
	ds_read_b64 v[44:45], v44 offset:48
	s_waitcnt lgkmcnt(0)
	v_mul_f64 v[42:43], v[42:43], v[44:45]
	scratch_store_dwordx2 off, v[42:43], off offset:48
.LBB18_116:
	s_or_b64 exec, exec, s[4:5]
	scratch_load_dwordx2 v[42:43], off, off offset:40
	v_cmp_lt_u32_e64 s[2:3], 5, v0
	s_waitcnt vmcnt(0)
	ds_write_b64 v1, v[42:43]
	s_waitcnt lgkmcnt(0)
	; wave barrier
	s_and_saveexec_b64 s[4:5], s[2:3]
	s_cbranch_execz .LBB18_126
; %bb.117:
	s_andn2_b64 vcc, exec, s[6:7]
	s_cbranch_vccnz .LBB18_119
; %bb.118:
	scratch_load_dwordx2 v[42:43], v21, off
	ds_read_b64 v[44:45], v1
	s_waitcnt vmcnt(0) lgkmcnt(0)
	v_mul_f64 v[42:43], v[42:43], v[44:45]
	s_cbranch_execz .LBB18_120
	s_branch .LBB18_121
.LBB18_119:
                                        ; implicit-def: $vgpr42_vgpr43
.LBB18_120:
	ds_read_b64 v[42:43], v1
.LBB18_121:
	s_and_saveexec_b64 s[8:9], s[0:1]
	s_cbranch_execz .LBB18_125
; %bb.122:
	v_add_u32_e32 v44, -6, v0
	s_movk_i32 s13, 0xd0
	s_mov_b64 s[0:1], 0
.LBB18_123:                             ; =>This Inner Loop Header: Depth=1
	scratch_load_dwordx2 v[46:47], off, s12
	v_mov_b32_e32 v45, s13
	ds_read_b64 v[48:49], v45
	v_add_u32_e32 v44, -1, v44
	s_add_i32 s13, s13, 8
	s_add_i32 s12, s12, 8
	v_cmp_eq_u32_e32 vcc, 0, v44
	s_or_b64 s[0:1], vcc, s[0:1]
	s_waitcnt vmcnt(0) lgkmcnt(0)
	v_fmac_f64_e32 v[42:43], v[46:47], v[48:49]
	s_andn2_b64 exec, exec, s[0:1]
	s_cbranch_execnz .LBB18_123
; %bb.124:
	s_or_b64 exec, exec, s[0:1]
.LBB18_125:
	s_or_b64 exec, exec, s[8:9]
	v_mov_b32_e32 v44, 0
	ds_read_b64 v[44:45], v44 offset:40
	s_waitcnt lgkmcnt(0)
	v_mul_f64 v[42:43], v[42:43], v[44:45]
	scratch_store_dwordx2 off, v[42:43], off offset:40
.LBB18_126:
	s_or_b64 exec, exec, s[4:5]
	scratch_load_dwordx2 v[42:43], off, off offset:32
	v_cmp_lt_u32_e64 s[0:1], 4, v0
	s_waitcnt vmcnt(0)
	ds_write_b64 v1, v[42:43]
	s_waitcnt lgkmcnt(0)
	; wave barrier
	s_and_saveexec_b64 s[4:5], s[0:1]
	s_cbranch_execz .LBB18_136
; %bb.127:
	s_andn2_b64 vcc, exec, s[6:7]
	s_cbranch_vccnz .LBB18_129
; %bb.128:
	scratch_load_dwordx2 v[42:43], v21, off
	ds_read_b64 v[44:45], v1
	s_waitcnt vmcnt(0) lgkmcnt(0)
	v_mul_f64 v[42:43], v[42:43], v[44:45]
	s_cbranch_execz .LBB18_130
	s_branch .LBB18_131
.LBB18_129:
                                        ; implicit-def: $vgpr42_vgpr43
.LBB18_130:
	ds_read_b64 v[42:43], v1
.LBB18_131:
	s_and_saveexec_b64 s[8:9], s[2:3]
	s_cbranch_execz .LBB18_135
; %bb.132:
	s_mov_b32 s12, 40
	v_add_u32_e32 v44, -5, v0
	s_movk_i32 s13, 0xc8
	s_mov_b64 s[2:3], 0
.LBB18_133:                             ; =>This Inner Loop Header: Depth=1
	scratch_load_dwordx2 v[46:47], off, s12
	v_mov_b32_e32 v45, s13
	ds_read_b64 v[48:49], v45
	v_add_u32_e32 v44, -1, v44
	s_add_i32 s13, s13, 8
	s_add_i32 s12, s12, 8
	v_cmp_eq_u32_e32 vcc, 0, v44
	s_or_b64 s[2:3], vcc, s[2:3]
	s_waitcnt vmcnt(0) lgkmcnt(0)
	v_fmac_f64_e32 v[42:43], v[46:47], v[48:49]
	s_andn2_b64 exec, exec, s[2:3]
	s_cbranch_execnz .LBB18_133
; %bb.134:
	s_or_b64 exec, exec, s[2:3]
.LBB18_135:
	s_or_b64 exec, exec, s[8:9]
	v_mov_b32_e32 v44, 0
	ds_read_b64 v[44:45], v44 offset:32
	s_waitcnt lgkmcnt(0)
	v_mul_f64 v[42:43], v[42:43], v[44:45]
	scratch_store_dwordx2 off, v[42:43], off offset:32
.LBB18_136:
	s_or_b64 exec, exec, s[4:5]
	scratch_load_dwordx2 v[42:43], off, off offset:24
	v_cmp_lt_u32_e64 s[2:3], 3, v0
	s_waitcnt vmcnt(0)
	ds_write_b64 v1, v[42:43]
	s_waitcnt lgkmcnt(0)
	; wave barrier
	s_and_saveexec_b64 s[4:5], s[2:3]
	s_cbranch_execz .LBB18_146
; %bb.137:
	s_andn2_b64 vcc, exec, s[6:7]
	s_cbranch_vccnz .LBB18_139
; %bb.138:
	scratch_load_dwordx2 v[42:43], v21, off
	ds_read_b64 v[44:45], v1
	s_waitcnt vmcnt(0) lgkmcnt(0)
	v_mul_f64 v[42:43], v[42:43], v[44:45]
	s_cbranch_execz .LBB18_140
	s_branch .LBB18_141
.LBB18_139:
                                        ; implicit-def: $vgpr42_vgpr43
.LBB18_140:
	ds_read_b64 v[42:43], v1
.LBB18_141:
	s_and_saveexec_b64 s[8:9], s[0:1]
	s_cbranch_execz .LBB18_145
; %bb.142:
	v_add_u32_e32 v44, -4, v0
	s_movk_i32 s12, 0xc0
	s_mov_b64 s[0:1], 0
.LBB18_143:                             ; =>This Inner Loop Header: Depth=1
	scratch_load_dwordx2 v[46:47], off, s11
	v_mov_b32_e32 v45, s12
	ds_read_b64 v[48:49], v45
	v_add_u32_e32 v44, -1, v44
	s_add_i32 s12, s12, 8
	s_add_i32 s11, s11, 8
	v_cmp_eq_u32_e32 vcc, 0, v44
	s_or_b64 s[0:1], vcc, s[0:1]
	s_waitcnt vmcnt(0) lgkmcnt(0)
	v_fmac_f64_e32 v[42:43], v[46:47], v[48:49]
	s_andn2_b64 exec, exec, s[0:1]
	s_cbranch_execnz .LBB18_143
; %bb.144:
	s_or_b64 exec, exec, s[0:1]
.LBB18_145:
	s_or_b64 exec, exec, s[8:9]
	v_mov_b32_e32 v44, 0
	ds_read_b64 v[44:45], v44 offset:24
	s_waitcnt lgkmcnt(0)
	v_mul_f64 v[42:43], v[42:43], v[44:45]
	scratch_store_dwordx2 off, v[42:43], off offset:24
.LBB18_146:
	s_or_b64 exec, exec, s[4:5]
	scratch_load_dwordx2 v[42:43], off, off offset:16
	v_cmp_lt_u32_e64 s[0:1], 2, v0
	s_waitcnt vmcnt(0)
	ds_write_b64 v1, v[42:43]
	s_waitcnt lgkmcnt(0)
	; wave barrier
	s_and_saveexec_b64 s[4:5], s[0:1]
	s_cbranch_execz .LBB18_156
; %bb.147:
	s_andn2_b64 vcc, exec, s[6:7]
	s_cbranch_vccnz .LBB18_149
; %bb.148:
	scratch_load_dwordx2 v[42:43], v21, off
	ds_read_b64 v[44:45], v1
	s_waitcnt vmcnt(0) lgkmcnt(0)
	v_mul_f64 v[42:43], v[42:43], v[44:45]
	s_cbranch_execz .LBB18_150
	s_branch .LBB18_151
.LBB18_149:
                                        ; implicit-def: $vgpr42_vgpr43
.LBB18_150:
	ds_read_b64 v[42:43], v1
.LBB18_151:
	s_and_saveexec_b64 s[8:9], s[2:3]
	s_cbranch_execz .LBB18_155
; %bb.152:
	s_mov_b32 s11, 24
	v_add_u32_e32 v44, -3, v0
	s_movk_i32 s12, 0xb8
	s_mov_b64 s[2:3], 0
.LBB18_153:                             ; =>This Inner Loop Header: Depth=1
	scratch_load_dwordx2 v[46:47], off, s11
	v_mov_b32_e32 v45, s12
	ds_read_b64 v[48:49], v45
	v_add_u32_e32 v44, -1, v44
	s_add_i32 s12, s12, 8
	s_add_i32 s11, s11, 8
	v_cmp_eq_u32_e32 vcc, 0, v44
	s_or_b64 s[2:3], vcc, s[2:3]
	s_waitcnt vmcnt(0) lgkmcnt(0)
	v_fmac_f64_e32 v[42:43], v[46:47], v[48:49]
	s_andn2_b64 exec, exec, s[2:3]
	s_cbranch_execnz .LBB18_153
; %bb.154:
	s_or_b64 exec, exec, s[2:3]
.LBB18_155:
	s_or_b64 exec, exec, s[8:9]
	v_mov_b32_e32 v44, 0
	ds_read_b64 v[44:45], v44 offset:16
	s_waitcnt lgkmcnt(0)
	v_mul_f64 v[42:43], v[42:43], v[44:45]
	scratch_store_dwordx2 off, v[42:43], off offset:16
.LBB18_156:
	s_or_b64 exec, exec, s[4:5]
	scratch_load_dwordx2 v[42:43], off, off offset:8
	v_cmp_lt_u32_e64 s[2:3], 1, v0
	s_waitcnt vmcnt(0)
	ds_write_b64 v1, v[42:43]
	s_waitcnt lgkmcnt(0)
	; wave barrier
	s_and_saveexec_b64 s[4:5], s[2:3]
	s_cbranch_execz .LBB18_166
; %bb.157:
	s_andn2_b64 vcc, exec, s[6:7]
	s_cbranch_vccnz .LBB18_159
; %bb.158:
	scratch_load_dwordx2 v[42:43], v21, off
	ds_read_b64 v[44:45], v1
	s_waitcnt vmcnt(0) lgkmcnt(0)
	v_mul_f64 v[42:43], v[42:43], v[44:45]
	s_cbranch_execz .LBB18_160
	s_branch .LBB18_161
.LBB18_159:
                                        ; implicit-def: $vgpr42_vgpr43
.LBB18_160:
	ds_read_b64 v[42:43], v1
.LBB18_161:
	s_and_saveexec_b64 s[8:9], s[0:1]
	s_cbranch_execz .LBB18_165
; %bb.162:
	v_add_u32_e32 v44, -2, v0
	s_movk_i32 s11, 0xb0
	s_mov_b64 s[0:1], 0
.LBB18_163:                             ; =>This Inner Loop Header: Depth=1
	scratch_load_dwordx2 v[46:47], off, s10
	v_mov_b32_e32 v45, s11
	ds_read_b64 v[48:49], v45
	v_add_u32_e32 v44, -1, v44
	s_add_i32 s11, s11, 8
	s_add_i32 s10, s10, 8
	v_cmp_eq_u32_e32 vcc, 0, v44
	s_or_b64 s[0:1], vcc, s[0:1]
	s_waitcnt vmcnt(0) lgkmcnt(0)
	v_fmac_f64_e32 v[42:43], v[46:47], v[48:49]
	s_andn2_b64 exec, exec, s[0:1]
	s_cbranch_execnz .LBB18_163
; %bb.164:
	s_or_b64 exec, exec, s[0:1]
.LBB18_165:
	s_or_b64 exec, exec, s[8:9]
	v_mov_b32_e32 v44, 0
	ds_read_b64 v[44:45], v44 offset:8
	s_waitcnt lgkmcnt(0)
	v_mul_f64 v[42:43], v[42:43], v[44:45]
	scratch_store_dwordx2 off, v[42:43], off offset:8
.LBB18_166:
	s_or_b64 exec, exec, s[4:5]
	scratch_load_dwordx2 v[42:43], off, off
	v_cmp_ne_u32_e32 vcc, 0, v0
	s_waitcnt vmcnt(0)
	ds_write_b64 v1, v[42:43]
	s_waitcnt lgkmcnt(0)
	; wave barrier
	s_and_saveexec_b64 s[0:1], vcc
	s_cbranch_execz .LBB18_176
; %bb.167:
	s_andn2_b64 vcc, exec, s[6:7]
	s_cbranch_vccnz .LBB18_169
; %bb.168:
	scratch_load_dwordx2 v[42:43], v21, off
	ds_read_b64 v[44:45], v1
	s_waitcnt vmcnt(0) lgkmcnt(0)
	v_mul_f64 v[42:43], v[42:43], v[44:45]
	s_cbranch_execz .LBB18_170
	s_branch .LBB18_171
.LBB18_169:
                                        ; implicit-def: $vgpr42_vgpr43
.LBB18_170:
	ds_read_b64 v[42:43], v1
.LBB18_171:
	s_and_saveexec_b64 s[4:5], s[2:3]
	s_cbranch_execz .LBB18_175
; %bb.172:
	s_or_b32 s8, 0, 8
	v_add_u32_e32 v44, -1, v0
	s_movk_i32 s9, 0xa8
	s_mov_b64 s[2:3], 0
.LBB18_173:                             ; =>This Inner Loop Header: Depth=1
	scratch_load_dwordx2 v[46:47], off, s8
	v_mov_b32_e32 v45, s9
	ds_read_b64 v[48:49], v45
	v_add_u32_e32 v44, -1, v44
	s_add_i32 s9, s9, 8
	s_add_i32 s8, s8, 8
	v_cmp_eq_u32_e32 vcc, 0, v44
	s_or_b64 s[2:3], vcc, s[2:3]
	s_waitcnt vmcnt(0) lgkmcnt(0)
	v_fmac_f64_e32 v[42:43], v[46:47], v[48:49]
	s_andn2_b64 exec, exec, s[2:3]
	s_cbranch_execnz .LBB18_173
; %bb.174:
	s_or_b64 exec, exec, s[2:3]
.LBB18_175:
	s_or_b64 exec, exec, s[4:5]
	v_mov_b32_e32 v44, 0
	ds_read_b64 v[44:45], v44
	s_waitcnt lgkmcnt(0)
	v_mul_f64 v[42:43], v[42:43], v[44:45]
	scratch_store_dwordx2 off, v[42:43], off
.LBB18_176:
	s_or_b64 exec, exec, s[0:1]
	s_mov_b64 s[0:1], 0
.LBB18_177:
	s_and_b64 vcc, exec, s[0:1]
	s_cbranch_vccz .LBB18_349
; %bb.178:
	scratch_load_dwordx2 v[42:43], off, off offset:8
	v_cmp_eq_u32_e64 s[2:3], 0, v0
	s_waitcnt vmcnt(0)
	ds_write_b64 v1, v[42:43]
	s_waitcnt lgkmcnt(0)
	; wave barrier
	s_and_saveexec_b64 s[0:1], s[2:3]
	s_cbranch_execz .LBB18_184
; %bb.179:
	s_and_b64 vcc, exec, s[6:7]
	s_cbranch_vccz .LBB18_181
; %bb.180:
	scratch_load_dwordx2 v[42:43], v21, off
	ds_read_b64 v[44:45], v1
	s_waitcnt vmcnt(0) lgkmcnt(0)
	v_mul_f64 v[42:43], v[42:43], v[44:45]
	s_cbranch_execz .LBB18_182
	s_branch .LBB18_183
.LBB18_181:
                                        ; implicit-def: $vgpr42_vgpr43
.LBB18_182:
	ds_read_b64 v[42:43], v1
.LBB18_183:
	v_mov_b32_e32 v44, 0
	ds_read_b64 v[44:45], v44 offset:8
	s_waitcnt lgkmcnt(0)
	v_mul_f64 v[42:43], v[42:43], v[44:45]
	scratch_store_dwordx2 off, v[42:43], off offset:8
.LBB18_184:
	s_or_b64 exec, exec, s[0:1]
	scratch_load_dwordx2 v[42:43], off, off offset:16
	v_cndmask_b32_e64 v44, 0, 1, s[6:7]
	v_cmp_gt_u32_e32 vcc, 2, v0
	v_cmp_ne_u32_e64 s[0:1], 1, v44
	s_waitcnt vmcnt(0)
	ds_write_b64 v1, v[42:43]
	s_waitcnt lgkmcnt(0)
	; wave barrier
	s_and_saveexec_b64 s[4:5], vcc
	s_cbranch_execz .LBB18_190
; %bb.185:
	s_and_b64 vcc, exec, s[0:1]
	s_cbranch_vccnz .LBB18_187
; %bb.186:
	scratch_load_dwordx2 v[42:43], v21, off
	ds_read_b64 v[44:45], v1
	s_waitcnt vmcnt(0) lgkmcnt(0)
	v_mul_f64 v[42:43], v[42:43], v[44:45]
	s_cbranch_execz .LBB18_188
	s_branch .LBB18_189
.LBB18_187:
                                        ; implicit-def: $vgpr42_vgpr43
.LBB18_188:
	ds_read_b64 v[42:43], v1
.LBB18_189:
	scratch_load_dwordx2 v[48:49], off, off offset:8
	v_mov_b32_e32 v44, 0
	ds_read2_b64 v[44:47], v44 offset0:2 offset1:21
	s_waitcnt vmcnt(0) lgkmcnt(0)
	v_fma_f64 v[46:47], v[48:49], v[46:47], v[42:43]
	v_cndmask_b32_e64 v43, v43, v47, s[2:3]
	v_cndmask_b32_e64 v42, v42, v46, s[2:3]
	v_mul_f64 v[42:43], v[42:43], v[44:45]
	scratch_store_dwordx2 off, v[42:43], off offset:16
.LBB18_190:
	s_or_b64 exec, exec, s[4:5]
	scratch_load_dwordx2 v[42:43], off, off offset:24
	v_cmp_gt_u32_e32 vcc, 3, v0
	s_waitcnt vmcnt(0)
	ds_write_b64 v1, v[42:43]
	s_waitcnt lgkmcnt(0)
	; wave barrier
	s_and_saveexec_b64 s[4:5], vcc
	s_cbranch_execz .LBB18_198
; %bb.191:
	s_and_b64 vcc, exec, s[0:1]
	s_cbranch_vccnz .LBB18_193
; %bb.192:
	scratch_load_dwordx2 v[42:43], v21, off
	ds_read_b64 v[44:45], v1
	s_waitcnt vmcnt(0) lgkmcnt(0)
	v_mul_f64 v[42:43], v[42:43], v[44:45]
	s_cbranch_execz .LBB18_194
	s_branch .LBB18_195
.LBB18_193:
                                        ; implicit-def: $vgpr42_vgpr43
.LBB18_194:
	ds_read_b64 v[42:43], v1
.LBB18_195:
	v_cmp_ne_u32_e32 vcc, 2, v0
	s_and_saveexec_b64 s[6:7], vcc
	s_cbranch_execz .LBB18_197
; %bb.196:
	scratch_load_dwordx2 v[44:45], v21, off offset:8
	scratch_load_dwordx2 v[46:47], off, off offset:16
	ds_read_b64 v[48:49], v1 offset:8
	v_mov_b32_e32 v50, 0
	ds_read_b64 v[50:51], v50 offset:176
	s_waitcnt vmcnt(1) lgkmcnt(1)
	v_fmac_f64_e32 v[42:43], v[44:45], v[48:49]
	s_waitcnt vmcnt(0) lgkmcnt(0)
	v_fma_f64 v[44:45], v[46:47], v[50:51], v[42:43]
	v_cndmask_b32_e64 v43, v43, v45, s[2:3]
	v_cndmask_b32_e64 v42, v42, v44, s[2:3]
.LBB18_197:
	s_or_b64 exec, exec, s[6:7]
	v_mov_b32_e32 v44, 0
	ds_read_b64 v[44:45], v44 offset:24
	s_waitcnt lgkmcnt(0)
	v_mul_f64 v[42:43], v[42:43], v[44:45]
	scratch_store_dwordx2 off, v[42:43], off offset:24
.LBB18_198:
	s_or_b64 exec, exec, s[4:5]
	scratch_load_dwordx2 v[42:43], off, off offset:32
	v_cmp_gt_u32_e32 vcc, 4, v0
	s_waitcnt vmcnt(0)
	ds_write_b64 v1, v[42:43]
	s_waitcnt lgkmcnt(0)
	; wave barrier
	s_and_saveexec_b64 s[2:3], vcc
	s_cbranch_execz .LBB18_208
; %bb.199:
	s_and_b64 vcc, exec, s[0:1]
	s_cbranch_vccnz .LBB18_201
; %bb.200:
	scratch_load_dwordx2 v[42:43], v21, off
	ds_read_b64 v[44:45], v1
	s_waitcnt vmcnt(0) lgkmcnt(0)
	v_mul_f64 v[42:43], v[42:43], v[44:45]
	s_cbranch_execz .LBB18_202
	s_branch .LBB18_203
.LBB18_201:
                                        ; implicit-def: $vgpr42_vgpr43
.LBB18_202:
	ds_read_b64 v[42:43], v1
.LBB18_203:
	v_cmp_ne_u32_e32 vcc, 3, v0
	s_and_saveexec_b64 s[4:5], vcc
	s_cbranch_execz .LBB18_207
; %bb.204:
	s_mov_b32 s6, 0
	v_add_u32_e32 v44, 0xa8, v20
	v_add3_u32 v45, v20, s6, 8
	s_mov_b64 s[6:7], 0
	v_mov_b32_e32 v46, v0
.LBB18_205:                             ; =>This Inner Loop Header: Depth=1
	scratch_load_dwordx2 v[48:49], v45, off
	ds_read_b64 v[50:51], v44
	v_add_u32_e32 v46, 1, v46
	v_cmp_lt_u32_e32 vcc, 2, v46
	v_add_u32_e32 v44, 8, v44
	v_add_u32_e32 v45, 8, v45
	s_or_b64 s[6:7], vcc, s[6:7]
	s_waitcnt vmcnt(0) lgkmcnt(0)
	v_fmac_f64_e32 v[42:43], v[48:49], v[50:51]
	s_andn2_b64 exec, exec, s[6:7]
	s_cbranch_execnz .LBB18_205
; %bb.206:
	s_or_b64 exec, exec, s[6:7]
.LBB18_207:
	s_or_b64 exec, exec, s[4:5]
	v_mov_b32_e32 v44, 0
	ds_read_b64 v[44:45], v44 offset:32
	s_waitcnt lgkmcnt(0)
	v_mul_f64 v[42:43], v[42:43], v[44:45]
	scratch_store_dwordx2 off, v[42:43], off offset:32
.LBB18_208:
	s_or_b64 exec, exec, s[2:3]
	scratch_load_dwordx2 v[42:43], off, off offset:40
	v_cmp_gt_u32_e32 vcc, 5, v0
	s_waitcnt vmcnt(0)
	ds_write_b64 v1, v[42:43]
	s_waitcnt lgkmcnt(0)
	; wave barrier
	s_and_saveexec_b64 s[2:3], vcc
	s_cbranch_execz .LBB18_218
; %bb.209:
	s_and_b64 vcc, exec, s[0:1]
	s_cbranch_vccnz .LBB18_211
; %bb.210:
	scratch_load_dwordx2 v[42:43], v21, off
	ds_read_b64 v[44:45], v1
	s_waitcnt vmcnt(0) lgkmcnt(0)
	v_mul_f64 v[42:43], v[42:43], v[44:45]
	s_cbranch_execz .LBB18_212
	s_branch .LBB18_213
.LBB18_211:
                                        ; implicit-def: $vgpr42_vgpr43
.LBB18_212:
	ds_read_b64 v[42:43], v1
.LBB18_213:
	v_cmp_ne_u32_e32 vcc, 4, v0
	s_and_saveexec_b64 s[4:5], vcc
	s_cbranch_execz .LBB18_217
; %bb.214:
	s_mov_b32 s6, 0
	v_add_u32_e32 v44, 0xa8, v20
	v_add3_u32 v45, v20, s6, 8
	s_mov_b64 s[6:7], 0
	v_mov_b32_e32 v46, v0
.LBB18_215:                             ; =>This Inner Loop Header: Depth=1
	scratch_load_dwordx2 v[48:49], v45, off
	ds_read_b64 v[50:51], v44
	v_add_u32_e32 v46, 1, v46
	v_cmp_lt_u32_e32 vcc, 3, v46
	v_add_u32_e32 v44, 8, v44
	v_add_u32_e32 v45, 8, v45
	s_or_b64 s[6:7], vcc, s[6:7]
	s_waitcnt vmcnt(0) lgkmcnt(0)
	v_fmac_f64_e32 v[42:43], v[48:49], v[50:51]
	s_andn2_b64 exec, exec, s[6:7]
	s_cbranch_execnz .LBB18_215
; %bb.216:
	s_or_b64 exec, exec, s[6:7]
.LBB18_217:
	s_or_b64 exec, exec, s[4:5]
	v_mov_b32_e32 v44, 0
	ds_read_b64 v[44:45], v44 offset:40
	s_waitcnt lgkmcnt(0)
	v_mul_f64 v[42:43], v[42:43], v[44:45]
	scratch_store_dwordx2 off, v[42:43], off offset:40
.LBB18_218:
	s_or_b64 exec, exec, s[2:3]
	scratch_load_dwordx2 v[42:43], off, off offset:48
	v_cmp_gt_u32_e32 vcc, 6, v0
	s_waitcnt vmcnt(0)
	ds_write_b64 v1, v[42:43]
	s_waitcnt lgkmcnt(0)
	; wave barrier
	s_and_saveexec_b64 s[2:3], vcc
	s_cbranch_execz .LBB18_228
; %bb.219:
	s_and_b64 vcc, exec, s[0:1]
	s_cbranch_vccnz .LBB18_221
; %bb.220:
	scratch_load_dwordx2 v[42:43], v21, off
	ds_read_b64 v[44:45], v1
	s_waitcnt vmcnt(0) lgkmcnt(0)
	v_mul_f64 v[42:43], v[42:43], v[44:45]
	s_cbranch_execz .LBB18_222
	s_branch .LBB18_223
.LBB18_221:
                                        ; implicit-def: $vgpr42_vgpr43
.LBB18_222:
	ds_read_b64 v[42:43], v1
.LBB18_223:
	v_cmp_ne_u32_e32 vcc, 5, v0
	s_and_saveexec_b64 s[4:5], vcc
	s_cbranch_execz .LBB18_227
; %bb.224:
	s_mov_b32 s6, 0
	v_add_u32_e32 v44, 0xa8, v20
	v_add3_u32 v45, v20, s6, 8
	s_mov_b64 s[6:7], 0
	v_mov_b32_e32 v46, v0
.LBB18_225:                             ; =>This Inner Loop Header: Depth=1
	scratch_load_dwordx2 v[48:49], v45, off
	ds_read_b64 v[50:51], v44
	v_add_u32_e32 v46, 1, v46
	v_cmp_lt_u32_e32 vcc, 4, v46
	v_add_u32_e32 v44, 8, v44
	v_add_u32_e32 v45, 8, v45
	s_or_b64 s[6:7], vcc, s[6:7]
	s_waitcnt vmcnt(0) lgkmcnt(0)
	v_fmac_f64_e32 v[42:43], v[48:49], v[50:51]
	s_andn2_b64 exec, exec, s[6:7]
	s_cbranch_execnz .LBB18_225
; %bb.226:
	s_or_b64 exec, exec, s[6:7]
.LBB18_227:
	s_or_b64 exec, exec, s[4:5]
	v_mov_b32_e32 v44, 0
	ds_read_b64 v[44:45], v44 offset:48
	s_waitcnt lgkmcnt(0)
	v_mul_f64 v[42:43], v[42:43], v[44:45]
	scratch_store_dwordx2 off, v[42:43], off offset:48
.LBB18_228:
	s_or_b64 exec, exec, s[2:3]
	scratch_load_dwordx2 v[42:43], off, off offset:56
	v_cmp_gt_u32_e32 vcc, 7, v0
	s_waitcnt vmcnt(0)
	ds_write_b64 v1, v[42:43]
	s_waitcnt lgkmcnt(0)
	; wave barrier
	s_and_saveexec_b64 s[2:3], vcc
	s_cbranch_execz .LBB18_238
; %bb.229:
	s_and_b64 vcc, exec, s[0:1]
	s_cbranch_vccnz .LBB18_231
; %bb.230:
	scratch_load_dwordx2 v[42:43], v21, off
	ds_read_b64 v[44:45], v1
	s_waitcnt vmcnt(0) lgkmcnt(0)
	v_mul_f64 v[42:43], v[42:43], v[44:45]
	s_cbranch_execz .LBB18_232
	s_branch .LBB18_233
.LBB18_231:
                                        ; implicit-def: $vgpr42_vgpr43
.LBB18_232:
	ds_read_b64 v[42:43], v1
.LBB18_233:
	v_cmp_ne_u32_e32 vcc, 6, v0
	s_and_saveexec_b64 s[4:5], vcc
	s_cbranch_execz .LBB18_237
; %bb.234:
	s_mov_b32 s6, 0
	v_add_u32_e32 v44, 0xa8, v20
	v_add3_u32 v45, v20, s6, 8
	s_mov_b64 s[6:7], 0
	v_mov_b32_e32 v46, v0
.LBB18_235:                             ; =>This Inner Loop Header: Depth=1
	scratch_load_dwordx2 v[48:49], v45, off
	ds_read_b64 v[50:51], v44
	v_add_u32_e32 v46, 1, v46
	v_cmp_lt_u32_e32 vcc, 5, v46
	v_add_u32_e32 v44, 8, v44
	v_add_u32_e32 v45, 8, v45
	s_or_b64 s[6:7], vcc, s[6:7]
	s_waitcnt vmcnt(0) lgkmcnt(0)
	v_fmac_f64_e32 v[42:43], v[48:49], v[50:51]
	s_andn2_b64 exec, exec, s[6:7]
	s_cbranch_execnz .LBB18_235
; %bb.236:
	s_or_b64 exec, exec, s[6:7]
.LBB18_237:
	s_or_b64 exec, exec, s[4:5]
	v_mov_b32_e32 v44, 0
	ds_read_b64 v[44:45], v44 offset:56
	s_waitcnt lgkmcnt(0)
	v_mul_f64 v[42:43], v[42:43], v[44:45]
	scratch_store_dwordx2 off, v[42:43], off offset:56
.LBB18_238:
	s_or_b64 exec, exec, s[2:3]
	scratch_load_dwordx2 v[42:43], off, off offset:64
	v_cmp_gt_u32_e32 vcc, 8, v0
	s_waitcnt vmcnt(0)
	ds_write_b64 v1, v[42:43]
	s_waitcnt lgkmcnt(0)
	; wave barrier
	s_and_saveexec_b64 s[2:3], vcc
	s_cbranch_execz .LBB18_248
; %bb.239:
	s_and_b64 vcc, exec, s[0:1]
	s_cbranch_vccnz .LBB18_241
; %bb.240:
	scratch_load_dwordx2 v[42:43], v21, off
	ds_read_b64 v[44:45], v1
	s_waitcnt vmcnt(0) lgkmcnt(0)
	v_mul_f64 v[42:43], v[42:43], v[44:45]
	s_cbranch_execz .LBB18_242
	s_branch .LBB18_243
.LBB18_241:
                                        ; implicit-def: $vgpr42_vgpr43
.LBB18_242:
	ds_read_b64 v[42:43], v1
.LBB18_243:
	v_cmp_ne_u32_e32 vcc, 7, v0
	s_and_saveexec_b64 s[4:5], vcc
	s_cbranch_execz .LBB18_247
; %bb.244:
	s_mov_b32 s6, 0
	v_add_u32_e32 v44, 0xa8, v20
	v_add3_u32 v45, v20, s6, 8
	s_mov_b64 s[6:7], 0
	v_mov_b32_e32 v46, v0
.LBB18_245:                             ; =>This Inner Loop Header: Depth=1
	scratch_load_dwordx2 v[48:49], v45, off
	ds_read_b64 v[50:51], v44
	v_add_u32_e32 v46, 1, v46
	v_cmp_lt_u32_e32 vcc, 6, v46
	v_add_u32_e32 v44, 8, v44
	v_add_u32_e32 v45, 8, v45
	s_or_b64 s[6:7], vcc, s[6:7]
	s_waitcnt vmcnt(0) lgkmcnt(0)
	v_fmac_f64_e32 v[42:43], v[48:49], v[50:51]
	s_andn2_b64 exec, exec, s[6:7]
	s_cbranch_execnz .LBB18_245
; %bb.246:
	s_or_b64 exec, exec, s[6:7]
.LBB18_247:
	s_or_b64 exec, exec, s[4:5]
	v_mov_b32_e32 v44, 0
	ds_read_b64 v[44:45], v44 offset:64
	s_waitcnt lgkmcnt(0)
	v_mul_f64 v[42:43], v[42:43], v[44:45]
	scratch_store_dwordx2 off, v[42:43], off offset:64
.LBB18_248:
	s_or_b64 exec, exec, s[2:3]
	scratch_load_dwordx2 v[42:43], off, off offset:72
	v_cmp_gt_u32_e32 vcc, 9, v0
	s_waitcnt vmcnt(0)
	ds_write_b64 v1, v[42:43]
	s_waitcnt lgkmcnt(0)
	; wave barrier
	s_and_saveexec_b64 s[2:3], vcc
	s_cbranch_execz .LBB18_258
; %bb.249:
	s_and_b64 vcc, exec, s[0:1]
	s_cbranch_vccnz .LBB18_251
; %bb.250:
	scratch_load_dwordx2 v[42:43], v21, off
	ds_read_b64 v[44:45], v1
	s_waitcnt vmcnt(0) lgkmcnt(0)
	v_mul_f64 v[42:43], v[42:43], v[44:45]
	s_cbranch_execz .LBB18_252
	s_branch .LBB18_253
.LBB18_251:
                                        ; implicit-def: $vgpr42_vgpr43
.LBB18_252:
	ds_read_b64 v[42:43], v1
.LBB18_253:
	v_cmp_ne_u32_e32 vcc, 8, v0
	s_and_saveexec_b64 s[4:5], vcc
	s_cbranch_execz .LBB18_257
; %bb.254:
	s_mov_b32 s6, 0
	v_add_u32_e32 v44, 0xa8, v20
	v_add3_u32 v45, v20, s6, 8
	s_mov_b64 s[6:7], 0
	v_mov_b32_e32 v46, v0
.LBB18_255:                             ; =>This Inner Loop Header: Depth=1
	scratch_load_dwordx2 v[48:49], v45, off
	ds_read_b64 v[50:51], v44
	v_add_u32_e32 v46, 1, v46
	v_cmp_lt_u32_e32 vcc, 7, v46
	v_add_u32_e32 v44, 8, v44
	v_add_u32_e32 v45, 8, v45
	s_or_b64 s[6:7], vcc, s[6:7]
	s_waitcnt vmcnt(0) lgkmcnt(0)
	v_fmac_f64_e32 v[42:43], v[48:49], v[50:51]
	s_andn2_b64 exec, exec, s[6:7]
	s_cbranch_execnz .LBB18_255
; %bb.256:
	s_or_b64 exec, exec, s[6:7]
.LBB18_257:
	s_or_b64 exec, exec, s[4:5]
	v_mov_b32_e32 v44, 0
	ds_read_b64 v[44:45], v44 offset:72
	s_waitcnt lgkmcnt(0)
	v_mul_f64 v[42:43], v[42:43], v[44:45]
	scratch_store_dwordx2 off, v[42:43], off offset:72
.LBB18_258:
	s_or_b64 exec, exec, s[2:3]
	scratch_load_dwordx2 v[42:43], off, off offset:80
	v_cmp_gt_u32_e32 vcc, 10, v0
	s_waitcnt vmcnt(0)
	ds_write_b64 v1, v[42:43]
	s_waitcnt lgkmcnt(0)
	; wave barrier
	s_and_saveexec_b64 s[2:3], vcc
	s_cbranch_execz .LBB18_268
; %bb.259:
	s_and_b64 vcc, exec, s[0:1]
	s_cbranch_vccnz .LBB18_261
; %bb.260:
	scratch_load_dwordx2 v[42:43], v21, off
	ds_read_b64 v[44:45], v1
	s_waitcnt vmcnt(0) lgkmcnt(0)
	v_mul_f64 v[42:43], v[42:43], v[44:45]
	s_cbranch_execz .LBB18_262
	s_branch .LBB18_263
.LBB18_261:
                                        ; implicit-def: $vgpr42_vgpr43
.LBB18_262:
	ds_read_b64 v[42:43], v1
.LBB18_263:
	v_cmp_ne_u32_e32 vcc, 9, v0
	s_and_saveexec_b64 s[4:5], vcc
	s_cbranch_execz .LBB18_267
; %bb.264:
	s_mov_b32 s6, 0
	v_add_u32_e32 v44, 0xa8, v20
	v_add3_u32 v45, v20, s6, 8
	s_mov_b64 s[6:7], 0
	v_mov_b32_e32 v46, v0
.LBB18_265:                             ; =>This Inner Loop Header: Depth=1
	scratch_load_dwordx2 v[48:49], v45, off
	ds_read_b64 v[50:51], v44
	v_add_u32_e32 v46, 1, v46
	v_cmp_lt_u32_e32 vcc, 8, v46
	v_add_u32_e32 v44, 8, v44
	v_add_u32_e32 v45, 8, v45
	s_or_b64 s[6:7], vcc, s[6:7]
	s_waitcnt vmcnt(0) lgkmcnt(0)
	v_fmac_f64_e32 v[42:43], v[48:49], v[50:51]
	s_andn2_b64 exec, exec, s[6:7]
	s_cbranch_execnz .LBB18_265
; %bb.266:
	s_or_b64 exec, exec, s[6:7]
.LBB18_267:
	s_or_b64 exec, exec, s[4:5]
	v_mov_b32_e32 v44, 0
	ds_read_b64 v[44:45], v44 offset:80
	s_waitcnt lgkmcnt(0)
	v_mul_f64 v[42:43], v[42:43], v[44:45]
	scratch_store_dwordx2 off, v[42:43], off offset:80
.LBB18_268:
	s_or_b64 exec, exec, s[2:3]
	scratch_load_dwordx2 v[42:43], off, off offset:88
	v_cmp_gt_u32_e32 vcc, 11, v0
	s_waitcnt vmcnt(0)
	ds_write_b64 v1, v[42:43]
	s_waitcnt lgkmcnt(0)
	; wave barrier
	s_and_saveexec_b64 s[2:3], vcc
	s_cbranch_execz .LBB18_278
; %bb.269:
	s_and_b64 vcc, exec, s[0:1]
	s_cbranch_vccnz .LBB18_271
; %bb.270:
	scratch_load_dwordx2 v[42:43], v21, off
	ds_read_b64 v[44:45], v1
	s_waitcnt vmcnt(0) lgkmcnt(0)
	v_mul_f64 v[42:43], v[42:43], v[44:45]
	s_cbranch_execz .LBB18_272
	s_branch .LBB18_273
.LBB18_271:
                                        ; implicit-def: $vgpr42_vgpr43
.LBB18_272:
	ds_read_b64 v[42:43], v1
.LBB18_273:
	v_cmp_ne_u32_e32 vcc, 10, v0
	s_and_saveexec_b64 s[4:5], vcc
	s_cbranch_execz .LBB18_277
; %bb.274:
	s_mov_b32 s6, 0
	v_add_u32_e32 v44, 0xa8, v20
	v_add3_u32 v45, v20, s6, 8
	s_mov_b64 s[6:7], 0
	v_mov_b32_e32 v46, v0
.LBB18_275:                             ; =>This Inner Loop Header: Depth=1
	scratch_load_dwordx2 v[48:49], v45, off
	ds_read_b64 v[50:51], v44
	v_add_u32_e32 v46, 1, v46
	v_cmp_lt_u32_e32 vcc, 9, v46
	v_add_u32_e32 v44, 8, v44
	v_add_u32_e32 v45, 8, v45
	s_or_b64 s[6:7], vcc, s[6:7]
	s_waitcnt vmcnt(0) lgkmcnt(0)
	v_fmac_f64_e32 v[42:43], v[48:49], v[50:51]
	s_andn2_b64 exec, exec, s[6:7]
	s_cbranch_execnz .LBB18_275
; %bb.276:
	s_or_b64 exec, exec, s[6:7]
.LBB18_277:
	s_or_b64 exec, exec, s[4:5]
	v_mov_b32_e32 v44, 0
	ds_read_b64 v[44:45], v44 offset:88
	s_waitcnt lgkmcnt(0)
	v_mul_f64 v[42:43], v[42:43], v[44:45]
	scratch_store_dwordx2 off, v[42:43], off offset:88
.LBB18_278:
	s_or_b64 exec, exec, s[2:3]
	scratch_load_dwordx2 v[42:43], off, off offset:96
	v_cmp_gt_u32_e32 vcc, 12, v0
	s_waitcnt vmcnt(0)
	ds_write_b64 v1, v[42:43]
	s_waitcnt lgkmcnt(0)
	; wave barrier
	s_and_saveexec_b64 s[2:3], vcc
	s_cbranch_execz .LBB18_288
; %bb.279:
	s_and_b64 vcc, exec, s[0:1]
	s_cbranch_vccnz .LBB18_281
; %bb.280:
	scratch_load_dwordx2 v[42:43], v21, off
	ds_read_b64 v[44:45], v1
	s_waitcnt vmcnt(0) lgkmcnt(0)
	v_mul_f64 v[42:43], v[42:43], v[44:45]
	s_cbranch_execz .LBB18_282
	s_branch .LBB18_283
.LBB18_281:
                                        ; implicit-def: $vgpr42_vgpr43
.LBB18_282:
	ds_read_b64 v[42:43], v1
.LBB18_283:
	v_cmp_ne_u32_e32 vcc, 11, v0
	s_and_saveexec_b64 s[4:5], vcc
	s_cbranch_execz .LBB18_287
; %bb.284:
	s_mov_b32 s6, 0
	v_add_u32_e32 v44, 0xa8, v20
	v_add3_u32 v45, v20, s6, 8
	s_mov_b64 s[6:7], 0
	v_mov_b32_e32 v46, v0
.LBB18_285:                             ; =>This Inner Loop Header: Depth=1
	scratch_load_dwordx2 v[48:49], v45, off
	ds_read_b64 v[50:51], v44
	v_add_u32_e32 v46, 1, v46
	v_cmp_lt_u32_e32 vcc, 10, v46
	v_add_u32_e32 v44, 8, v44
	v_add_u32_e32 v45, 8, v45
	s_or_b64 s[6:7], vcc, s[6:7]
	s_waitcnt vmcnt(0) lgkmcnt(0)
	v_fmac_f64_e32 v[42:43], v[48:49], v[50:51]
	s_andn2_b64 exec, exec, s[6:7]
	s_cbranch_execnz .LBB18_285
; %bb.286:
	s_or_b64 exec, exec, s[6:7]
.LBB18_287:
	s_or_b64 exec, exec, s[4:5]
	v_mov_b32_e32 v44, 0
	ds_read_b64 v[44:45], v44 offset:96
	s_waitcnt lgkmcnt(0)
	v_mul_f64 v[42:43], v[42:43], v[44:45]
	scratch_store_dwordx2 off, v[42:43], off offset:96
.LBB18_288:
	s_or_b64 exec, exec, s[2:3]
	scratch_load_dwordx2 v[42:43], off, off offset:104
	v_cmp_gt_u32_e32 vcc, 13, v0
	s_waitcnt vmcnt(0)
	ds_write_b64 v1, v[42:43]
	s_waitcnt lgkmcnt(0)
	; wave barrier
	s_and_saveexec_b64 s[2:3], vcc
	s_cbranch_execz .LBB18_298
; %bb.289:
	s_and_b64 vcc, exec, s[0:1]
	s_cbranch_vccnz .LBB18_291
; %bb.290:
	scratch_load_dwordx2 v[42:43], v21, off
	ds_read_b64 v[44:45], v1
	s_waitcnt vmcnt(0) lgkmcnt(0)
	v_mul_f64 v[42:43], v[42:43], v[44:45]
	s_cbranch_execz .LBB18_292
	s_branch .LBB18_293
.LBB18_291:
                                        ; implicit-def: $vgpr42_vgpr43
.LBB18_292:
	ds_read_b64 v[42:43], v1
.LBB18_293:
	v_cmp_ne_u32_e32 vcc, 12, v0
	s_and_saveexec_b64 s[4:5], vcc
	s_cbranch_execz .LBB18_297
; %bb.294:
	s_mov_b32 s6, 0
	v_add_u32_e32 v44, 0xa8, v20
	v_add3_u32 v45, v20, s6, 8
	s_mov_b64 s[6:7], 0
	v_mov_b32_e32 v46, v0
.LBB18_295:                             ; =>This Inner Loop Header: Depth=1
	scratch_load_dwordx2 v[48:49], v45, off
	ds_read_b64 v[50:51], v44
	v_add_u32_e32 v46, 1, v46
	v_cmp_lt_u32_e32 vcc, 11, v46
	v_add_u32_e32 v44, 8, v44
	v_add_u32_e32 v45, 8, v45
	s_or_b64 s[6:7], vcc, s[6:7]
	s_waitcnt vmcnt(0) lgkmcnt(0)
	v_fmac_f64_e32 v[42:43], v[48:49], v[50:51]
	s_andn2_b64 exec, exec, s[6:7]
	s_cbranch_execnz .LBB18_295
; %bb.296:
	s_or_b64 exec, exec, s[6:7]
.LBB18_297:
	s_or_b64 exec, exec, s[4:5]
	v_mov_b32_e32 v44, 0
	ds_read_b64 v[44:45], v44 offset:104
	s_waitcnt lgkmcnt(0)
	v_mul_f64 v[42:43], v[42:43], v[44:45]
	scratch_store_dwordx2 off, v[42:43], off offset:104
.LBB18_298:
	s_or_b64 exec, exec, s[2:3]
	scratch_load_dwordx2 v[42:43], off, off offset:112
	v_cmp_gt_u32_e32 vcc, 14, v0
	s_waitcnt vmcnt(0)
	ds_write_b64 v1, v[42:43]
	s_waitcnt lgkmcnt(0)
	; wave barrier
	s_and_saveexec_b64 s[2:3], vcc
	s_cbranch_execz .LBB18_308
; %bb.299:
	s_and_b64 vcc, exec, s[0:1]
	s_cbranch_vccnz .LBB18_301
; %bb.300:
	scratch_load_dwordx2 v[42:43], v21, off
	ds_read_b64 v[44:45], v1
	s_waitcnt vmcnt(0) lgkmcnt(0)
	v_mul_f64 v[42:43], v[42:43], v[44:45]
	s_cbranch_execz .LBB18_302
	s_branch .LBB18_303
.LBB18_301:
                                        ; implicit-def: $vgpr42_vgpr43
.LBB18_302:
	ds_read_b64 v[42:43], v1
.LBB18_303:
	v_cmp_ne_u32_e32 vcc, 13, v0
	s_and_saveexec_b64 s[4:5], vcc
	s_cbranch_execz .LBB18_307
; %bb.304:
	s_mov_b32 s6, 0
	v_add_u32_e32 v44, 0xa8, v20
	v_add3_u32 v45, v20, s6, 8
	s_mov_b64 s[6:7], 0
	v_mov_b32_e32 v46, v0
.LBB18_305:                             ; =>This Inner Loop Header: Depth=1
	scratch_load_dwordx2 v[48:49], v45, off
	ds_read_b64 v[50:51], v44
	v_add_u32_e32 v46, 1, v46
	v_cmp_lt_u32_e32 vcc, 12, v46
	v_add_u32_e32 v44, 8, v44
	v_add_u32_e32 v45, 8, v45
	s_or_b64 s[6:7], vcc, s[6:7]
	s_waitcnt vmcnt(0) lgkmcnt(0)
	v_fmac_f64_e32 v[42:43], v[48:49], v[50:51]
	s_andn2_b64 exec, exec, s[6:7]
	s_cbranch_execnz .LBB18_305
; %bb.306:
	s_or_b64 exec, exec, s[6:7]
.LBB18_307:
	s_or_b64 exec, exec, s[4:5]
	v_mov_b32_e32 v44, 0
	ds_read_b64 v[44:45], v44 offset:112
	s_waitcnt lgkmcnt(0)
	v_mul_f64 v[42:43], v[42:43], v[44:45]
	scratch_store_dwordx2 off, v[42:43], off offset:112
.LBB18_308:
	s_or_b64 exec, exec, s[2:3]
	scratch_load_dwordx2 v[42:43], off, off offset:120
	v_cmp_gt_u32_e32 vcc, 15, v0
	s_waitcnt vmcnt(0)
	ds_write_b64 v1, v[42:43]
	s_waitcnt lgkmcnt(0)
	; wave barrier
	s_and_saveexec_b64 s[2:3], vcc
	s_cbranch_execz .LBB18_318
; %bb.309:
	s_and_b64 vcc, exec, s[0:1]
	s_cbranch_vccnz .LBB18_311
; %bb.310:
	scratch_load_dwordx2 v[42:43], v21, off
	ds_read_b64 v[44:45], v1
	s_waitcnt vmcnt(0) lgkmcnt(0)
	v_mul_f64 v[42:43], v[42:43], v[44:45]
	s_cbranch_execz .LBB18_312
	s_branch .LBB18_313
.LBB18_311:
                                        ; implicit-def: $vgpr42_vgpr43
.LBB18_312:
	ds_read_b64 v[42:43], v1
.LBB18_313:
	v_cmp_ne_u32_e32 vcc, 14, v0
	s_and_saveexec_b64 s[4:5], vcc
	s_cbranch_execz .LBB18_317
; %bb.314:
	s_mov_b32 s6, 0
	v_add_u32_e32 v44, 0xa8, v20
	v_add3_u32 v45, v20, s6, 8
	s_mov_b64 s[6:7], 0
	v_mov_b32_e32 v46, v0
.LBB18_315:                             ; =>This Inner Loop Header: Depth=1
	scratch_load_dwordx2 v[48:49], v45, off
	ds_read_b64 v[50:51], v44
	v_add_u32_e32 v46, 1, v46
	v_cmp_lt_u32_e32 vcc, 13, v46
	v_add_u32_e32 v44, 8, v44
	v_add_u32_e32 v45, 8, v45
	s_or_b64 s[6:7], vcc, s[6:7]
	s_waitcnt vmcnt(0) lgkmcnt(0)
	v_fmac_f64_e32 v[42:43], v[48:49], v[50:51]
	s_andn2_b64 exec, exec, s[6:7]
	s_cbranch_execnz .LBB18_315
; %bb.316:
	s_or_b64 exec, exec, s[6:7]
.LBB18_317:
	s_or_b64 exec, exec, s[4:5]
	v_mov_b32_e32 v44, 0
	ds_read_b64 v[44:45], v44 offset:120
	s_waitcnt lgkmcnt(0)
	v_mul_f64 v[42:43], v[42:43], v[44:45]
	scratch_store_dwordx2 off, v[42:43], off offset:120
.LBB18_318:
	s_or_b64 exec, exec, s[2:3]
	scratch_load_dwordx2 v[42:43], off, off offset:128
	v_cmp_gt_u32_e32 vcc, 16, v0
	s_waitcnt vmcnt(0)
	ds_write_b64 v1, v[42:43]
	s_waitcnt lgkmcnt(0)
	; wave barrier
	s_and_saveexec_b64 s[2:3], vcc
	s_cbranch_execz .LBB18_328
; %bb.319:
	s_and_b64 vcc, exec, s[0:1]
	s_cbranch_vccnz .LBB18_321
; %bb.320:
	scratch_load_dwordx2 v[42:43], v21, off
	ds_read_b64 v[44:45], v1
	s_waitcnt vmcnt(0) lgkmcnt(0)
	v_mul_f64 v[42:43], v[42:43], v[44:45]
	s_cbranch_execz .LBB18_322
	s_branch .LBB18_323
.LBB18_321:
                                        ; implicit-def: $vgpr42_vgpr43
.LBB18_322:
	ds_read_b64 v[42:43], v1
.LBB18_323:
	v_cmp_ne_u32_e32 vcc, 15, v0
	s_and_saveexec_b64 s[4:5], vcc
	s_cbranch_execz .LBB18_327
; %bb.324:
	s_mov_b32 s6, 0
	v_add_u32_e32 v44, 0xa8, v20
	v_add3_u32 v45, v20, s6, 8
	s_mov_b64 s[6:7], 0
	v_mov_b32_e32 v46, v0
.LBB18_325:                             ; =>This Inner Loop Header: Depth=1
	scratch_load_dwordx2 v[48:49], v45, off
	ds_read_b64 v[50:51], v44
	v_add_u32_e32 v46, 1, v46
	v_cmp_lt_u32_e32 vcc, 14, v46
	v_add_u32_e32 v44, 8, v44
	v_add_u32_e32 v45, 8, v45
	s_or_b64 s[6:7], vcc, s[6:7]
	s_waitcnt vmcnt(0) lgkmcnt(0)
	v_fmac_f64_e32 v[42:43], v[48:49], v[50:51]
	s_andn2_b64 exec, exec, s[6:7]
	s_cbranch_execnz .LBB18_325
; %bb.326:
	s_or_b64 exec, exec, s[6:7]
.LBB18_327:
	s_or_b64 exec, exec, s[4:5]
	v_mov_b32_e32 v44, 0
	ds_read_b64 v[44:45], v44 offset:128
	s_waitcnt lgkmcnt(0)
	v_mul_f64 v[42:43], v[42:43], v[44:45]
	scratch_store_dwordx2 off, v[42:43], off offset:128
.LBB18_328:
	s_or_b64 exec, exec, s[2:3]
	scratch_load_dwordx2 v[42:43], off, off offset:136
	v_cmp_gt_u32_e64 s[2:3], 17, v0
	s_waitcnt vmcnt(0)
	ds_write_b64 v1, v[42:43]
	s_waitcnt lgkmcnt(0)
	; wave barrier
	s_and_saveexec_b64 s[4:5], s[2:3]
	s_cbranch_execz .LBB18_338
; %bb.329:
	s_and_b64 vcc, exec, s[0:1]
	s_cbranch_vccnz .LBB18_331
; %bb.330:
	scratch_load_dwordx2 v[42:43], v21, off
	ds_read_b64 v[44:45], v1
	s_waitcnt vmcnt(0) lgkmcnt(0)
	v_mul_f64 v[42:43], v[42:43], v[44:45]
	s_cbranch_execz .LBB18_332
	s_branch .LBB18_333
.LBB18_331:
                                        ; implicit-def: $vgpr42_vgpr43
.LBB18_332:
	ds_read_b64 v[42:43], v1
.LBB18_333:
	v_cmp_ne_u32_e32 vcc, 16, v0
	s_and_saveexec_b64 s[6:7], vcc
	s_cbranch_execz .LBB18_337
; %bb.334:
	s_mov_b32 s8, 0
	v_add_u32_e32 v44, 0xa8, v20
	v_add3_u32 v45, v20, s8, 8
	s_mov_b64 s[8:9], 0
	v_mov_b32_e32 v46, v0
.LBB18_335:                             ; =>This Inner Loop Header: Depth=1
	scratch_load_dwordx2 v[48:49], v45, off
	ds_read_b64 v[50:51], v44
	v_add_u32_e32 v46, 1, v46
	v_cmp_lt_u32_e32 vcc, 15, v46
	v_add_u32_e32 v44, 8, v44
	v_add_u32_e32 v45, 8, v45
	s_or_b64 s[8:9], vcc, s[8:9]
	s_waitcnt vmcnt(0) lgkmcnt(0)
	v_fmac_f64_e32 v[42:43], v[48:49], v[50:51]
	s_andn2_b64 exec, exec, s[8:9]
	s_cbranch_execnz .LBB18_335
; %bb.336:
	s_or_b64 exec, exec, s[8:9]
.LBB18_337:
	s_or_b64 exec, exec, s[6:7]
	v_mov_b32_e32 v44, 0
	ds_read_b64 v[44:45], v44 offset:136
	s_waitcnt lgkmcnt(0)
	v_mul_f64 v[42:43], v[42:43], v[44:45]
	scratch_store_dwordx2 off, v[42:43], off offset:136
.LBB18_338:
	s_or_b64 exec, exec, s[4:5]
	scratch_load_dwordx2 v[42:43], off, off offset:144
	v_cmp_ne_u32_e32 vcc, 18, v0
	s_waitcnt vmcnt(0)
	ds_write_b64 v1, v[42:43]
	s_waitcnt lgkmcnt(0)
	; wave barrier
	s_and_saveexec_b64 s[4:5], vcc
	s_cbranch_execz .LBB18_348
; %bb.339:
	s_and_b64 vcc, exec, s[0:1]
	s_cbranch_vccnz .LBB18_341
; %bb.340:
	scratch_load_dwordx2 v[42:43], v21, off
	ds_read_b64 v[44:45], v1
	s_waitcnt vmcnt(0) lgkmcnt(0)
	v_mul_f64 v[42:43], v[42:43], v[44:45]
	s_cbranch_execz .LBB18_342
	s_branch .LBB18_343
.LBB18_341:
                                        ; implicit-def: $vgpr42_vgpr43
.LBB18_342:
	ds_read_b64 v[42:43], v1
.LBB18_343:
	s_and_saveexec_b64 s[0:1], s[2:3]
	s_cbranch_execz .LBB18_347
; %bb.344:
	s_mov_b32 s2, 0
	v_add_u32_e32 v1, 0xa8, v20
	v_add3_u32 v20, v20, s2, 8
	s_mov_b64 s[2:3], 0
.LBB18_345:                             ; =>This Inner Loop Header: Depth=1
	scratch_load_dwordx2 v[44:45], v20, off
	ds_read_b64 v[46:47], v1
	v_add_u32_e32 v0, 1, v0
	v_cmp_lt_u32_e32 vcc, 16, v0
	v_add_u32_e32 v1, 8, v1
	v_add_u32_e32 v20, 8, v20
	s_or_b64 s[2:3], vcc, s[2:3]
	s_waitcnt vmcnt(0) lgkmcnt(0)
	v_fmac_f64_e32 v[42:43], v[44:45], v[46:47]
	s_andn2_b64 exec, exec, s[2:3]
	s_cbranch_execnz .LBB18_345
; %bb.346:
	s_or_b64 exec, exec, s[2:3]
.LBB18_347:
	s_or_b64 exec, exec, s[0:1]
	v_mov_b32_e32 v0, 0
	ds_read_b64 v[0:1], v0 offset:144
	s_waitcnt lgkmcnt(0)
	v_mul_f64 v[0:1], v[42:43], v[0:1]
	scratch_store_dwordx2 off, v[0:1], off offset:144
.LBB18_348:
	s_or_b64 exec, exec, s[4:5]
.LBB18_349:
	scratch_load_dwordx4 v[42:45], off, off
	s_waitcnt vmcnt(0)
	global_store_dwordx2 v[2:3], v[42:43], off
	global_store_dwordx2 v[4:5], v[44:45], off
	scratch_load_dwordx4 v[0:3], off, off offset:16
	s_waitcnt vmcnt(0)
	global_store_dwordx2 v[6:7], v[0:1], off
	global_store_dwordx2 v[8:9], v[2:3], off
	scratch_load_dwordx4 v[0:3], off, off offset:32
	;; [unrolled: 4-line block ×8, first 2 shown]
	s_waitcnt vmcnt(0)
	global_store_dwordx2 v[38:39], v[0:1], off
	global_store_dwordx2 v[40:41], v[2:3], off
	scratch_load_dwordx2 v[0:1], off, off offset:144
	s_waitcnt vmcnt(0)
	global_store_dwordx2 v[36:37], v[0:1], off
.LBB18_350:
	s_endpgm
	.section	.rodata,"a",@progbits
	.p2align	6, 0x0
	.amdhsa_kernel _ZN9rocsolver6v33100L18trti2_kernel_smallILi19EdPdEEv13rocblas_fill_17rocblas_diagonal_T1_iil
		.amdhsa_group_segment_fixed_size 312
		.amdhsa_private_segment_fixed_size 160
		.amdhsa_kernarg_size 32
		.amdhsa_user_sgpr_count 2
		.amdhsa_user_sgpr_dispatch_ptr 0
		.amdhsa_user_sgpr_queue_ptr 0
		.amdhsa_user_sgpr_kernarg_segment_ptr 1
		.amdhsa_user_sgpr_dispatch_id 0
		.amdhsa_user_sgpr_kernarg_preload_length 0
		.amdhsa_user_sgpr_kernarg_preload_offset 0
		.amdhsa_user_sgpr_private_segment_size 0
		.amdhsa_uses_dynamic_stack 0
		.amdhsa_enable_private_segment 1
		.amdhsa_system_sgpr_workgroup_id_x 1
		.amdhsa_system_sgpr_workgroup_id_y 0
		.amdhsa_system_sgpr_workgroup_id_z 0
		.amdhsa_system_sgpr_workgroup_info 0
		.amdhsa_system_vgpr_workitem_id 0
		.amdhsa_next_free_vgpr 52
		.amdhsa_next_free_sgpr 19
		.amdhsa_accum_offset 52
		.amdhsa_reserve_vcc 1
		.amdhsa_float_round_mode_32 0
		.amdhsa_float_round_mode_16_64 0
		.amdhsa_float_denorm_mode_32 3
		.amdhsa_float_denorm_mode_16_64 3
		.amdhsa_dx10_clamp 1
		.amdhsa_ieee_mode 1
		.amdhsa_fp16_overflow 0
		.amdhsa_tg_split 0
		.amdhsa_exception_fp_ieee_invalid_op 0
		.amdhsa_exception_fp_denorm_src 0
		.amdhsa_exception_fp_ieee_div_zero 0
		.amdhsa_exception_fp_ieee_overflow 0
		.amdhsa_exception_fp_ieee_underflow 0
		.amdhsa_exception_fp_ieee_inexact 0
		.amdhsa_exception_int_div_zero 0
	.end_amdhsa_kernel
	.section	.text._ZN9rocsolver6v33100L18trti2_kernel_smallILi19EdPdEEv13rocblas_fill_17rocblas_diagonal_T1_iil,"axG",@progbits,_ZN9rocsolver6v33100L18trti2_kernel_smallILi19EdPdEEv13rocblas_fill_17rocblas_diagonal_T1_iil,comdat
.Lfunc_end18:
	.size	_ZN9rocsolver6v33100L18trti2_kernel_smallILi19EdPdEEv13rocblas_fill_17rocblas_diagonal_T1_iil, .Lfunc_end18-_ZN9rocsolver6v33100L18trti2_kernel_smallILi19EdPdEEv13rocblas_fill_17rocblas_diagonal_T1_iil
                                        ; -- End function
	.set _ZN9rocsolver6v33100L18trti2_kernel_smallILi19EdPdEEv13rocblas_fill_17rocblas_diagonal_T1_iil.num_vgpr, 52
	.set _ZN9rocsolver6v33100L18trti2_kernel_smallILi19EdPdEEv13rocblas_fill_17rocblas_diagonal_T1_iil.num_agpr, 0
	.set _ZN9rocsolver6v33100L18trti2_kernel_smallILi19EdPdEEv13rocblas_fill_17rocblas_diagonal_T1_iil.numbered_sgpr, 19
	.set _ZN9rocsolver6v33100L18trti2_kernel_smallILi19EdPdEEv13rocblas_fill_17rocblas_diagonal_T1_iil.num_named_barrier, 0
	.set _ZN9rocsolver6v33100L18trti2_kernel_smallILi19EdPdEEv13rocblas_fill_17rocblas_diagonal_T1_iil.private_seg_size, 160
	.set _ZN9rocsolver6v33100L18trti2_kernel_smallILi19EdPdEEv13rocblas_fill_17rocblas_diagonal_T1_iil.uses_vcc, 1
	.set _ZN9rocsolver6v33100L18trti2_kernel_smallILi19EdPdEEv13rocblas_fill_17rocblas_diagonal_T1_iil.uses_flat_scratch, 0
	.set _ZN9rocsolver6v33100L18trti2_kernel_smallILi19EdPdEEv13rocblas_fill_17rocblas_diagonal_T1_iil.has_dyn_sized_stack, 0
	.set _ZN9rocsolver6v33100L18trti2_kernel_smallILi19EdPdEEv13rocblas_fill_17rocblas_diagonal_T1_iil.has_recursion, 0
	.set _ZN9rocsolver6v33100L18trti2_kernel_smallILi19EdPdEEv13rocblas_fill_17rocblas_diagonal_T1_iil.has_indirect_call, 0
	.section	.AMDGPU.csdata,"",@progbits
; Kernel info:
; codeLenInByte = 8756
; TotalNumSgprs: 25
; NumVgprs: 52
; NumAgprs: 0
; TotalNumVgprs: 52
; ScratchSize: 160
; MemoryBound: 0
; FloatMode: 240
; IeeeMode: 1
; LDSByteSize: 312 bytes/workgroup (compile time only)
; SGPRBlocks: 3
; VGPRBlocks: 6
; NumSGPRsForWavesPerEU: 25
; NumVGPRsForWavesPerEU: 52
; AccumOffset: 52
; Occupancy: 8
; WaveLimiterHint : 0
; COMPUTE_PGM_RSRC2:SCRATCH_EN: 1
; COMPUTE_PGM_RSRC2:USER_SGPR: 2
; COMPUTE_PGM_RSRC2:TRAP_HANDLER: 0
; COMPUTE_PGM_RSRC2:TGID_X_EN: 1
; COMPUTE_PGM_RSRC2:TGID_Y_EN: 0
; COMPUTE_PGM_RSRC2:TGID_Z_EN: 0
; COMPUTE_PGM_RSRC2:TIDIG_COMP_CNT: 0
; COMPUTE_PGM_RSRC3_GFX90A:ACCUM_OFFSET: 12
; COMPUTE_PGM_RSRC3_GFX90A:TG_SPLIT: 0
	.section	.text._ZN9rocsolver6v33100L18trti2_kernel_smallILi20EdPdEEv13rocblas_fill_17rocblas_diagonal_T1_iil,"axG",@progbits,_ZN9rocsolver6v33100L18trti2_kernel_smallILi20EdPdEEv13rocblas_fill_17rocblas_diagonal_T1_iil,comdat
	.globl	_ZN9rocsolver6v33100L18trti2_kernel_smallILi20EdPdEEv13rocblas_fill_17rocblas_diagonal_T1_iil ; -- Begin function _ZN9rocsolver6v33100L18trti2_kernel_smallILi20EdPdEEv13rocblas_fill_17rocblas_diagonal_T1_iil
	.p2align	8
	.type	_ZN9rocsolver6v33100L18trti2_kernel_smallILi20EdPdEEv13rocblas_fill_17rocblas_diagonal_T1_iil,@function
_ZN9rocsolver6v33100L18trti2_kernel_smallILi20EdPdEEv13rocblas_fill_17rocblas_diagonal_T1_iil: ; @_ZN9rocsolver6v33100L18trti2_kernel_smallILi20EdPdEEv13rocblas_fill_17rocblas_diagonal_T1_iil
; %bb.0:
	v_cmp_gt_u32_e32 vcc, 20, v0
	s_and_saveexec_b64 s[4:5], vcc
	s_cbranch_execz .LBB19_370
; %bb.1:
	s_load_dwordx8 s[4:11], s[0:1], 0x0
	s_ashr_i32 s3, s2, 31
	v_lshlrev_b32_e32 v20, 3, v0
	v_mov_b32_e32 v21, 0
	s_waitcnt lgkmcnt(0)
	s_ashr_i32 s1, s8, 31
	s_mov_b32 s0, s8
	s_mul_hi_u32 s8, s10, s2
	s_mul_i32 s3, s10, s3
	s_add_i32 s3, s8, s3
	s_mul_i32 s8, s11, s2
	s_add_i32 s3, s3, s8
	s_mul_i32 s2, s10, s2
	s_lshl_b64 s[2:3], s[2:3], 3
	s_add_u32 s2, s6, s2
	s_addc_u32 s3, s7, s3
	s_lshl_b64 s[0:1], s[0:1], 3
	s_add_u32 s0, s2, s0
	s_addc_u32 s1, s3, s1
	v_lshl_add_u64 v[2:3], s[0:1], 0, v[20:21]
	s_ashr_i32 s3, s9, 31
	s_mov_b32 s2, s9
	v_lshl_add_u64 v[4:5], s[2:3], 3, v[2:3]
	global_load_dwordx2 v[6:7], v20, s[0:1]
	global_load_dwordx2 v[8:9], v[4:5], off
	s_add_i32 s2, s9, s9
	s_cmpk_lg_i32 s5, 0x84
	s_cselect_b64 s[6:7], -1, 0
	s_cmpk_eq_i32 s5, 0x84
	s_waitcnt vmcnt(0)
	scratch_store_dwordx4 off, v[6:9], off
	s_nop 1
	v_add_u32_e32 v8, s2, v0
	v_add_u32_e32 v10, s9, v8
	v_ashrrev_i32_e32 v9, 31, v8
	v_ashrrev_i32_e32 v11, 31, v10
	v_lshl_add_u64 v[6:7], v[8:9], 3, s[0:1]
	v_lshl_add_u64 v[8:9], v[10:11], 3, s[0:1]
	global_load_dwordx2 v[12:13], v[6:7], off
	global_load_dwordx2 v[14:15], v[8:9], off
	s_waitcnt vmcnt(0)
	scratch_store_dwordx4 off, v[12:15], off offset:16
	s_nop 1
	v_add_u32_e32 v12, s9, v10
	v_add_u32_e32 v14, s9, v12
	v_ashrrev_i32_e32 v13, 31, v12
	v_ashrrev_i32_e32 v15, 31, v14
	v_lshl_add_u64 v[10:11], v[12:13], 3, s[0:1]
	v_lshl_add_u64 v[12:13], v[14:15], 3, s[0:1]
	global_load_dwordx2 v[16:17], v[10:11], off
	global_load_dwordx2 v[18:19], v[12:13], off
	s_waitcnt vmcnt(0)
	scratch_store_dwordx4 off, v[16:19], off offset:32
	;; [unrolled: 11-line block ×6, first 2 shown]
	s_nop 1
	v_add_u32_e32 v34, s9, v32
	v_ashrrev_i32_e32 v35, 31, v34
	v_lshl_add_u64 v[32:33], v[34:35], 3, s[0:1]
	v_add_u32_e32 v34, s9, v34
	v_ashrrev_i32_e32 v35, 31, v34
	v_lshl_add_u64 v[36:37], v[34:35], 3, s[0:1]
	global_load_dwordx2 v[38:39], v[32:33], off
	global_load_dwordx2 v[40:41], v[36:37], off
	v_add_u32_e32 v34, s9, v34
	v_ashrrev_i32_e32 v35, 31, v34
	s_waitcnt vmcnt(0)
	scratch_store_dwordx4 off, v[38:41], off offset:112
	s_nop 1
	v_lshl_add_u64 v[40:41], v[34:35], 3, s[0:1]
	v_add_u32_e32 v34, s9, v34
	v_ashrrev_i32_e32 v35, 31, v34
	v_lshl_add_u64 v[42:43], v[34:35], 3, s[0:1]
	global_load_dwordx2 v[44:45], v[40:41], off
	global_load_dwordx2 v[46:47], v[42:43], off
	v_add_u32_e32 v38, s9, v34
	v_ashrrev_i32_e32 v39, 31, v38
	v_lshl_add_u64 v[34:35], v[38:39], 3, s[0:1]
	v_add_u32_e32 v38, s9, v38
	v_ashrrev_i32_e32 v39, 31, v38
	v_lshl_add_u64 v[38:39], v[38:39], 3, s[0:1]
	s_waitcnt vmcnt(0)
	scratch_store_dwordx4 off, v[44:47], off offset:128
	global_load_dwordx2 v[44:45], v[34:35], off
	s_nop 0
	global_load_dwordx2 v[46:47], v[38:39], off
	s_waitcnt vmcnt(0)
	scratch_store_dwordx4 off, v[44:47], off offset:144
	s_nop 1
	v_mov_b64_e32 v[44:45], -1.0
	s_cbranch_scc1 .LBB19_3
; %bb.2:
	scratch_load_dwordx2 v[44:45], v20, off
	s_waitcnt vmcnt(0)
	v_div_scale_f64 v[46:47], s[0:1], v[44:45], v[44:45], 1.0
	v_rcp_f64_e32 v[48:49], v[46:47]
	v_div_scale_f64 v[50:51], vcc, 1.0, v[44:45], 1.0
	v_fma_f64 v[52:53], -v[46:47], v[48:49], 1.0
	v_fmac_f64_e32 v[48:49], v[48:49], v[52:53]
	v_fma_f64 v[52:53], -v[46:47], v[48:49], 1.0
	v_fmac_f64_e32 v[48:49], v[48:49], v[52:53]
	v_mul_f64 v[52:53], v[50:51], v[48:49]
	v_fma_f64 v[46:47], -v[46:47], v[52:53], v[50:51]
	v_div_fmas_f64 v[46:47], v[46:47], v[48:49], v[52:53]
	v_div_fixup_f64 v[44:45], v[46:47], v[44:45], 1.0
	scratch_store_dwordx2 v20, v[44:45], off
	v_xor_b32_e32 v45, 0x80000000, v45
.LBB19_3:
	s_cmpk_eq_i32 s4, 0x79
	v_add_u32_e32 v1, 0xa0, v20
	v_mov_b32_e32 v21, v20
	s_mov_b64 s[0:1], -1
	ds_write_b64 v20, v[44:45]
	s_cbranch_scc1 .LBB19_187
; %bb.4:
	scratch_load_dwordx2 v[44:45], off, off offset:144
	s_movk_i32 s8, 0x50
	s_movk_i32 s9, 0x60
	;; [unrolled: 1-line block ×4, first 2 shown]
	v_cmp_eq_u32_e64 s[0:1], 19, v0
	s_waitcnt vmcnt(0)
	ds_write_b64 v1, v[44:45]
	s_waitcnt lgkmcnt(0)
	; wave barrier
	s_and_saveexec_b64 s[2:3], s[0:1]
	s_cbranch_execz .LBB19_10
; %bb.5:
	s_and_b64 vcc, exec, s[6:7]
	s_cbranch_vccz .LBB19_7
; %bb.6:
	scratch_load_dwordx2 v[44:45], v21, off
	ds_read_b64 v[46:47], v1
	s_waitcnt vmcnt(0) lgkmcnt(0)
	v_mul_f64 v[44:45], v[44:45], v[46:47]
	s_cbranch_execz .LBB19_8
	s_branch .LBB19_9
.LBB19_7:
                                        ; implicit-def: $vgpr44_vgpr45
.LBB19_8:
	ds_read_b64 v[44:45], v1
.LBB19_9:
	v_mov_b32_e32 v46, 0
	ds_read_b64 v[46:47], v46 offset:144
	s_waitcnt lgkmcnt(0)
	v_mul_f64 v[44:45], v[44:45], v[46:47]
	scratch_store_dwordx2 off, v[44:45], off offset:144
.LBB19_10:
	s_or_b64 exec, exec, s[2:3]
	scratch_load_dwordx2 v[44:45], off, off offset:136
	s_mov_b32 s10, 16
	s_mov_b32 s11, 32
	s_mov_b32 s12, 48
	s_mov_b32 s13, 64
	s_mov_b32 s14, s8
	s_mov_b32 s15, s9
	v_cmp_lt_u32_e64 s[2:3], 17, v0
	s_waitcnt vmcnt(0)
	ds_write_b64 v1, v[44:45]
	s_waitcnt lgkmcnt(0)
	; wave barrier
	s_and_saveexec_b64 s[4:5], s[2:3]
	s_cbranch_execz .LBB19_16
; %bb.11:
	s_andn2_b64 vcc, exec, s[6:7]
	s_cbranch_vccnz .LBB19_13
; %bb.12:
	scratch_load_dwordx2 v[44:45], v21, off
	ds_read_b64 v[46:47], v1
	s_waitcnt vmcnt(0) lgkmcnt(0)
	v_mul_f64 v[44:45], v[44:45], v[46:47]
	s_cbranch_execz .LBB19_14
	s_branch .LBB19_15
.LBB19_13:
                                        ; implicit-def: $vgpr44_vgpr45
.LBB19_14:
	ds_read_b64 v[44:45], v1
.LBB19_15:
	scratch_load_dwordx2 v[50:51], off, off offset:144
	v_mov_b32_e32 v46, 0
	ds_read2_b64 v[46:49], v46 offset0:17 offset1:38
	s_waitcnt vmcnt(0) lgkmcnt(0)
	v_fma_f64 v[48:49], v[50:51], v[48:49], v[44:45]
	v_cndmask_b32_e64 v45, v45, v49, s[0:1]
	v_cndmask_b32_e64 v44, v44, v48, s[0:1]
	v_mul_f64 v[44:45], v[44:45], v[46:47]
	scratch_store_dwordx2 off, v[44:45], off offset:136
.LBB19_16:
	s_or_b64 exec, exec, s[4:5]
	scratch_load_dwordx2 v[44:45], off, off offset:128
	v_cmp_lt_u32_e64 s[0:1], 16, v0
	s_waitcnt vmcnt(0)
	ds_write_b64 v1, v[44:45]
	s_waitcnt lgkmcnt(0)
	; wave barrier
	s_and_saveexec_b64 s[4:5], s[0:1]
	s_cbranch_execz .LBB19_26
; %bb.17:
	s_andn2_b64 vcc, exec, s[6:7]
	s_cbranch_vccnz .LBB19_19
; %bb.18:
	scratch_load_dwordx2 v[44:45], v21, off
	ds_read_b64 v[46:47], v1
	s_waitcnt vmcnt(0) lgkmcnt(0)
	v_mul_f64 v[44:45], v[44:45], v[46:47]
	s_cbranch_execz .LBB19_20
	s_branch .LBB19_21
.LBB19_19:
                                        ; implicit-def: $vgpr44_vgpr45
.LBB19_20:
	ds_read_b64 v[44:45], v1
.LBB19_21:
	s_and_saveexec_b64 s[8:9], s[2:3]
	s_cbranch_execz .LBB19_25
; %bb.22:
	s_movk_i32 s18, 0x88
	v_subrev_u32_e32 v46, 17, v0
	s_movk_i32 s19, 0x128
	s_mov_b64 s[2:3], 0
.LBB19_23:                              ; =>This Inner Loop Header: Depth=1
	scratch_load_dwordx2 v[48:49], off, s18
	v_mov_b32_e32 v47, s19
	ds_read_b64 v[50:51], v47
	v_add_u32_e32 v46, -1, v46
	s_add_i32 s19, s19, 8
	s_add_i32 s18, s18, 8
	v_cmp_eq_u32_e32 vcc, 0, v46
	s_or_b64 s[2:3], vcc, s[2:3]
	s_waitcnt vmcnt(0) lgkmcnt(0)
	v_fmac_f64_e32 v[44:45], v[48:49], v[50:51]
	s_andn2_b64 exec, exec, s[2:3]
	s_cbranch_execnz .LBB19_23
; %bb.24:
	s_or_b64 exec, exec, s[2:3]
.LBB19_25:
	s_or_b64 exec, exec, s[8:9]
	v_mov_b32_e32 v46, 0
	ds_read_b64 v[46:47], v46 offset:128
	s_waitcnt lgkmcnt(0)
	v_mul_f64 v[44:45], v[44:45], v[46:47]
	scratch_store_dwordx2 off, v[44:45], off offset:128
.LBB19_26:
	s_or_b64 exec, exec, s[4:5]
	scratch_load_dwordx2 v[44:45], off, off offset:120
	v_cmp_lt_u32_e64 s[2:3], 15, v0
	s_waitcnt vmcnt(0)
	ds_write_b64 v1, v[44:45]
	s_waitcnt lgkmcnt(0)
	; wave barrier
	s_and_saveexec_b64 s[4:5], s[2:3]
	s_cbranch_execz .LBB19_36
; %bb.27:
	s_andn2_b64 vcc, exec, s[6:7]
	s_cbranch_vccnz .LBB19_29
; %bb.28:
	scratch_load_dwordx2 v[44:45], v21, off
	ds_read_b64 v[46:47], v1
	s_waitcnt vmcnt(0) lgkmcnt(0)
	v_mul_f64 v[44:45], v[44:45], v[46:47]
	s_cbranch_execz .LBB19_30
	s_branch .LBB19_31
.LBB19_29:
                                        ; implicit-def: $vgpr44_vgpr45
.LBB19_30:
	ds_read_b64 v[44:45], v1
.LBB19_31:
	s_and_saveexec_b64 s[8:9], s[0:1]
	s_cbranch_execz .LBB19_35
; %bb.32:
	v_add_u32_e32 v46, -16, v0
	s_movk_i32 s18, 0x120
	s_mov_b64 s[0:1], 0
.LBB19_33:                              ; =>This Inner Loop Header: Depth=1
	scratch_load_dwordx2 v[48:49], off, s17
	v_mov_b32_e32 v47, s18
	ds_read_b64 v[50:51], v47
	v_add_u32_e32 v46, -1, v46
	s_add_i32 s18, s18, 8
	s_add_i32 s17, s17, 8
	v_cmp_eq_u32_e32 vcc, 0, v46
	s_or_b64 s[0:1], vcc, s[0:1]
	s_waitcnt vmcnt(0) lgkmcnt(0)
	v_fmac_f64_e32 v[44:45], v[48:49], v[50:51]
	s_andn2_b64 exec, exec, s[0:1]
	s_cbranch_execnz .LBB19_33
; %bb.34:
	s_or_b64 exec, exec, s[0:1]
.LBB19_35:
	s_or_b64 exec, exec, s[8:9]
	v_mov_b32_e32 v46, 0
	ds_read_b64 v[46:47], v46 offset:120
	s_waitcnt lgkmcnt(0)
	v_mul_f64 v[44:45], v[44:45], v[46:47]
	scratch_store_dwordx2 off, v[44:45], off offset:120
.LBB19_36:
	s_or_b64 exec, exec, s[4:5]
	scratch_load_dwordx2 v[44:45], off, off offset:112
	v_cmp_lt_u32_e64 s[0:1], 14, v0
	s_waitcnt vmcnt(0)
	ds_write_b64 v1, v[44:45]
	s_waitcnt lgkmcnt(0)
	; wave barrier
	s_and_saveexec_b64 s[4:5], s[0:1]
	s_cbranch_execz .LBB19_46
; %bb.37:
	s_andn2_b64 vcc, exec, s[6:7]
	s_cbranch_vccnz .LBB19_39
; %bb.38:
	scratch_load_dwordx2 v[44:45], v21, off
	ds_read_b64 v[46:47], v1
	s_waitcnt vmcnt(0) lgkmcnt(0)
	v_mul_f64 v[44:45], v[44:45], v[46:47]
	s_cbranch_execz .LBB19_40
	s_branch .LBB19_41
.LBB19_39:
                                        ; implicit-def: $vgpr44_vgpr45
.LBB19_40:
	ds_read_b64 v[44:45], v1
.LBB19_41:
	s_and_saveexec_b64 s[8:9], s[2:3]
	s_cbranch_execz .LBB19_45
; %bb.42:
	s_movk_i32 s17, 0x78
	v_add_u32_e32 v46, -15, v0
	s_movk_i32 s18, 0x118
	s_mov_b64 s[2:3], 0
.LBB19_43:                              ; =>This Inner Loop Header: Depth=1
	scratch_load_dwordx2 v[48:49], off, s17
	v_mov_b32_e32 v47, s18
	ds_read_b64 v[50:51], v47
	v_add_u32_e32 v46, -1, v46
	s_add_i32 s18, s18, 8
	s_add_i32 s17, s17, 8
	v_cmp_eq_u32_e32 vcc, 0, v46
	s_or_b64 s[2:3], vcc, s[2:3]
	s_waitcnt vmcnt(0) lgkmcnt(0)
	v_fmac_f64_e32 v[44:45], v[48:49], v[50:51]
	s_andn2_b64 exec, exec, s[2:3]
	s_cbranch_execnz .LBB19_43
; %bb.44:
	s_or_b64 exec, exec, s[2:3]
.LBB19_45:
	s_or_b64 exec, exec, s[8:9]
	v_mov_b32_e32 v46, 0
	ds_read_b64 v[46:47], v46 offset:112
	s_waitcnt lgkmcnt(0)
	v_mul_f64 v[44:45], v[44:45], v[46:47]
	scratch_store_dwordx2 off, v[44:45], off offset:112
.LBB19_46:
	s_or_b64 exec, exec, s[4:5]
	scratch_load_dwordx2 v[44:45], off, off offset:104
	v_cmp_lt_u32_e64 s[2:3], 13, v0
	s_waitcnt vmcnt(0)
	ds_write_b64 v1, v[44:45]
	s_waitcnt lgkmcnt(0)
	; wave barrier
	s_and_saveexec_b64 s[4:5], s[2:3]
	s_cbranch_execz .LBB19_56
; %bb.47:
	s_andn2_b64 vcc, exec, s[6:7]
	s_cbranch_vccnz .LBB19_49
; %bb.48:
	scratch_load_dwordx2 v[44:45], v21, off
	ds_read_b64 v[46:47], v1
	s_waitcnt vmcnt(0) lgkmcnt(0)
	v_mul_f64 v[44:45], v[44:45], v[46:47]
	s_cbranch_execz .LBB19_50
	s_branch .LBB19_51
.LBB19_49:
                                        ; implicit-def: $vgpr44_vgpr45
.LBB19_50:
	ds_read_b64 v[44:45], v1
.LBB19_51:
	s_and_saveexec_b64 s[8:9], s[0:1]
	s_cbranch_execz .LBB19_55
; %bb.52:
	v_add_u32_e32 v46, -14, v0
	s_movk_i32 s17, 0x110
	s_mov_b64 s[0:1], 0
.LBB19_53:                              ; =>This Inner Loop Header: Depth=1
	scratch_load_dwordx2 v[48:49], off, s16
	v_mov_b32_e32 v47, s17
	ds_read_b64 v[50:51], v47
	v_add_u32_e32 v46, -1, v46
	s_add_i32 s17, s17, 8
	s_add_i32 s16, s16, 8
	v_cmp_eq_u32_e32 vcc, 0, v46
	s_or_b64 s[0:1], vcc, s[0:1]
	s_waitcnt vmcnt(0) lgkmcnt(0)
	v_fmac_f64_e32 v[44:45], v[48:49], v[50:51]
	s_andn2_b64 exec, exec, s[0:1]
	s_cbranch_execnz .LBB19_53
; %bb.54:
	s_or_b64 exec, exec, s[0:1]
.LBB19_55:
	s_or_b64 exec, exec, s[8:9]
	v_mov_b32_e32 v46, 0
	ds_read_b64 v[46:47], v46 offset:104
	s_waitcnt lgkmcnt(0)
	v_mul_f64 v[44:45], v[44:45], v[46:47]
	scratch_store_dwordx2 off, v[44:45], off offset:104
.LBB19_56:
	s_or_b64 exec, exec, s[4:5]
	scratch_load_dwordx2 v[44:45], off, off offset:96
	v_cmp_lt_u32_e64 s[0:1], 12, v0
	s_waitcnt vmcnt(0)
	ds_write_b64 v1, v[44:45]
	s_waitcnt lgkmcnt(0)
	; wave barrier
	s_and_saveexec_b64 s[4:5], s[0:1]
	s_cbranch_execz .LBB19_66
; %bb.57:
	s_andn2_b64 vcc, exec, s[6:7]
	s_cbranch_vccnz .LBB19_59
; %bb.58:
	scratch_load_dwordx2 v[44:45], v21, off
	ds_read_b64 v[46:47], v1
	s_waitcnt vmcnt(0) lgkmcnt(0)
	v_mul_f64 v[44:45], v[44:45], v[46:47]
	s_cbranch_execz .LBB19_60
	s_branch .LBB19_61
.LBB19_59:
                                        ; implicit-def: $vgpr44_vgpr45
.LBB19_60:
	ds_read_b64 v[44:45], v1
.LBB19_61:
	s_and_saveexec_b64 s[8:9], s[2:3]
	s_cbranch_execz .LBB19_65
; %bb.62:
	s_movk_i32 s16, 0x68
	v_add_u32_e32 v46, -13, v0
	s_movk_i32 s17, 0x108
	s_mov_b64 s[2:3], 0
.LBB19_63:                              ; =>This Inner Loop Header: Depth=1
	scratch_load_dwordx2 v[48:49], off, s16
	v_mov_b32_e32 v47, s17
	ds_read_b64 v[50:51], v47
	v_add_u32_e32 v46, -1, v46
	s_add_i32 s17, s17, 8
	s_add_i32 s16, s16, 8
	v_cmp_eq_u32_e32 vcc, 0, v46
	s_or_b64 s[2:3], vcc, s[2:3]
	s_waitcnt vmcnt(0) lgkmcnt(0)
	v_fmac_f64_e32 v[44:45], v[48:49], v[50:51]
	s_andn2_b64 exec, exec, s[2:3]
	s_cbranch_execnz .LBB19_63
; %bb.64:
	s_or_b64 exec, exec, s[2:3]
.LBB19_65:
	s_or_b64 exec, exec, s[8:9]
	v_mov_b32_e32 v46, 0
	ds_read_b64 v[46:47], v46 offset:96
	s_waitcnt lgkmcnt(0)
	v_mul_f64 v[44:45], v[44:45], v[46:47]
	scratch_store_dwordx2 off, v[44:45], off offset:96
.LBB19_66:
	s_or_b64 exec, exec, s[4:5]
	scratch_load_dwordx2 v[44:45], off, off offset:88
	v_cmp_lt_u32_e64 s[2:3], 11, v0
	s_waitcnt vmcnt(0)
	ds_write_b64 v1, v[44:45]
	s_waitcnt lgkmcnt(0)
	; wave barrier
	s_and_saveexec_b64 s[4:5], s[2:3]
	s_cbranch_execz .LBB19_76
; %bb.67:
	s_andn2_b64 vcc, exec, s[6:7]
	s_cbranch_vccnz .LBB19_69
; %bb.68:
	scratch_load_dwordx2 v[44:45], v21, off
	ds_read_b64 v[46:47], v1
	s_waitcnt vmcnt(0) lgkmcnt(0)
	v_mul_f64 v[44:45], v[44:45], v[46:47]
	s_cbranch_execz .LBB19_70
	s_branch .LBB19_71
.LBB19_69:
                                        ; implicit-def: $vgpr44_vgpr45
.LBB19_70:
	ds_read_b64 v[44:45], v1
.LBB19_71:
	s_and_saveexec_b64 s[8:9], s[0:1]
	s_cbranch_execz .LBB19_75
; %bb.72:
	v_add_u32_e32 v46, -12, v0
	s_movk_i32 s16, 0x100
	s_mov_b64 s[0:1], 0
.LBB19_73:                              ; =>This Inner Loop Header: Depth=1
	scratch_load_dwordx2 v[48:49], off, s15
	v_mov_b32_e32 v47, s16
	ds_read_b64 v[50:51], v47
	v_add_u32_e32 v46, -1, v46
	s_add_i32 s16, s16, 8
	s_add_i32 s15, s15, 8
	v_cmp_eq_u32_e32 vcc, 0, v46
	s_or_b64 s[0:1], vcc, s[0:1]
	s_waitcnt vmcnt(0) lgkmcnt(0)
	v_fmac_f64_e32 v[44:45], v[48:49], v[50:51]
	s_andn2_b64 exec, exec, s[0:1]
	s_cbranch_execnz .LBB19_73
; %bb.74:
	s_or_b64 exec, exec, s[0:1]
.LBB19_75:
	s_or_b64 exec, exec, s[8:9]
	v_mov_b32_e32 v46, 0
	ds_read_b64 v[46:47], v46 offset:88
	s_waitcnt lgkmcnt(0)
	v_mul_f64 v[44:45], v[44:45], v[46:47]
	scratch_store_dwordx2 off, v[44:45], off offset:88
.LBB19_76:
	s_or_b64 exec, exec, s[4:5]
	scratch_load_dwordx2 v[44:45], off, off offset:80
	v_cmp_lt_u32_e64 s[0:1], 10, v0
	s_waitcnt vmcnt(0)
	ds_write_b64 v1, v[44:45]
	s_waitcnt lgkmcnt(0)
	; wave barrier
	s_and_saveexec_b64 s[4:5], s[0:1]
	s_cbranch_execz .LBB19_86
; %bb.77:
	s_andn2_b64 vcc, exec, s[6:7]
	s_cbranch_vccnz .LBB19_79
; %bb.78:
	scratch_load_dwordx2 v[44:45], v21, off
	ds_read_b64 v[46:47], v1
	s_waitcnt vmcnt(0) lgkmcnt(0)
	v_mul_f64 v[44:45], v[44:45], v[46:47]
	s_cbranch_execz .LBB19_80
	s_branch .LBB19_81
.LBB19_79:
                                        ; implicit-def: $vgpr44_vgpr45
.LBB19_80:
	ds_read_b64 v[44:45], v1
.LBB19_81:
	s_and_saveexec_b64 s[8:9], s[2:3]
	s_cbranch_execz .LBB19_85
; %bb.82:
	s_movk_i32 s15, 0x58
	v_add_u32_e32 v46, -11, v0
	s_movk_i32 s16, 0xf8
	s_mov_b64 s[2:3], 0
.LBB19_83:                              ; =>This Inner Loop Header: Depth=1
	scratch_load_dwordx2 v[48:49], off, s15
	v_mov_b32_e32 v47, s16
	ds_read_b64 v[50:51], v47
	v_add_u32_e32 v46, -1, v46
	s_add_i32 s16, s16, 8
	s_add_i32 s15, s15, 8
	v_cmp_eq_u32_e32 vcc, 0, v46
	s_or_b64 s[2:3], vcc, s[2:3]
	s_waitcnt vmcnt(0) lgkmcnt(0)
	v_fmac_f64_e32 v[44:45], v[48:49], v[50:51]
	s_andn2_b64 exec, exec, s[2:3]
	s_cbranch_execnz .LBB19_83
; %bb.84:
	s_or_b64 exec, exec, s[2:3]
.LBB19_85:
	s_or_b64 exec, exec, s[8:9]
	v_mov_b32_e32 v46, 0
	ds_read_b64 v[46:47], v46 offset:80
	s_waitcnt lgkmcnt(0)
	v_mul_f64 v[44:45], v[44:45], v[46:47]
	scratch_store_dwordx2 off, v[44:45], off offset:80
.LBB19_86:
	s_or_b64 exec, exec, s[4:5]
	scratch_load_dwordx2 v[44:45], off, off offset:72
	v_cmp_lt_u32_e64 s[2:3], 9, v0
	s_waitcnt vmcnt(0)
	ds_write_b64 v1, v[44:45]
	s_waitcnt lgkmcnt(0)
	; wave barrier
	s_and_saveexec_b64 s[4:5], s[2:3]
	s_cbranch_execz .LBB19_96
; %bb.87:
	s_andn2_b64 vcc, exec, s[6:7]
	s_cbranch_vccnz .LBB19_89
; %bb.88:
	scratch_load_dwordx2 v[44:45], v21, off
	ds_read_b64 v[46:47], v1
	s_waitcnt vmcnt(0) lgkmcnt(0)
	v_mul_f64 v[44:45], v[44:45], v[46:47]
	s_cbranch_execz .LBB19_90
	s_branch .LBB19_91
.LBB19_89:
                                        ; implicit-def: $vgpr44_vgpr45
.LBB19_90:
	ds_read_b64 v[44:45], v1
.LBB19_91:
	s_and_saveexec_b64 s[8:9], s[0:1]
	s_cbranch_execz .LBB19_95
; %bb.92:
	v_add_u32_e32 v46, -10, v0
	s_movk_i32 s15, 0xf0
	s_mov_b64 s[0:1], 0
.LBB19_93:                              ; =>This Inner Loop Header: Depth=1
	scratch_load_dwordx2 v[48:49], off, s14
	v_mov_b32_e32 v47, s15
	ds_read_b64 v[50:51], v47
	v_add_u32_e32 v46, -1, v46
	s_add_i32 s15, s15, 8
	s_add_i32 s14, s14, 8
	v_cmp_eq_u32_e32 vcc, 0, v46
	s_or_b64 s[0:1], vcc, s[0:1]
	s_waitcnt vmcnt(0) lgkmcnt(0)
	v_fmac_f64_e32 v[44:45], v[48:49], v[50:51]
	s_andn2_b64 exec, exec, s[0:1]
	s_cbranch_execnz .LBB19_93
; %bb.94:
	s_or_b64 exec, exec, s[0:1]
.LBB19_95:
	s_or_b64 exec, exec, s[8:9]
	v_mov_b32_e32 v46, 0
	ds_read_b64 v[46:47], v46 offset:72
	s_waitcnt lgkmcnt(0)
	v_mul_f64 v[44:45], v[44:45], v[46:47]
	scratch_store_dwordx2 off, v[44:45], off offset:72
.LBB19_96:
	s_or_b64 exec, exec, s[4:5]
	scratch_load_dwordx2 v[44:45], off, off offset:64
	v_cmp_lt_u32_e64 s[0:1], 8, v0
	s_waitcnt vmcnt(0)
	ds_write_b64 v1, v[44:45]
	s_waitcnt lgkmcnt(0)
	; wave barrier
	s_and_saveexec_b64 s[4:5], s[0:1]
	s_cbranch_execz .LBB19_106
; %bb.97:
	s_andn2_b64 vcc, exec, s[6:7]
	s_cbranch_vccnz .LBB19_99
; %bb.98:
	scratch_load_dwordx2 v[44:45], v21, off
	ds_read_b64 v[46:47], v1
	s_waitcnt vmcnt(0) lgkmcnt(0)
	v_mul_f64 v[44:45], v[44:45], v[46:47]
	s_cbranch_execz .LBB19_100
	s_branch .LBB19_101
.LBB19_99:
                                        ; implicit-def: $vgpr44_vgpr45
.LBB19_100:
	ds_read_b64 v[44:45], v1
.LBB19_101:
	s_and_saveexec_b64 s[8:9], s[2:3]
	s_cbranch_execz .LBB19_105
; %bb.102:
	s_movk_i32 s14, 0x48
	v_add_u32_e32 v46, -9, v0
	s_movk_i32 s15, 0xe8
	s_mov_b64 s[2:3], 0
.LBB19_103:                             ; =>This Inner Loop Header: Depth=1
	scratch_load_dwordx2 v[48:49], off, s14
	v_mov_b32_e32 v47, s15
	ds_read_b64 v[50:51], v47
	v_add_u32_e32 v46, -1, v46
	s_add_i32 s15, s15, 8
	s_add_i32 s14, s14, 8
	v_cmp_eq_u32_e32 vcc, 0, v46
	s_or_b64 s[2:3], vcc, s[2:3]
	s_waitcnt vmcnt(0) lgkmcnt(0)
	v_fmac_f64_e32 v[44:45], v[48:49], v[50:51]
	s_andn2_b64 exec, exec, s[2:3]
	s_cbranch_execnz .LBB19_103
; %bb.104:
	s_or_b64 exec, exec, s[2:3]
.LBB19_105:
	s_or_b64 exec, exec, s[8:9]
	v_mov_b32_e32 v46, 0
	ds_read_b64 v[46:47], v46 offset:64
	s_waitcnt lgkmcnt(0)
	v_mul_f64 v[44:45], v[44:45], v[46:47]
	scratch_store_dwordx2 off, v[44:45], off offset:64
.LBB19_106:
	s_or_b64 exec, exec, s[4:5]
	scratch_load_dwordx2 v[44:45], off, off offset:56
	v_cmp_lt_u32_e64 s[2:3], 7, v0
	s_waitcnt vmcnt(0)
	ds_write_b64 v1, v[44:45]
	s_waitcnt lgkmcnt(0)
	; wave barrier
	s_and_saveexec_b64 s[4:5], s[2:3]
	s_cbranch_execz .LBB19_116
; %bb.107:
	s_andn2_b64 vcc, exec, s[6:7]
	s_cbranch_vccnz .LBB19_109
; %bb.108:
	scratch_load_dwordx2 v[44:45], v21, off
	ds_read_b64 v[46:47], v1
	s_waitcnt vmcnt(0) lgkmcnt(0)
	v_mul_f64 v[44:45], v[44:45], v[46:47]
	s_cbranch_execz .LBB19_110
	s_branch .LBB19_111
.LBB19_109:
                                        ; implicit-def: $vgpr44_vgpr45
.LBB19_110:
	ds_read_b64 v[44:45], v1
.LBB19_111:
	s_and_saveexec_b64 s[8:9], s[0:1]
	s_cbranch_execz .LBB19_115
; %bb.112:
	v_add_u32_e32 v46, -8, v0
	s_movk_i32 s14, 0xe0
	s_mov_b64 s[0:1], 0
.LBB19_113:                             ; =>This Inner Loop Header: Depth=1
	scratch_load_dwordx2 v[48:49], off, s13
	v_mov_b32_e32 v47, s14
	ds_read_b64 v[50:51], v47
	v_add_u32_e32 v46, -1, v46
	s_add_i32 s14, s14, 8
	s_add_i32 s13, s13, 8
	v_cmp_eq_u32_e32 vcc, 0, v46
	s_or_b64 s[0:1], vcc, s[0:1]
	s_waitcnt vmcnt(0) lgkmcnt(0)
	v_fmac_f64_e32 v[44:45], v[48:49], v[50:51]
	s_andn2_b64 exec, exec, s[0:1]
	s_cbranch_execnz .LBB19_113
; %bb.114:
	s_or_b64 exec, exec, s[0:1]
.LBB19_115:
	s_or_b64 exec, exec, s[8:9]
	v_mov_b32_e32 v46, 0
	ds_read_b64 v[46:47], v46 offset:56
	s_waitcnt lgkmcnt(0)
	v_mul_f64 v[44:45], v[44:45], v[46:47]
	scratch_store_dwordx2 off, v[44:45], off offset:56
.LBB19_116:
	s_or_b64 exec, exec, s[4:5]
	scratch_load_dwordx2 v[44:45], off, off offset:48
	v_cmp_lt_u32_e64 s[0:1], 6, v0
	s_waitcnt vmcnt(0)
	ds_write_b64 v1, v[44:45]
	s_waitcnt lgkmcnt(0)
	; wave barrier
	s_and_saveexec_b64 s[4:5], s[0:1]
	s_cbranch_execz .LBB19_126
; %bb.117:
	s_andn2_b64 vcc, exec, s[6:7]
	s_cbranch_vccnz .LBB19_119
; %bb.118:
	scratch_load_dwordx2 v[44:45], v21, off
	ds_read_b64 v[46:47], v1
	s_waitcnt vmcnt(0) lgkmcnt(0)
	v_mul_f64 v[44:45], v[44:45], v[46:47]
	s_cbranch_execz .LBB19_120
	s_branch .LBB19_121
.LBB19_119:
                                        ; implicit-def: $vgpr44_vgpr45
.LBB19_120:
	ds_read_b64 v[44:45], v1
.LBB19_121:
	s_and_saveexec_b64 s[8:9], s[2:3]
	s_cbranch_execz .LBB19_125
; %bb.122:
	s_mov_b32 s13, 56
	v_add_u32_e32 v46, -7, v0
	s_movk_i32 s14, 0xd8
	s_mov_b64 s[2:3], 0
.LBB19_123:                             ; =>This Inner Loop Header: Depth=1
	scratch_load_dwordx2 v[48:49], off, s13
	v_mov_b32_e32 v47, s14
	ds_read_b64 v[50:51], v47
	v_add_u32_e32 v46, -1, v46
	s_add_i32 s14, s14, 8
	s_add_i32 s13, s13, 8
	v_cmp_eq_u32_e32 vcc, 0, v46
	s_or_b64 s[2:3], vcc, s[2:3]
	s_waitcnt vmcnt(0) lgkmcnt(0)
	v_fmac_f64_e32 v[44:45], v[48:49], v[50:51]
	s_andn2_b64 exec, exec, s[2:3]
	s_cbranch_execnz .LBB19_123
; %bb.124:
	s_or_b64 exec, exec, s[2:3]
.LBB19_125:
	s_or_b64 exec, exec, s[8:9]
	v_mov_b32_e32 v46, 0
	ds_read_b64 v[46:47], v46 offset:48
	s_waitcnt lgkmcnt(0)
	v_mul_f64 v[44:45], v[44:45], v[46:47]
	scratch_store_dwordx2 off, v[44:45], off offset:48
.LBB19_126:
	s_or_b64 exec, exec, s[4:5]
	scratch_load_dwordx2 v[44:45], off, off offset:40
	v_cmp_lt_u32_e64 s[2:3], 5, v0
	s_waitcnt vmcnt(0)
	ds_write_b64 v1, v[44:45]
	s_waitcnt lgkmcnt(0)
	; wave barrier
	s_and_saveexec_b64 s[4:5], s[2:3]
	s_cbranch_execz .LBB19_136
; %bb.127:
	s_andn2_b64 vcc, exec, s[6:7]
	s_cbranch_vccnz .LBB19_129
; %bb.128:
	scratch_load_dwordx2 v[44:45], v21, off
	ds_read_b64 v[46:47], v1
	s_waitcnt vmcnt(0) lgkmcnt(0)
	v_mul_f64 v[44:45], v[44:45], v[46:47]
	s_cbranch_execz .LBB19_130
	s_branch .LBB19_131
.LBB19_129:
                                        ; implicit-def: $vgpr44_vgpr45
.LBB19_130:
	ds_read_b64 v[44:45], v1
.LBB19_131:
	s_and_saveexec_b64 s[8:9], s[0:1]
	s_cbranch_execz .LBB19_135
; %bb.132:
	v_add_u32_e32 v46, -6, v0
	s_movk_i32 s13, 0xd0
	s_mov_b64 s[0:1], 0
.LBB19_133:                             ; =>This Inner Loop Header: Depth=1
	scratch_load_dwordx2 v[48:49], off, s12
	v_mov_b32_e32 v47, s13
	ds_read_b64 v[50:51], v47
	v_add_u32_e32 v46, -1, v46
	s_add_i32 s13, s13, 8
	s_add_i32 s12, s12, 8
	v_cmp_eq_u32_e32 vcc, 0, v46
	s_or_b64 s[0:1], vcc, s[0:1]
	s_waitcnt vmcnt(0) lgkmcnt(0)
	v_fmac_f64_e32 v[44:45], v[48:49], v[50:51]
	s_andn2_b64 exec, exec, s[0:1]
	s_cbranch_execnz .LBB19_133
; %bb.134:
	s_or_b64 exec, exec, s[0:1]
.LBB19_135:
	s_or_b64 exec, exec, s[8:9]
	v_mov_b32_e32 v46, 0
	ds_read_b64 v[46:47], v46 offset:40
	s_waitcnt lgkmcnt(0)
	v_mul_f64 v[44:45], v[44:45], v[46:47]
	scratch_store_dwordx2 off, v[44:45], off offset:40
.LBB19_136:
	s_or_b64 exec, exec, s[4:5]
	scratch_load_dwordx2 v[44:45], off, off offset:32
	v_cmp_lt_u32_e64 s[0:1], 4, v0
	s_waitcnt vmcnt(0)
	ds_write_b64 v1, v[44:45]
	s_waitcnt lgkmcnt(0)
	; wave barrier
	s_and_saveexec_b64 s[4:5], s[0:1]
	s_cbranch_execz .LBB19_146
; %bb.137:
	s_andn2_b64 vcc, exec, s[6:7]
	s_cbranch_vccnz .LBB19_139
; %bb.138:
	scratch_load_dwordx2 v[44:45], v21, off
	ds_read_b64 v[46:47], v1
	s_waitcnt vmcnt(0) lgkmcnt(0)
	v_mul_f64 v[44:45], v[44:45], v[46:47]
	s_cbranch_execz .LBB19_140
	s_branch .LBB19_141
.LBB19_139:
                                        ; implicit-def: $vgpr44_vgpr45
.LBB19_140:
	ds_read_b64 v[44:45], v1
.LBB19_141:
	s_and_saveexec_b64 s[8:9], s[2:3]
	s_cbranch_execz .LBB19_145
; %bb.142:
	s_mov_b32 s12, 40
	v_add_u32_e32 v46, -5, v0
	s_movk_i32 s13, 0xc8
	s_mov_b64 s[2:3], 0
.LBB19_143:                             ; =>This Inner Loop Header: Depth=1
	scratch_load_dwordx2 v[48:49], off, s12
	v_mov_b32_e32 v47, s13
	ds_read_b64 v[50:51], v47
	v_add_u32_e32 v46, -1, v46
	s_add_i32 s13, s13, 8
	s_add_i32 s12, s12, 8
	v_cmp_eq_u32_e32 vcc, 0, v46
	s_or_b64 s[2:3], vcc, s[2:3]
	s_waitcnt vmcnt(0) lgkmcnt(0)
	v_fmac_f64_e32 v[44:45], v[48:49], v[50:51]
	s_andn2_b64 exec, exec, s[2:3]
	s_cbranch_execnz .LBB19_143
; %bb.144:
	s_or_b64 exec, exec, s[2:3]
.LBB19_145:
	s_or_b64 exec, exec, s[8:9]
	v_mov_b32_e32 v46, 0
	ds_read_b64 v[46:47], v46 offset:32
	s_waitcnt lgkmcnt(0)
	v_mul_f64 v[44:45], v[44:45], v[46:47]
	scratch_store_dwordx2 off, v[44:45], off offset:32
.LBB19_146:
	s_or_b64 exec, exec, s[4:5]
	scratch_load_dwordx2 v[44:45], off, off offset:24
	v_cmp_lt_u32_e64 s[2:3], 3, v0
	s_waitcnt vmcnt(0)
	ds_write_b64 v1, v[44:45]
	s_waitcnt lgkmcnt(0)
	; wave barrier
	s_and_saveexec_b64 s[4:5], s[2:3]
	s_cbranch_execz .LBB19_156
; %bb.147:
	s_andn2_b64 vcc, exec, s[6:7]
	s_cbranch_vccnz .LBB19_149
; %bb.148:
	scratch_load_dwordx2 v[44:45], v21, off
	ds_read_b64 v[46:47], v1
	s_waitcnt vmcnt(0) lgkmcnt(0)
	v_mul_f64 v[44:45], v[44:45], v[46:47]
	s_cbranch_execz .LBB19_150
	s_branch .LBB19_151
.LBB19_149:
                                        ; implicit-def: $vgpr44_vgpr45
.LBB19_150:
	ds_read_b64 v[44:45], v1
.LBB19_151:
	s_and_saveexec_b64 s[8:9], s[0:1]
	s_cbranch_execz .LBB19_155
; %bb.152:
	v_add_u32_e32 v46, -4, v0
	s_movk_i32 s12, 0xc0
	s_mov_b64 s[0:1], 0
.LBB19_153:                             ; =>This Inner Loop Header: Depth=1
	scratch_load_dwordx2 v[48:49], off, s11
	v_mov_b32_e32 v47, s12
	ds_read_b64 v[50:51], v47
	v_add_u32_e32 v46, -1, v46
	s_add_i32 s12, s12, 8
	s_add_i32 s11, s11, 8
	v_cmp_eq_u32_e32 vcc, 0, v46
	s_or_b64 s[0:1], vcc, s[0:1]
	s_waitcnt vmcnt(0) lgkmcnt(0)
	v_fmac_f64_e32 v[44:45], v[48:49], v[50:51]
	s_andn2_b64 exec, exec, s[0:1]
	s_cbranch_execnz .LBB19_153
; %bb.154:
	s_or_b64 exec, exec, s[0:1]
.LBB19_155:
	s_or_b64 exec, exec, s[8:9]
	v_mov_b32_e32 v46, 0
	ds_read_b64 v[46:47], v46 offset:24
	s_waitcnt lgkmcnt(0)
	v_mul_f64 v[44:45], v[44:45], v[46:47]
	scratch_store_dwordx2 off, v[44:45], off offset:24
.LBB19_156:
	s_or_b64 exec, exec, s[4:5]
	scratch_load_dwordx2 v[44:45], off, off offset:16
	v_cmp_lt_u32_e64 s[0:1], 2, v0
	s_waitcnt vmcnt(0)
	ds_write_b64 v1, v[44:45]
	s_waitcnt lgkmcnt(0)
	; wave barrier
	s_and_saveexec_b64 s[4:5], s[0:1]
	s_cbranch_execz .LBB19_166
; %bb.157:
	s_andn2_b64 vcc, exec, s[6:7]
	s_cbranch_vccnz .LBB19_159
; %bb.158:
	scratch_load_dwordx2 v[44:45], v21, off
	ds_read_b64 v[46:47], v1
	s_waitcnt vmcnt(0) lgkmcnt(0)
	v_mul_f64 v[44:45], v[44:45], v[46:47]
	s_cbranch_execz .LBB19_160
	s_branch .LBB19_161
.LBB19_159:
                                        ; implicit-def: $vgpr44_vgpr45
.LBB19_160:
	ds_read_b64 v[44:45], v1
.LBB19_161:
	s_and_saveexec_b64 s[8:9], s[2:3]
	s_cbranch_execz .LBB19_165
; %bb.162:
	s_mov_b32 s11, 24
	v_add_u32_e32 v46, -3, v0
	s_movk_i32 s12, 0xb8
	s_mov_b64 s[2:3], 0
.LBB19_163:                             ; =>This Inner Loop Header: Depth=1
	scratch_load_dwordx2 v[48:49], off, s11
	v_mov_b32_e32 v47, s12
	ds_read_b64 v[50:51], v47
	v_add_u32_e32 v46, -1, v46
	s_add_i32 s12, s12, 8
	s_add_i32 s11, s11, 8
	v_cmp_eq_u32_e32 vcc, 0, v46
	s_or_b64 s[2:3], vcc, s[2:3]
	s_waitcnt vmcnt(0) lgkmcnt(0)
	v_fmac_f64_e32 v[44:45], v[48:49], v[50:51]
	s_andn2_b64 exec, exec, s[2:3]
	s_cbranch_execnz .LBB19_163
; %bb.164:
	s_or_b64 exec, exec, s[2:3]
.LBB19_165:
	s_or_b64 exec, exec, s[8:9]
	v_mov_b32_e32 v46, 0
	ds_read_b64 v[46:47], v46 offset:16
	s_waitcnt lgkmcnt(0)
	v_mul_f64 v[44:45], v[44:45], v[46:47]
	scratch_store_dwordx2 off, v[44:45], off offset:16
.LBB19_166:
	s_or_b64 exec, exec, s[4:5]
	scratch_load_dwordx2 v[44:45], off, off offset:8
	v_cmp_lt_u32_e64 s[2:3], 1, v0
	s_waitcnt vmcnt(0)
	ds_write_b64 v1, v[44:45]
	s_waitcnt lgkmcnt(0)
	; wave barrier
	s_and_saveexec_b64 s[4:5], s[2:3]
	s_cbranch_execz .LBB19_176
; %bb.167:
	s_andn2_b64 vcc, exec, s[6:7]
	s_cbranch_vccnz .LBB19_169
; %bb.168:
	scratch_load_dwordx2 v[44:45], v21, off
	ds_read_b64 v[46:47], v1
	s_waitcnt vmcnt(0) lgkmcnt(0)
	v_mul_f64 v[44:45], v[44:45], v[46:47]
	s_cbranch_execz .LBB19_170
	s_branch .LBB19_171
.LBB19_169:
                                        ; implicit-def: $vgpr44_vgpr45
.LBB19_170:
	ds_read_b64 v[44:45], v1
.LBB19_171:
	s_and_saveexec_b64 s[8:9], s[0:1]
	s_cbranch_execz .LBB19_175
; %bb.172:
	v_add_u32_e32 v46, -2, v0
	s_movk_i32 s11, 0xb0
	s_mov_b64 s[0:1], 0
.LBB19_173:                             ; =>This Inner Loop Header: Depth=1
	scratch_load_dwordx2 v[48:49], off, s10
	v_mov_b32_e32 v47, s11
	ds_read_b64 v[50:51], v47
	v_add_u32_e32 v46, -1, v46
	s_add_i32 s11, s11, 8
	s_add_i32 s10, s10, 8
	v_cmp_eq_u32_e32 vcc, 0, v46
	s_or_b64 s[0:1], vcc, s[0:1]
	s_waitcnt vmcnt(0) lgkmcnt(0)
	v_fmac_f64_e32 v[44:45], v[48:49], v[50:51]
	s_andn2_b64 exec, exec, s[0:1]
	s_cbranch_execnz .LBB19_173
; %bb.174:
	s_or_b64 exec, exec, s[0:1]
.LBB19_175:
	s_or_b64 exec, exec, s[8:9]
	v_mov_b32_e32 v46, 0
	ds_read_b64 v[46:47], v46 offset:8
	s_waitcnt lgkmcnt(0)
	v_mul_f64 v[44:45], v[44:45], v[46:47]
	scratch_store_dwordx2 off, v[44:45], off offset:8
.LBB19_176:
	s_or_b64 exec, exec, s[4:5]
	scratch_load_dwordx2 v[44:45], off, off
	v_cmp_ne_u32_e32 vcc, 0, v0
	s_waitcnt vmcnt(0)
	ds_write_b64 v1, v[44:45]
	s_waitcnt lgkmcnt(0)
	; wave barrier
	s_and_saveexec_b64 s[0:1], vcc
	s_cbranch_execz .LBB19_186
; %bb.177:
	s_andn2_b64 vcc, exec, s[6:7]
	s_cbranch_vccnz .LBB19_179
; %bb.178:
	scratch_load_dwordx2 v[44:45], v21, off
	ds_read_b64 v[46:47], v1
	s_waitcnt vmcnt(0) lgkmcnt(0)
	v_mul_f64 v[44:45], v[44:45], v[46:47]
	s_cbranch_execz .LBB19_180
	s_branch .LBB19_181
.LBB19_179:
                                        ; implicit-def: $vgpr44_vgpr45
.LBB19_180:
	ds_read_b64 v[44:45], v1
.LBB19_181:
	s_and_saveexec_b64 s[4:5], s[2:3]
	s_cbranch_execz .LBB19_185
; %bb.182:
	s_or_b32 s8, 0, 8
	v_add_u32_e32 v46, -1, v0
	s_movk_i32 s9, 0xa8
	s_mov_b64 s[2:3], 0
.LBB19_183:                             ; =>This Inner Loop Header: Depth=1
	scratch_load_dwordx2 v[48:49], off, s8
	v_mov_b32_e32 v47, s9
	ds_read_b64 v[50:51], v47
	v_add_u32_e32 v46, -1, v46
	s_add_i32 s9, s9, 8
	s_add_i32 s8, s8, 8
	v_cmp_eq_u32_e32 vcc, 0, v46
	s_or_b64 s[2:3], vcc, s[2:3]
	s_waitcnt vmcnt(0) lgkmcnt(0)
	v_fmac_f64_e32 v[44:45], v[48:49], v[50:51]
	s_andn2_b64 exec, exec, s[2:3]
	s_cbranch_execnz .LBB19_183
; %bb.184:
	s_or_b64 exec, exec, s[2:3]
.LBB19_185:
	s_or_b64 exec, exec, s[4:5]
	v_mov_b32_e32 v46, 0
	ds_read_b64 v[46:47], v46
	s_waitcnt lgkmcnt(0)
	v_mul_f64 v[44:45], v[44:45], v[46:47]
	scratch_store_dwordx2 off, v[44:45], off
.LBB19_186:
	s_or_b64 exec, exec, s[0:1]
	s_mov_b64 s[0:1], 0
.LBB19_187:
	s_and_b64 vcc, exec, s[0:1]
	s_cbranch_vccz .LBB19_369
; %bb.188:
	scratch_load_dwordx2 v[44:45], off, off offset:8
	v_cmp_eq_u32_e64 s[2:3], 0, v0
	s_waitcnt vmcnt(0)
	ds_write_b64 v1, v[44:45]
	s_waitcnt lgkmcnt(0)
	; wave barrier
	s_and_saveexec_b64 s[0:1], s[2:3]
	s_cbranch_execz .LBB19_194
; %bb.189:
	s_and_b64 vcc, exec, s[6:7]
	s_cbranch_vccz .LBB19_191
; %bb.190:
	scratch_load_dwordx2 v[44:45], v21, off
	ds_read_b64 v[46:47], v1
	s_waitcnt vmcnt(0) lgkmcnt(0)
	v_mul_f64 v[44:45], v[44:45], v[46:47]
	s_cbranch_execz .LBB19_192
	s_branch .LBB19_193
.LBB19_191:
                                        ; implicit-def: $vgpr44_vgpr45
.LBB19_192:
	ds_read_b64 v[44:45], v1
.LBB19_193:
	v_mov_b32_e32 v46, 0
	ds_read_b64 v[46:47], v46 offset:8
	s_waitcnt lgkmcnt(0)
	v_mul_f64 v[44:45], v[44:45], v[46:47]
	scratch_store_dwordx2 off, v[44:45], off offset:8
.LBB19_194:
	s_or_b64 exec, exec, s[0:1]
	scratch_load_dwordx2 v[44:45], off, off offset:16
	v_cndmask_b32_e64 v46, 0, 1, s[6:7]
	v_cmp_gt_u32_e32 vcc, 2, v0
	v_cmp_ne_u32_e64 s[0:1], 1, v46
	s_waitcnt vmcnt(0)
	ds_write_b64 v1, v[44:45]
	s_waitcnt lgkmcnt(0)
	; wave barrier
	s_and_saveexec_b64 s[4:5], vcc
	s_cbranch_execz .LBB19_200
; %bb.195:
	s_and_b64 vcc, exec, s[0:1]
	s_cbranch_vccnz .LBB19_197
; %bb.196:
	scratch_load_dwordx2 v[44:45], v21, off
	ds_read_b64 v[46:47], v1
	s_waitcnt vmcnt(0) lgkmcnt(0)
	v_mul_f64 v[44:45], v[44:45], v[46:47]
	s_cbranch_execz .LBB19_198
	s_branch .LBB19_199
.LBB19_197:
                                        ; implicit-def: $vgpr44_vgpr45
.LBB19_198:
	ds_read_b64 v[44:45], v1
.LBB19_199:
	scratch_load_dwordx2 v[50:51], off, off offset:8
	v_mov_b32_e32 v46, 0
	ds_read2_b64 v[46:49], v46 offset0:2 offset1:21
	s_waitcnt vmcnt(0) lgkmcnt(0)
	v_fma_f64 v[48:49], v[50:51], v[48:49], v[44:45]
	v_cndmask_b32_e64 v45, v45, v49, s[2:3]
	v_cndmask_b32_e64 v44, v44, v48, s[2:3]
	v_mul_f64 v[44:45], v[44:45], v[46:47]
	scratch_store_dwordx2 off, v[44:45], off offset:16
.LBB19_200:
	s_or_b64 exec, exec, s[4:5]
	scratch_load_dwordx2 v[44:45], off, off offset:24
	v_cmp_gt_u32_e32 vcc, 3, v0
	s_waitcnt vmcnt(0)
	ds_write_b64 v1, v[44:45]
	s_waitcnt lgkmcnt(0)
	; wave barrier
	s_and_saveexec_b64 s[4:5], vcc
	s_cbranch_execz .LBB19_208
; %bb.201:
	s_and_b64 vcc, exec, s[0:1]
	s_cbranch_vccnz .LBB19_203
; %bb.202:
	scratch_load_dwordx2 v[44:45], v21, off
	ds_read_b64 v[46:47], v1
	s_waitcnt vmcnt(0) lgkmcnt(0)
	v_mul_f64 v[44:45], v[44:45], v[46:47]
	s_cbranch_execz .LBB19_204
	s_branch .LBB19_205
.LBB19_203:
                                        ; implicit-def: $vgpr44_vgpr45
.LBB19_204:
	ds_read_b64 v[44:45], v1
.LBB19_205:
	v_cmp_ne_u32_e32 vcc, 2, v0
	s_and_saveexec_b64 s[6:7], vcc
	s_cbranch_execz .LBB19_207
; %bb.206:
	scratch_load_dwordx2 v[46:47], v21, off offset:8
	scratch_load_dwordx2 v[48:49], off, off offset:16
	ds_read_b64 v[50:51], v1 offset:8
	v_mov_b32_e32 v52, 0
	ds_read_b64 v[52:53], v52 offset:176
	s_waitcnt vmcnt(1) lgkmcnt(1)
	v_fmac_f64_e32 v[44:45], v[46:47], v[50:51]
	s_waitcnt vmcnt(0) lgkmcnt(0)
	v_fma_f64 v[46:47], v[48:49], v[52:53], v[44:45]
	v_cndmask_b32_e64 v45, v45, v47, s[2:3]
	v_cndmask_b32_e64 v44, v44, v46, s[2:3]
.LBB19_207:
	s_or_b64 exec, exec, s[6:7]
	v_mov_b32_e32 v46, 0
	ds_read_b64 v[46:47], v46 offset:24
	s_waitcnt lgkmcnt(0)
	v_mul_f64 v[44:45], v[44:45], v[46:47]
	scratch_store_dwordx2 off, v[44:45], off offset:24
.LBB19_208:
	s_or_b64 exec, exec, s[4:5]
	scratch_load_dwordx2 v[44:45], off, off offset:32
	v_cmp_gt_u32_e32 vcc, 4, v0
	s_waitcnt vmcnt(0)
	ds_write_b64 v1, v[44:45]
	s_waitcnt lgkmcnt(0)
	; wave barrier
	s_and_saveexec_b64 s[2:3], vcc
	s_cbranch_execz .LBB19_218
; %bb.209:
	s_and_b64 vcc, exec, s[0:1]
	s_cbranch_vccnz .LBB19_211
; %bb.210:
	scratch_load_dwordx2 v[44:45], v21, off
	ds_read_b64 v[46:47], v1
	s_waitcnt vmcnt(0) lgkmcnt(0)
	v_mul_f64 v[44:45], v[44:45], v[46:47]
	s_cbranch_execz .LBB19_212
	s_branch .LBB19_213
.LBB19_211:
                                        ; implicit-def: $vgpr44_vgpr45
.LBB19_212:
	ds_read_b64 v[44:45], v1
.LBB19_213:
	v_cmp_ne_u32_e32 vcc, 3, v0
	s_and_saveexec_b64 s[4:5], vcc
	s_cbranch_execz .LBB19_217
; %bb.214:
	s_mov_b32 s6, 0
	v_add_u32_e32 v46, 0xa8, v20
	v_add3_u32 v47, v20, s6, 8
	s_mov_b64 s[6:7], 0
	v_mov_b32_e32 v48, v0
.LBB19_215:                             ; =>This Inner Loop Header: Depth=1
	scratch_load_dwordx2 v[50:51], v47, off
	ds_read_b64 v[52:53], v46
	v_add_u32_e32 v48, 1, v48
	v_cmp_lt_u32_e32 vcc, 2, v48
	v_add_u32_e32 v46, 8, v46
	v_add_u32_e32 v47, 8, v47
	s_or_b64 s[6:7], vcc, s[6:7]
	s_waitcnt vmcnt(0) lgkmcnt(0)
	v_fmac_f64_e32 v[44:45], v[50:51], v[52:53]
	s_andn2_b64 exec, exec, s[6:7]
	s_cbranch_execnz .LBB19_215
; %bb.216:
	s_or_b64 exec, exec, s[6:7]
.LBB19_217:
	s_or_b64 exec, exec, s[4:5]
	v_mov_b32_e32 v46, 0
	ds_read_b64 v[46:47], v46 offset:32
	s_waitcnt lgkmcnt(0)
	v_mul_f64 v[44:45], v[44:45], v[46:47]
	scratch_store_dwordx2 off, v[44:45], off offset:32
.LBB19_218:
	s_or_b64 exec, exec, s[2:3]
	scratch_load_dwordx2 v[44:45], off, off offset:40
	v_cmp_gt_u32_e32 vcc, 5, v0
	s_waitcnt vmcnt(0)
	ds_write_b64 v1, v[44:45]
	s_waitcnt lgkmcnt(0)
	; wave barrier
	s_and_saveexec_b64 s[2:3], vcc
	s_cbranch_execz .LBB19_228
; %bb.219:
	s_and_b64 vcc, exec, s[0:1]
	s_cbranch_vccnz .LBB19_221
; %bb.220:
	scratch_load_dwordx2 v[44:45], v21, off
	ds_read_b64 v[46:47], v1
	s_waitcnt vmcnt(0) lgkmcnt(0)
	v_mul_f64 v[44:45], v[44:45], v[46:47]
	s_cbranch_execz .LBB19_222
	s_branch .LBB19_223
.LBB19_221:
                                        ; implicit-def: $vgpr44_vgpr45
.LBB19_222:
	ds_read_b64 v[44:45], v1
.LBB19_223:
	v_cmp_ne_u32_e32 vcc, 4, v0
	s_and_saveexec_b64 s[4:5], vcc
	s_cbranch_execz .LBB19_227
; %bb.224:
	s_mov_b32 s6, 0
	v_add_u32_e32 v46, 0xa8, v20
	v_add3_u32 v47, v20, s6, 8
	s_mov_b64 s[6:7], 0
	v_mov_b32_e32 v48, v0
.LBB19_225:                             ; =>This Inner Loop Header: Depth=1
	scratch_load_dwordx2 v[50:51], v47, off
	ds_read_b64 v[52:53], v46
	v_add_u32_e32 v48, 1, v48
	v_cmp_lt_u32_e32 vcc, 3, v48
	v_add_u32_e32 v46, 8, v46
	v_add_u32_e32 v47, 8, v47
	s_or_b64 s[6:7], vcc, s[6:7]
	s_waitcnt vmcnt(0) lgkmcnt(0)
	v_fmac_f64_e32 v[44:45], v[50:51], v[52:53]
	s_andn2_b64 exec, exec, s[6:7]
	s_cbranch_execnz .LBB19_225
; %bb.226:
	s_or_b64 exec, exec, s[6:7]
.LBB19_227:
	s_or_b64 exec, exec, s[4:5]
	v_mov_b32_e32 v46, 0
	ds_read_b64 v[46:47], v46 offset:40
	s_waitcnt lgkmcnt(0)
	v_mul_f64 v[44:45], v[44:45], v[46:47]
	scratch_store_dwordx2 off, v[44:45], off offset:40
.LBB19_228:
	;; [unrolled: 55-line block ×14, first 2 shown]
	s_or_b64 exec, exec, s[2:3]
	scratch_load_dwordx2 v[44:45], off, off offset:144
	v_cmp_gt_u32_e64 s[2:3], 18, v0
	s_waitcnt vmcnt(0)
	ds_write_b64 v1, v[44:45]
	s_waitcnt lgkmcnt(0)
	; wave barrier
	s_and_saveexec_b64 s[4:5], s[2:3]
	s_cbranch_execz .LBB19_358
; %bb.349:
	s_and_b64 vcc, exec, s[0:1]
	s_cbranch_vccnz .LBB19_351
; %bb.350:
	scratch_load_dwordx2 v[44:45], v21, off
	ds_read_b64 v[46:47], v1
	s_waitcnt vmcnt(0) lgkmcnt(0)
	v_mul_f64 v[44:45], v[44:45], v[46:47]
	s_cbranch_execz .LBB19_352
	s_branch .LBB19_353
.LBB19_351:
                                        ; implicit-def: $vgpr44_vgpr45
.LBB19_352:
	ds_read_b64 v[44:45], v1
.LBB19_353:
	v_cmp_ne_u32_e32 vcc, 17, v0
	s_and_saveexec_b64 s[6:7], vcc
	s_cbranch_execz .LBB19_357
; %bb.354:
	s_mov_b32 s8, 0
	v_add_u32_e32 v46, 0xa8, v20
	v_add3_u32 v47, v20, s8, 8
	s_mov_b64 s[8:9], 0
	v_mov_b32_e32 v48, v0
.LBB19_355:                             ; =>This Inner Loop Header: Depth=1
	scratch_load_dwordx2 v[50:51], v47, off
	ds_read_b64 v[52:53], v46
	v_add_u32_e32 v48, 1, v48
	v_cmp_lt_u32_e32 vcc, 16, v48
	v_add_u32_e32 v46, 8, v46
	v_add_u32_e32 v47, 8, v47
	s_or_b64 s[8:9], vcc, s[8:9]
	s_waitcnt vmcnt(0) lgkmcnt(0)
	v_fmac_f64_e32 v[44:45], v[50:51], v[52:53]
	s_andn2_b64 exec, exec, s[8:9]
	s_cbranch_execnz .LBB19_355
; %bb.356:
	s_or_b64 exec, exec, s[8:9]
.LBB19_357:
	s_or_b64 exec, exec, s[6:7]
	v_mov_b32_e32 v46, 0
	ds_read_b64 v[46:47], v46 offset:144
	s_waitcnt lgkmcnt(0)
	v_mul_f64 v[44:45], v[44:45], v[46:47]
	scratch_store_dwordx2 off, v[44:45], off offset:144
.LBB19_358:
	s_or_b64 exec, exec, s[4:5]
	scratch_load_dwordx2 v[44:45], off, off offset:152
	v_cmp_ne_u32_e32 vcc, 19, v0
	s_waitcnt vmcnt(0)
	ds_write_b64 v1, v[44:45]
	s_waitcnt lgkmcnt(0)
	; wave barrier
	s_and_saveexec_b64 s[4:5], vcc
	s_cbranch_execz .LBB19_368
; %bb.359:
	s_and_b64 vcc, exec, s[0:1]
	s_cbranch_vccnz .LBB19_361
; %bb.360:
	scratch_load_dwordx2 v[44:45], v21, off
	ds_read_b64 v[46:47], v1
	s_waitcnt vmcnt(0) lgkmcnt(0)
	v_mul_f64 v[44:45], v[44:45], v[46:47]
	s_cbranch_execz .LBB19_362
	s_branch .LBB19_363
.LBB19_361:
                                        ; implicit-def: $vgpr44_vgpr45
.LBB19_362:
	ds_read_b64 v[44:45], v1
.LBB19_363:
	s_and_saveexec_b64 s[0:1], s[2:3]
	s_cbranch_execz .LBB19_367
; %bb.364:
	s_mov_b32 s2, 0
	v_add_u32_e32 v1, 0xa8, v20
	v_add3_u32 v20, v20, s2, 8
	s_mov_b64 s[2:3], 0
.LBB19_365:                             ; =>This Inner Loop Header: Depth=1
	scratch_load_dwordx2 v[46:47], v20, off
	ds_read_b64 v[48:49], v1
	v_add_u32_e32 v0, 1, v0
	v_cmp_lt_u32_e32 vcc, 17, v0
	v_add_u32_e32 v1, 8, v1
	v_add_u32_e32 v20, 8, v20
	s_or_b64 s[2:3], vcc, s[2:3]
	s_waitcnt vmcnt(0) lgkmcnt(0)
	v_fmac_f64_e32 v[44:45], v[46:47], v[48:49]
	s_andn2_b64 exec, exec, s[2:3]
	s_cbranch_execnz .LBB19_365
; %bb.366:
	s_or_b64 exec, exec, s[2:3]
.LBB19_367:
	s_or_b64 exec, exec, s[0:1]
	v_mov_b32_e32 v0, 0
	ds_read_b64 v[0:1], v0 offset:152
	s_waitcnt lgkmcnt(0)
	v_mul_f64 v[0:1], v[44:45], v[0:1]
	scratch_store_dwordx2 off, v[0:1], off offset:152
.LBB19_368:
	s_or_b64 exec, exec, s[4:5]
.LBB19_369:
	scratch_load_dwordx4 v[44:47], off, off
	s_waitcnt vmcnt(0)
	global_store_dwordx2 v[2:3], v[44:45], off
	global_store_dwordx2 v[4:5], v[46:47], off
	scratch_load_dwordx4 v[0:3], off, off offset:16
	s_waitcnt vmcnt(0)
	global_store_dwordx2 v[6:7], v[0:1], off
	global_store_dwordx2 v[8:9], v[2:3], off
	scratch_load_dwordx4 v[0:3], off, off offset:32
	;; [unrolled: 4-line block ×9, first 2 shown]
	s_waitcnt vmcnt(0)
	global_store_dwordx2 v[34:35], v[0:1], off
	global_store_dwordx2 v[38:39], v[2:3], off
.LBB19_370:
	s_endpgm
	.section	.rodata,"a",@progbits
	.p2align	6, 0x0
	.amdhsa_kernel _ZN9rocsolver6v33100L18trti2_kernel_smallILi20EdPdEEv13rocblas_fill_17rocblas_diagonal_T1_iil
		.amdhsa_group_segment_fixed_size 320
		.amdhsa_private_segment_fixed_size 176
		.amdhsa_kernarg_size 32
		.amdhsa_user_sgpr_count 2
		.amdhsa_user_sgpr_dispatch_ptr 0
		.amdhsa_user_sgpr_queue_ptr 0
		.amdhsa_user_sgpr_kernarg_segment_ptr 1
		.amdhsa_user_sgpr_dispatch_id 0
		.amdhsa_user_sgpr_kernarg_preload_length 0
		.amdhsa_user_sgpr_kernarg_preload_offset 0
		.amdhsa_user_sgpr_private_segment_size 0
		.amdhsa_uses_dynamic_stack 0
		.amdhsa_enable_private_segment 1
		.amdhsa_system_sgpr_workgroup_id_x 1
		.amdhsa_system_sgpr_workgroup_id_y 0
		.amdhsa_system_sgpr_workgroup_id_z 0
		.amdhsa_system_sgpr_workgroup_info 0
		.amdhsa_system_vgpr_workitem_id 0
		.amdhsa_next_free_vgpr 54
		.amdhsa_next_free_sgpr 20
		.amdhsa_accum_offset 56
		.amdhsa_reserve_vcc 1
		.amdhsa_float_round_mode_32 0
		.amdhsa_float_round_mode_16_64 0
		.amdhsa_float_denorm_mode_32 3
		.amdhsa_float_denorm_mode_16_64 3
		.amdhsa_dx10_clamp 1
		.amdhsa_ieee_mode 1
		.amdhsa_fp16_overflow 0
		.amdhsa_tg_split 0
		.amdhsa_exception_fp_ieee_invalid_op 0
		.amdhsa_exception_fp_denorm_src 0
		.amdhsa_exception_fp_ieee_div_zero 0
		.amdhsa_exception_fp_ieee_overflow 0
		.amdhsa_exception_fp_ieee_underflow 0
		.amdhsa_exception_fp_ieee_inexact 0
		.amdhsa_exception_int_div_zero 0
	.end_amdhsa_kernel
	.section	.text._ZN9rocsolver6v33100L18trti2_kernel_smallILi20EdPdEEv13rocblas_fill_17rocblas_diagonal_T1_iil,"axG",@progbits,_ZN9rocsolver6v33100L18trti2_kernel_smallILi20EdPdEEv13rocblas_fill_17rocblas_diagonal_T1_iil,comdat
.Lfunc_end19:
	.size	_ZN9rocsolver6v33100L18trti2_kernel_smallILi20EdPdEEv13rocblas_fill_17rocblas_diagonal_T1_iil, .Lfunc_end19-_ZN9rocsolver6v33100L18trti2_kernel_smallILi20EdPdEEv13rocblas_fill_17rocblas_diagonal_T1_iil
                                        ; -- End function
	.set _ZN9rocsolver6v33100L18trti2_kernel_smallILi20EdPdEEv13rocblas_fill_17rocblas_diagonal_T1_iil.num_vgpr, 54
	.set _ZN9rocsolver6v33100L18trti2_kernel_smallILi20EdPdEEv13rocblas_fill_17rocblas_diagonal_T1_iil.num_agpr, 0
	.set _ZN9rocsolver6v33100L18trti2_kernel_smallILi20EdPdEEv13rocblas_fill_17rocblas_diagonal_T1_iil.numbered_sgpr, 20
	.set _ZN9rocsolver6v33100L18trti2_kernel_smallILi20EdPdEEv13rocblas_fill_17rocblas_diagonal_T1_iil.num_named_barrier, 0
	.set _ZN9rocsolver6v33100L18trti2_kernel_smallILi20EdPdEEv13rocblas_fill_17rocblas_diagonal_T1_iil.private_seg_size, 176
	.set _ZN9rocsolver6v33100L18trti2_kernel_smallILi20EdPdEEv13rocblas_fill_17rocblas_diagonal_T1_iil.uses_vcc, 1
	.set _ZN9rocsolver6v33100L18trti2_kernel_smallILi20EdPdEEv13rocblas_fill_17rocblas_diagonal_T1_iil.uses_flat_scratch, 0
	.set _ZN9rocsolver6v33100L18trti2_kernel_smallILi20EdPdEEv13rocblas_fill_17rocblas_diagonal_T1_iil.has_dyn_sized_stack, 0
	.set _ZN9rocsolver6v33100L18trti2_kernel_smallILi20EdPdEEv13rocblas_fill_17rocblas_diagonal_T1_iil.has_recursion, 0
	.set _ZN9rocsolver6v33100L18trti2_kernel_smallILi20EdPdEEv13rocblas_fill_17rocblas_diagonal_T1_iil.has_indirect_call, 0
	.section	.AMDGPU.csdata,"",@progbits
; Kernel info:
; codeLenInByte = 9236
; TotalNumSgprs: 26
; NumVgprs: 54
; NumAgprs: 0
; TotalNumVgprs: 54
; ScratchSize: 176
; MemoryBound: 0
; FloatMode: 240
; IeeeMode: 1
; LDSByteSize: 320 bytes/workgroup (compile time only)
; SGPRBlocks: 3
; VGPRBlocks: 6
; NumSGPRsForWavesPerEU: 26
; NumVGPRsForWavesPerEU: 54
; AccumOffset: 56
; Occupancy: 8
; WaveLimiterHint : 0
; COMPUTE_PGM_RSRC2:SCRATCH_EN: 1
; COMPUTE_PGM_RSRC2:USER_SGPR: 2
; COMPUTE_PGM_RSRC2:TRAP_HANDLER: 0
; COMPUTE_PGM_RSRC2:TGID_X_EN: 1
; COMPUTE_PGM_RSRC2:TGID_Y_EN: 0
; COMPUTE_PGM_RSRC2:TGID_Z_EN: 0
; COMPUTE_PGM_RSRC2:TIDIG_COMP_CNT: 0
; COMPUTE_PGM_RSRC3_GFX90A:ACCUM_OFFSET: 13
; COMPUTE_PGM_RSRC3_GFX90A:TG_SPLIT: 0
	.section	.text._ZN9rocsolver6v33100L18trti2_kernel_smallILi21EdPdEEv13rocblas_fill_17rocblas_diagonal_T1_iil,"axG",@progbits,_ZN9rocsolver6v33100L18trti2_kernel_smallILi21EdPdEEv13rocblas_fill_17rocblas_diagonal_T1_iil,comdat
	.globl	_ZN9rocsolver6v33100L18trti2_kernel_smallILi21EdPdEEv13rocblas_fill_17rocblas_diagonal_T1_iil ; -- Begin function _ZN9rocsolver6v33100L18trti2_kernel_smallILi21EdPdEEv13rocblas_fill_17rocblas_diagonal_T1_iil
	.p2align	8
	.type	_ZN9rocsolver6v33100L18trti2_kernel_smallILi21EdPdEEv13rocblas_fill_17rocblas_diagonal_T1_iil,@function
_ZN9rocsolver6v33100L18trti2_kernel_smallILi21EdPdEEv13rocblas_fill_17rocblas_diagonal_T1_iil: ; @_ZN9rocsolver6v33100L18trti2_kernel_smallILi21EdPdEEv13rocblas_fill_17rocblas_diagonal_T1_iil
; %bb.0:
	v_cmp_gt_u32_e32 vcc, 21, v0
	s_and_saveexec_b64 s[4:5], vcc
	s_cbranch_execz .LBB20_390
; %bb.1:
	s_load_dwordx8 s[4:11], s[0:1], 0x0
	s_ashr_i32 s3, s2, 31
	v_lshlrev_b32_e32 v20, 3, v0
	v_mov_b32_e32 v21, 0
	s_waitcnt lgkmcnt(0)
	s_ashr_i32 s1, s8, 31
	s_mov_b32 s0, s8
	s_mul_hi_u32 s8, s10, s2
	s_mul_i32 s3, s10, s3
	s_add_i32 s3, s8, s3
	s_mul_i32 s8, s11, s2
	s_add_i32 s3, s3, s8
	s_mul_i32 s2, s10, s2
	s_lshl_b64 s[2:3], s[2:3], 3
	s_add_u32 s2, s6, s2
	s_addc_u32 s3, s7, s3
	s_lshl_b64 s[0:1], s[0:1], 3
	s_add_u32 s0, s2, s0
	s_addc_u32 s1, s3, s1
	v_lshl_add_u64 v[2:3], s[0:1], 0, v[20:21]
	s_ashr_i32 s3, s9, 31
	s_mov_b32 s2, s9
	v_lshl_add_u64 v[4:5], s[2:3], 3, v[2:3]
	global_load_dwordx2 v[6:7], v20, s[0:1]
	global_load_dwordx2 v[8:9], v[4:5], off
	s_add_i32 s2, s9, s9
	s_cmpk_lg_i32 s5, 0x84
	s_cselect_b64 s[6:7], -1, 0
	s_cmpk_eq_i32 s5, 0x84
	s_waitcnt vmcnt(0)
	scratch_store_dwordx4 off, v[6:9], off
	s_nop 1
	v_add_u32_e32 v8, s2, v0
	v_add_u32_e32 v10, s9, v8
	v_ashrrev_i32_e32 v9, 31, v8
	v_ashrrev_i32_e32 v11, 31, v10
	v_lshl_add_u64 v[6:7], v[8:9], 3, s[0:1]
	v_lshl_add_u64 v[8:9], v[10:11], 3, s[0:1]
	global_load_dwordx2 v[12:13], v[6:7], off
	global_load_dwordx2 v[14:15], v[8:9], off
	s_waitcnt vmcnt(0)
	scratch_store_dwordx4 off, v[12:15], off offset:16
	s_nop 1
	v_add_u32_e32 v12, s9, v10
	v_add_u32_e32 v14, s9, v12
	v_ashrrev_i32_e32 v13, 31, v12
	v_ashrrev_i32_e32 v15, 31, v14
	v_lshl_add_u64 v[10:11], v[12:13], 3, s[0:1]
	v_lshl_add_u64 v[12:13], v[14:15], 3, s[0:1]
	global_load_dwordx2 v[16:17], v[10:11], off
	global_load_dwordx2 v[18:19], v[12:13], off
	s_waitcnt vmcnt(0)
	scratch_store_dwordx4 off, v[16:19], off offset:32
	s_nop 1
	v_add_u32_e32 v16, s9, v14
	v_add_u32_e32 v18, s9, v16
	v_ashrrev_i32_e32 v17, 31, v16
	v_ashrrev_i32_e32 v19, 31, v18
	v_lshl_add_u64 v[14:15], v[16:17], 3, s[0:1]
	v_lshl_add_u64 v[16:17], v[18:19], 3, s[0:1]
	global_load_dwordx2 v[22:23], v[14:15], off
	global_load_dwordx2 v[24:25], v[16:17], off
	s_waitcnt vmcnt(0)
	scratch_store_dwordx4 off, v[22:25], off offset:48
	s_nop 1
	v_add_u32_e32 v22, s9, v18
	v_add_u32_e32 v24, s9, v22
	v_ashrrev_i32_e32 v23, 31, v22
	v_ashrrev_i32_e32 v25, 31, v24
	v_lshl_add_u64 v[18:19], v[22:23], 3, s[0:1]
	v_lshl_add_u64 v[22:23], v[24:25], 3, s[0:1]
	global_load_dwordx2 v[26:27], v[18:19], off
	global_load_dwordx2 v[28:29], v[22:23], off
	s_waitcnt vmcnt(0)
	scratch_store_dwordx4 off, v[26:29], off offset:64
	s_nop 1
	v_add_u32_e32 v26, s9, v24
	v_add_u32_e32 v28, s9, v26
	v_ashrrev_i32_e32 v27, 31, v26
	v_ashrrev_i32_e32 v29, 31, v28
	v_lshl_add_u64 v[24:25], v[26:27], 3, s[0:1]
	v_lshl_add_u64 v[26:27], v[28:29], 3, s[0:1]
	global_load_dwordx2 v[30:31], v[24:25], off
	global_load_dwordx2 v[32:33], v[26:27], off
	s_waitcnt vmcnt(0)
	scratch_store_dwordx4 off, v[30:33], off offset:80
	s_nop 1
	v_add_u32_e32 v30, s9, v28
	v_add_u32_e32 v32, s9, v30
	v_ashrrev_i32_e32 v31, 31, v30
	v_ashrrev_i32_e32 v33, 31, v32
	v_lshl_add_u64 v[28:29], v[30:31], 3, s[0:1]
	v_lshl_add_u64 v[30:31], v[32:33], 3, s[0:1]
	global_load_dwordx2 v[34:35], v[28:29], off
	global_load_dwordx2 v[36:37], v[30:31], off
	s_waitcnt vmcnt(0)
	scratch_store_dwordx4 off, v[34:37], off offset:96
	s_nop 1
	v_add_u32_e32 v34, s9, v32
	v_add_u32_e32 v36, s9, v34
	v_ashrrev_i32_e32 v35, 31, v34
	v_ashrrev_i32_e32 v37, 31, v36
	v_lshl_add_u64 v[32:33], v[34:35], 3, s[0:1]
	v_lshl_add_u64 v[34:35], v[36:37], 3, s[0:1]
	global_load_dwordx2 v[38:39], v[32:33], off
	global_load_dwordx2 v[40:41], v[34:35], off
	s_waitcnt vmcnt(0)
	scratch_store_dwordx4 off, v[38:41], off offset:112
	s_nop 1
	v_add_u32_e32 v38, s9, v36
	v_ashrrev_i32_e32 v39, 31, v38
	v_lshl_add_u64 v[36:37], v[38:39], 3, s[0:1]
	v_add_u32_e32 v38, s9, v38
	v_ashrrev_i32_e32 v39, 31, v38
	v_lshl_add_u64 v[40:41], v[38:39], 3, s[0:1]
	global_load_dwordx2 v[42:43], v[36:37], off
	global_load_dwordx2 v[44:45], v[40:41], off
	v_add_u32_e32 v38, s9, v38
	v_ashrrev_i32_e32 v39, 31, v38
	s_waitcnt vmcnt(0)
	scratch_store_dwordx4 off, v[42:45], off offset:128
	s_nop 1
	v_lshl_add_u64 v[42:43], v[38:39], 3, s[0:1]
	v_add_u32_e32 v38, s9, v38
	v_ashrrev_i32_e32 v39, 31, v38
	v_lshl_add_u64 v[44:45], v[38:39], 3, s[0:1]
	global_load_dwordx2 v[46:47], v[42:43], off
	global_load_dwordx2 v[48:49], v[44:45], off
	v_add_u32_e32 v38, s9, v38
	v_ashrrev_i32_e32 v39, 31, v38
	v_lshl_add_u64 v[38:39], v[38:39], 3, s[0:1]
	s_waitcnt vmcnt(0)
	scratch_store_dwordx4 off, v[46:49], off offset:144
	global_load_dwordx2 v[46:47], v[38:39], off
	s_waitcnt vmcnt(0)
	scratch_store_dwordx2 off, v[46:47], off offset:160
	v_mov_b64_e32 v[46:47], -1.0
	s_cbranch_scc1 .LBB20_3
; %bb.2:
	scratch_load_dwordx2 v[46:47], v20, off
	s_waitcnt vmcnt(0)
	v_div_scale_f64 v[48:49], s[0:1], v[46:47], v[46:47], 1.0
	v_rcp_f64_e32 v[50:51], v[48:49]
	v_div_scale_f64 v[52:53], vcc, 1.0, v[46:47], 1.0
	v_fma_f64 v[54:55], -v[48:49], v[50:51], 1.0
	v_fmac_f64_e32 v[50:51], v[50:51], v[54:55]
	v_fma_f64 v[54:55], -v[48:49], v[50:51], 1.0
	v_fmac_f64_e32 v[50:51], v[50:51], v[54:55]
	v_mul_f64 v[54:55], v[52:53], v[50:51]
	v_fma_f64 v[48:49], -v[48:49], v[54:55], v[52:53]
	v_div_fmas_f64 v[48:49], v[48:49], v[50:51], v[54:55]
	v_div_fixup_f64 v[46:47], v[48:49], v[46:47], 1.0
	scratch_store_dwordx2 v20, v[46:47], off
	v_xor_b32_e32 v47, 0x80000000, v47
.LBB20_3:
	s_cmpk_eq_i32 s4, 0x79
	v_add_u32_e32 v1, 0xb0, v20
	v_mov_b32_e32 v21, v20
	s_mov_b64 s[0:1], -1
	ds_write_b64 v20, v[46:47]
	s_cbranch_scc1 .LBB20_197
; %bb.4:
	scratch_load_dwordx2 v[46:47], off, off offset:152
	s_movk_i32 s8, 0x50
	s_movk_i32 s9, 0x60
	s_movk_i32 s16, 0x70
	s_movk_i32 s17, 0x80
	s_movk_i32 s18, 0x90
	v_cmp_eq_u32_e64 s[0:1], 20, v0
	s_waitcnt vmcnt(0)
	ds_write_b64 v1, v[46:47]
	s_waitcnt lgkmcnt(0)
	; wave barrier
	s_and_saveexec_b64 s[2:3], s[0:1]
	s_cbranch_execz .LBB20_10
; %bb.5:
	s_and_b64 vcc, exec, s[6:7]
	s_cbranch_vccz .LBB20_7
; %bb.6:
	scratch_load_dwordx2 v[46:47], v21, off
	ds_read_b64 v[48:49], v1
	s_waitcnt vmcnt(0) lgkmcnt(0)
	v_mul_f64 v[46:47], v[46:47], v[48:49]
	s_cbranch_execz .LBB20_8
	s_branch .LBB20_9
.LBB20_7:
                                        ; implicit-def: $vgpr46_vgpr47
.LBB20_8:
	ds_read_b64 v[46:47], v1
.LBB20_9:
	v_mov_b32_e32 v48, 0
	ds_read_b64 v[48:49], v48 offset:152
	s_waitcnt lgkmcnt(0)
	v_mul_f64 v[46:47], v[46:47], v[48:49]
	scratch_store_dwordx2 off, v[46:47], off offset:152
.LBB20_10:
	s_or_b64 exec, exec, s[2:3]
	scratch_load_dwordx2 v[46:47], off, off offset:144
	s_mov_b32 s10, 16
	s_mov_b32 s11, 32
	;; [unrolled: 1-line block ×6, first 2 shown]
	v_cmp_lt_u32_e64 s[4:5], 18, v0
	s_waitcnt vmcnt(0)
	ds_write_b64 v1, v[46:47]
	s_waitcnt lgkmcnt(0)
	; wave barrier
	s_and_saveexec_b64 s[2:3], s[4:5]
	s_cbranch_execz .LBB20_16
; %bb.11:
	s_andn2_b64 vcc, exec, s[6:7]
	s_cbranch_vccnz .LBB20_13
; %bb.12:
	scratch_load_dwordx2 v[46:47], v21, off
	ds_read_b64 v[48:49], v1
	s_waitcnt vmcnt(0) lgkmcnt(0)
	v_mul_f64 v[46:47], v[46:47], v[48:49]
	s_cbranch_execz .LBB20_14
	s_branch .LBB20_15
.LBB20_13:
                                        ; implicit-def: $vgpr46_vgpr47
.LBB20_14:
	ds_read_b64 v[46:47], v1
.LBB20_15:
	scratch_load_dwordx2 v[52:53], off, off offset:152
	v_mov_b32_e32 v48, 0
	ds_read2_b64 v[48:51], v48 offset0:18 offset1:41
	s_waitcnt vmcnt(0) lgkmcnt(0)
	v_fma_f64 v[50:51], v[52:53], v[50:51], v[46:47]
	v_cndmask_b32_e64 v47, v47, v51, s[0:1]
	v_cndmask_b32_e64 v46, v46, v50, s[0:1]
	v_mul_f64 v[46:47], v[46:47], v[48:49]
	scratch_store_dwordx2 off, v[46:47], off offset:144
.LBB20_16:
	s_or_b64 exec, exec, s[2:3]
	scratch_load_dwordx2 v[46:47], off, off offset:136
	v_cmp_lt_u32_e64 s[2:3], 17, v0
	s_waitcnt vmcnt(0)
	ds_write_b64 v1, v[46:47]
	s_waitcnt lgkmcnt(0)
	; wave barrier
	s_and_saveexec_b64 s[0:1], s[2:3]
	s_cbranch_execz .LBB20_26
; %bb.17:
	s_andn2_b64 vcc, exec, s[6:7]
	s_cbranch_vccnz .LBB20_19
; %bb.18:
	scratch_load_dwordx2 v[46:47], v21, off
	ds_read_b64 v[48:49], v1
	s_waitcnt vmcnt(0) lgkmcnt(0)
	v_mul_f64 v[46:47], v[46:47], v[48:49]
	s_cbranch_execz .LBB20_20
	s_branch .LBB20_21
.LBB20_19:
                                        ; implicit-def: $vgpr46_vgpr47
.LBB20_20:
	ds_read_b64 v[46:47], v1
.LBB20_21:
	s_and_saveexec_b64 s[8:9], s[4:5]
	s_cbranch_execz .LBB20_25
; %bb.22:
	v_subrev_u32_e32 v48, 18, v0
	s_movk_i32 s19, 0x140
	s_mov_b64 s[4:5], 0
.LBB20_23:                              ; =>This Inner Loop Header: Depth=1
	scratch_load_dwordx2 v[50:51], off, s18
	v_mov_b32_e32 v49, s19
	ds_read_b64 v[52:53], v49
	v_add_u32_e32 v48, -1, v48
	s_add_i32 s19, s19, 8
	s_add_i32 s18, s18, 8
	v_cmp_eq_u32_e32 vcc, 0, v48
	s_or_b64 s[4:5], vcc, s[4:5]
	s_waitcnt vmcnt(0) lgkmcnt(0)
	v_fmac_f64_e32 v[46:47], v[50:51], v[52:53]
	s_andn2_b64 exec, exec, s[4:5]
	s_cbranch_execnz .LBB20_23
; %bb.24:
	s_or_b64 exec, exec, s[4:5]
.LBB20_25:
	s_or_b64 exec, exec, s[8:9]
	v_mov_b32_e32 v48, 0
	ds_read_b64 v[48:49], v48 offset:136
	s_waitcnt lgkmcnt(0)
	v_mul_f64 v[46:47], v[46:47], v[48:49]
	scratch_store_dwordx2 off, v[46:47], off offset:136
.LBB20_26:
	s_or_b64 exec, exec, s[0:1]
	scratch_load_dwordx2 v[46:47], off, off offset:128
	v_cmp_lt_u32_e64 s[0:1], 16, v0
	s_waitcnt vmcnt(0)
	ds_write_b64 v1, v[46:47]
	s_waitcnt lgkmcnt(0)
	; wave barrier
	s_and_saveexec_b64 s[4:5], s[0:1]
	s_cbranch_execz .LBB20_36
; %bb.27:
	s_andn2_b64 vcc, exec, s[6:7]
	s_cbranch_vccnz .LBB20_29
; %bb.28:
	scratch_load_dwordx2 v[46:47], v21, off
	ds_read_b64 v[48:49], v1
	s_waitcnt vmcnt(0) lgkmcnt(0)
	v_mul_f64 v[46:47], v[46:47], v[48:49]
	s_cbranch_execz .LBB20_30
	s_branch .LBB20_31
.LBB20_29:
                                        ; implicit-def: $vgpr46_vgpr47
.LBB20_30:
	ds_read_b64 v[46:47], v1
.LBB20_31:
	s_and_saveexec_b64 s[8:9], s[2:3]
	s_cbranch_execz .LBB20_35
; %bb.32:
	s_movk_i32 s18, 0x88
	v_subrev_u32_e32 v48, 17, v0
	s_movk_i32 s19, 0x138
	s_mov_b64 s[2:3], 0
.LBB20_33:                              ; =>This Inner Loop Header: Depth=1
	scratch_load_dwordx2 v[50:51], off, s18
	v_mov_b32_e32 v49, s19
	ds_read_b64 v[52:53], v49
	v_add_u32_e32 v48, -1, v48
	s_add_i32 s19, s19, 8
	s_add_i32 s18, s18, 8
	v_cmp_eq_u32_e32 vcc, 0, v48
	s_or_b64 s[2:3], vcc, s[2:3]
	s_waitcnt vmcnt(0) lgkmcnt(0)
	v_fmac_f64_e32 v[46:47], v[50:51], v[52:53]
	s_andn2_b64 exec, exec, s[2:3]
	s_cbranch_execnz .LBB20_33
; %bb.34:
	s_or_b64 exec, exec, s[2:3]
.LBB20_35:
	s_or_b64 exec, exec, s[8:9]
	v_mov_b32_e32 v48, 0
	ds_read_b64 v[48:49], v48 offset:128
	s_waitcnt lgkmcnt(0)
	v_mul_f64 v[46:47], v[46:47], v[48:49]
	scratch_store_dwordx2 off, v[46:47], off offset:128
.LBB20_36:
	s_or_b64 exec, exec, s[4:5]
	scratch_load_dwordx2 v[46:47], off, off offset:120
	v_cmp_lt_u32_e64 s[2:3], 15, v0
	s_waitcnt vmcnt(0)
	ds_write_b64 v1, v[46:47]
	s_waitcnt lgkmcnt(0)
	; wave barrier
	s_and_saveexec_b64 s[4:5], s[2:3]
	s_cbranch_execz .LBB20_46
; %bb.37:
	s_andn2_b64 vcc, exec, s[6:7]
	s_cbranch_vccnz .LBB20_39
; %bb.38:
	scratch_load_dwordx2 v[46:47], v21, off
	ds_read_b64 v[48:49], v1
	s_waitcnt vmcnt(0) lgkmcnt(0)
	v_mul_f64 v[46:47], v[46:47], v[48:49]
	s_cbranch_execz .LBB20_40
	s_branch .LBB20_41
.LBB20_39:
                                        ; implicit-def: $vgpr46_vgpr47
.LBB20_40:
	ds_read_b64 v[46:47], v1
.LBB20_41:
	s_and_saveexec_b64 s[8:9], s[0:1]
	s_cbranch_execz .LBB20_45
; %bb.42:
	v_add_u32_e32 v48, -16, v0
	s_movk_i32 s18, 0x130
	s_mov_b64 s[0:1], 0
.LBB20_43:                              ; =>This Inner Loop Header: Depth=1
	scratch_load_dwordx2 v[50:51], off, s17
	v_mov_b32_e32 v49, s18
	ds_read_b64 v[52:53], v49
	v_add_u32_e32 v48, -1, v48
	s_add_i32 s18, s18, 8
	s_add_i32 s17, s17, 8
	v_cmp_eq_u32_e32 vcc, 0, v48
	s_or_b64 s[0:1], vcc, s[0:1]
	s_waitcnt vmcnt(0) lgkmcnt(0)
	v_fmac_f64_e32 v[46:47], v[50:51], v[52:53]
	s_andn2_b64 exec, exec, s[0:1]
	s_cbranch_execnz .LBB20_43
; %bb.44:
	s_or_b64 exec, exec, s[0:1]
.LBB20_45:
	s_or_b64 exec, exec, s[8:9]
	v_mov_b32_e32 v48, 0
	ds_read_b64 v[48:49], v48 offset:120
	s_waitcnt lgkmcnt(0)
	v_mul_f64 v[46:47], v[46:47], v[48:49]
	scratch_store_dwordx2 off, v[46:47], off offset:120
.LBB20_46:
	s_or_b64 exec, exec, s[4:5]
	scratch_load_dwordx2 v[46:47], off, off offset:112
	v_cmp_lt_u32_e64 s[0:1], 14, v0
	s_waitcnt vmcnt(0)
	ds_write_b64 v1, v[46:47]
	s_waitcnt lgkmcnt(0)
	; wave barrier
	s_and_saveexec_b64 s[4:5], s[0:1]
	s_cbranch_execz .LBB20_56
; %bb.47:
	s_andn2_b64 vcc, exec, s[6:7]
	s_cbranch_vccnz .LBB20_49
; %bb.48:
	scratch_load_dwordx2 v[46:47], v21, off
	ds_read_b64 v[48:49], v1
	s_waitcnt vmcnt(0) lgkmcnt(0)
	v_mul_f64 v[46:47], v[46:47], v[48:49]
	s_cbranch_execz .LBB20_50
	s_branch .LBB20_51
.LBB20_49:
                                        ; implicit-def: $vgpr46_vgpr47
.LBB20_50:
	ds_read_b64 v[46:47], v1
.LBB20_51:
	s_and_saveexec_b64 s[8:9], s[2:3]
	s_cbranch_execz .LBB20_55
; %bb.52:
	s_movk_i32 s17, 0x78
	v_add_u32_e32 v48, -15, v0
	s_movk_i32 s18, 0x128
	s_mov_b64 s[2:3], 0
.LBB20_53:                              ; =>This Inner Loop Header: Depth=1
	scratch_load_dwordx2 v[50:51], off, s17
	v_mov_b32_e32 v49, s18
	ds_read_b64 v[52:53], v49
	v_add_u32_e32 v48, -1, v48
	s_add_i32 s18, s18, 8
	s_add_i32 s17, s17, 8
	v_cmp_eq_u32_e32 vcc, 0, v48
	s_or_b64 s[2:3], vcc, s[2:3]
	s_waitcnt vmcnt(0) lgkmcnt(0)
	v_fmac_f64_e32 v[46:47], v[50:51], v[52:53]
	s_andn2_b64 exec, exec, s[2:3]
	s_cbranch_execnz .LBB20_53
; %bb.54:
	s_or_b64 exec, exec, s[2:3]
.LBB20_55:
	s_or_b64 exec, exec, s[8:9]
	v_mov_b32_e32 v48, 0
	ds_read_b64 v[48:49], v48 offset:112
	s_waitcnt lgkmcnt(0)
	v_mul_f64 v[46:47], v[46:47], v[48:49]
	scratch_store_dwordx2 off, v[46:47], off offset:112
.LBB20_56:
	s_or_b64 exec, exec, s[4:5]
	scratch_load_dwordx2 v[46:47], off, off offset:104
	v_cmp_lt_u32_e64 s[2:3], 13, v0
	s_waitcnt vmcnt(0)
	ds_write_b64 v1, v[46:47]
	s_waitcnt lgkmcnt(0)
	; wave barrier
	s_and_saveexec_b64 s[4:5], s[2:3]
	s_cbranch_execz .LBB20_66
; %bb.57:
	s_andn2_b64 vcc, exec, s[6:7]
	s_cbranch_vccnz .LBB20_59
; %bb.58:
	scratch_load_dwordx2 v[46:47], v21, off
	ds_read_b64 v[48:49], v1
	s_waitcnt vmcnt(0) lgkmcnt(0)
	v_mul_f64 v[46:47], v[46:47], v[48:49]
	s_cbranch_execz .LBB20_60
	s_branch .LBB20_61
.LBB20_59:
                                        ; implicit-def: $vgpr46_vgpr47
.LBB20_60:
	ds_read_b64 v[46:47], v1
.LBB20_61:
	s_and_saveexec_b64 s[8:9], s[0:1]
	s_cbranch_execz .LBB20_65
; %bb.62:
	v_add_u32_e32 v48, -14, v0
	s_movk_i32 s17, 0x120
	s_mov_b64 s[0:1], 0
.LBB20_63:                              ; =>This Inner Loop Header: Depth=1
	scratch_load_dwordx2 v[50:51], off, s16
	v_mov_b32_e32 v49, s17
	ds_read_b64 v[52:53], v49
	v_add_u32_e32 v48, -1, v48
	s_add_i32 s17, s17, 8
	s_add_i32 s16, s16, 8
	v_cmp_eq_u32_e32 vcc, 0, v48
	s_or_b64 s[0:1], vcc, s[0:1]
	s_waitcnt vmcnt(0) lgkmcnt(0)
	v_fmac_f64_e32 v[46:47], v[50:51], v[52:53]
	s_andn2_b64 exec, exec, s[0:1]
	s_cbranch_execnz .LBB20_63
; %bb.64:
	s_or_b64 exec, exec, s[0:1]
.LBB20_65:
	s_or_b64 exec, exec, s[8:9]
	v_mov_b32_e32 v48, 0
	ds_read_b64 v[48:49], v48 offset:104
	s_waitcnt lgkmcnt(0)
	v_mul_f64 v[46:47], v[46:47], v[48:49]
	scratch_store_dwordx2 off, v[46:47], off offset:104
.LBB20_66:
	s_or_b64 exec, exec, s[4:5]
	scratch_load_dwordx2 v[46:47], off, off offset:96
	v_cmp_lt_u32_e64 s[0:1], 12, v0
	s_waitcnt vmcnt(0)
	ds_write_b64 v1, v[46:47]
	s_waitcnt lgkmcnt(0)
	; wave barrier
	s_and_saveexec_b64 s[4:5], s[0:1]
	s_cbranch_execz .LBB20_76
; %bb.67:
	s_andn2_b64 vcc, exec, s[6:7]
	s_cbranch_vccnz .LBB20_69
; %bb.68:
	scratch_load_dwordx2 v[46:47], v21, off
	ds_read_b64 v[48:49], v1
	s_waitcnt vmcnt(0) lgkmcnt(0)
	v_mul_f64 v[46:47], v[46:47], v[48:49]
	s_cbranch_execz .LBB20_70
	s_branch .LBB20_71
.LBB20_69:
                                        ; implicit-def: $vgpr46_vgpr47
.LBB20_70:
	ds_read_b64 v[46:47], v1
.LBB20_71:
	s_and_saveexec_b64 s[8:9], s[2:3]
	s_cbranch_execz .LBB20_75
; %bb.72:
	s_movk_i32 s16, 0x68
	v_add_u32_e32 v48, -13, v0
	s_movk_i32 s17, 0x118
	s_mov_b64 s[2:3], 0
.LBB20_73:                              ; =>This Inner Loop Header: Depth=1
	scratch_load_dwordx2 v[50:51], off, s16
	v_mov_b32_e32 v49, s17
	ds_read_b64 v[52:53], v49
	v_add_u32_e32 v48, -1, v48
	s_add_i32 s17, s17, 8
	s_add_i32 s16, s16, 8
	v_cmp_eq_u32_e32 vcc, 0, v48
	s_or_b64 s[2:3], vcc, s[2:3]
	s_waitcnt vmcnt(0) lgkmcnt(0)
	v_fmac_f64_e32 v[46:47], v[50:51], v[52:53]
	s_andn2_b64 exec, exec, s[2:3]
	s_cbranch_execnz .LBB20_73
; %bb.74:
	s_or_b64 exec, exec, s[2:3]
.LBB20_75:
	s_or_b64 exec, exec, s[8:9]
	v_mov_b32_e32 v48, 0
	ds_read_b64 v[48:49], v48 offset:96
	s_waitcnt lgkmcnt(0)
	v_mul_f64 v[46:47], v[46:47], v[48:49]
	scratch_store_dwordx2 off, v[46:47], off offset:96
.LBB20_76:
	s_or_b64 exec, exec, s[4:5]
	scratch_load_dwordx2 v[46:47], off, off offset:88
	v_cmp_lt_u32_e64 s[2:3], 11, v0
	s_waitcnt vmcnt(0)
	ds_write_b64 v1, v[46:47]
	s_waitcnt lgkmcnt(0)
	; wave barrier
	s_and_saveexec_b64 s[4:5], s[2:3]
	s_cbranch_execz .LBB20_86
; %bb.77:
	s_andn2_b64 vcc, exec, s[6:7]
	s_cbranch_vccnz .LBB20_79
; %bb.78:
	scratch_load_dwordx2 v[46:47], v21, off
	ds_read_b64 v[48:49], v1
	s_waitcnt vmcnt(0) lgkmcnt(0)
	v_mul_f64 v[46:47], v[46:47], v[48:49]
	s_cbranch_execz .LBB20_80
	s_branch .LBB20_81
.LBB20_79:
                                        ; implicit-def: $vgpr46_vgpr47
.LBB20_80:
	ds_read_b64 v[46:47], v1
.LBB20_81:
	s_and_saveexec_b64 s[8:9], s[0:1]
	s_cbranch_execz .LBB20_85
; %bb.82:
	v_add_u32_e32 v48, -12, v0
	s_movk_i32 s16, 0x110
	s_mov_b64 s[0:1], 0
.LBB20_83:                              ; =>This Inner Loop Header: Depth=1
	scratch_load_dwordx2 v[50:51], off, s15
	v_mov_b32_e32 v49, s16
	ds_read_b64 v[52:53], v49
	v_add_u32_e32 v48, -1, v48
	s_add_i32 s16, s16, 8
	s_add_i32 s15, s15, 8
	v_cmp_eq_u32_e32 vcc, 0, v48
	s_or_b64 s[0:1], vcc, s[0:1]
	s_waitcnt vmcnt(0) lgkmcnt(0)
	v_fmac_f64_e32 v[46:47], v[50:51], v[52:53]
	s_andn2_b64 exec, exec, s[0:1]
	s_cbranch_execnz .LBB20_83
; %bb.84:
	s_or_b64 exec, exec, s[0:1]
.LBB20_85:
	s_or_b64 exec, exec, s[8:9]
	v_mov_b32_e32 v48, 0
	ds_read_b64 v[48:49], v48 offset:88
	s_waitcnt lgkmcnt(0)
	v_mul_f64 v[46:47], v[46:47], v[48:49]
	scratch_store_dwordx2 off, v[46:47], off offset:88
.LBB20_86:
	s_or_b64 exec, exec, s[4:5]
	scratch_load_dwordx2 v[46:47], off, off offset:80
	v_cmp_lt_u32_e64 s[0:1], 10, v0
	s_waitcnt vmcnt(0)
	ds_write_b64 v1, v[46:47]
	s_waitcnt lgkmcnt(0)
	; wave barrier
	s_and_saveexec_b64 s[4:5], s[0:1]
	s_cbranch_execz .LBB20_96
; %bb.87:
	s_andn2_b64 vcc, exec, s[6:7]
	s_cbranch_vccnz .LBB20_89
; %bb.88:
	scratch_load_dwordx2 v[46:47], v21, off
	ds_read_b64 v[48:49], v1
	s_waitcnt vmcnt(0) lgkmcnt(0)
	v_mul_f64 v[46:47], v[46:47], v[48:49]
	s_cbranch_execz .LBB20_90
	s_branch .LBB20_91
.LBB20_89:
                                        ; implicit-def: $vgpr46_vgpr47
.LBB20_90:
	ds_read_b64 v[46:47], v1
.LBB20_91:
	s_and_saveexec_b64 s[8:9], s[2:3]
	s_cbranch_execz .LBB20_95
; %bb.92:
	s_movk_i32 s15, 0x58
	v_add_u32_e32 v48, -11, v0
	s_movk_i32 s16, 0x108
	s_mov_b64 s[2:3], 0
.LBB20_93:                              ; =>This Inner Loop Header: Depth=1
	scratch_load_dwordx2 v[50:51], off, s15
	v_mov_b32_e32 v49, s16
	ds_read_b64 v[52:53], v49
	v_add_u32_e32 v48, -1, v48
	s_add_i32 s16, s16, 8
	s_add_i32 s15, s15, 8
	v_cmp_eq_u32_e32 vcc, 0, v48
	s_or_b64 s[2:3], vcc, s[2:3]
	s_waitcnt vmcnt(0) lgkmcnt(0)
	v_fmac_f64_e32 v[46:47], v[50:51], v[52:53]
	s_andn2_b64 exec, exec, s[2:3]
	s_cbranch_execnz .LBB20_93
; %bb.94:
	s_or_b64 exec, exec, s[2:3]
.LBB20_95:
	s_or_b64 exec, exec, s[8:9]
	v_mov_b32_e32 v48, 0
	ds_read_b64 v[48:49], v48 offset:80
	s_waitcnt lgkmcnt(0)
	v_mul_f64 v[46:47], v[46:47], v[48:49]
	scratch_store_dwordx2 off, v[46:47], off offset:80
.LBB20_96:
	s_or_b64 exec, exec, s[4:5]
	scratch_load_dwordx2 v[46:47], off, off offset:72
	v_cmp_lt_u32_e64 s[2:3], 9, v0
	s_waitcnt vmcnt(0)
	ds_write_b64 v1, v[46:47]
	s_waitcnt lgkmcnt(0)
	; wave barrier
	s_and_saveexec_b64 s[4:5], s[2:3]
	s_cbranch_execz .LBB20_106
; %bb.97:
	s_andn2_b64 vcc, exec, s[6:7]
	s_cbranch_vccnz .LBB20_99
; %bb.98:
	scratch_load_dwordx2 v[46:47], v21, off
	ds_read_b64 v[48:49], v1
	s_waitcnt vmcnt(0) lgkmcnt(0)
	v_mul_f64 v[46:47], v[46:47], v[48:49]
	s_cbranch_execz .LBB20_100
	s_branch .LBB20_101
.LBB20_99:
                                        ; implicit-def: $vgpr46_vgpr47
.LBB20_100:
	ds_read_b64 v[46:47], v1
.LBB20_101:
	s_and_saveexec_b64 s[8:9], s[0:1]
	s_cbranch_execz .LBB20_105
; %bb.102:
	v_add_u32_e32 v48, -10, v0
	s_movk_i32 s15, 0x100
	s_mov_b64 s[0:1], 0
.LBB20_103:                             ; =>This Inner Loop Header: Depth=1
	scratch_load_dwordx2 v[50:51], off, s14
	v_mov_b32_e32 v49, s15
	ds_read_b64 v[52:53], v49
	v_add_u32_e32 v48, -1, v48
	s_add_i32 s15, s15, 8
	s_add_i32 s14, s14, 8
	v_cmp_eq_u32_e32 vcc, 0, v48
	s_or_b64 s[0:1], vcc, s[0:1]
	s_waitcnt vmcnt(0) lgkmcnt(0)
	v_fmac_f64_e32 v[46:47], v[50:51], v[52:53]
	s_andn2_b64 exec, exec, s[0:1]
	s_cbranch_execnz .LBB20_103
; %bb.104:
	s_or_b64 exec, exec, s[0:1]
.LBB20_105:
	s_or_b64 exec, exec, s[8:9]
	v_mov_b32_e32 v48, 0
	ds_read_b64 v[48:49], v48 offset:72
	s_waitcnt lgkmcnt(0)
	v_mul_f64 v[46:47], v[46:47], v[48:49]
	scratch_store_dwordx2 off, v[46:47], off offset:72
.LBB20_106:
	s_or_b64 exec, exec, s[4:5]
	scratch_load_dwordx2 v[46:47], off, off offset:64
	v_cmp_lt_u32_e64 s[0:1], 8, v0
	s_waitcnt vmcnt(0)
	ds_write_b64 v1, v[46:47]
	s_waitcnt lgkmcnt(0)
	; wave barrier
	s_and_saveexec_b64 s[4:5], s[0:1]
	s_cbranch_execz .LBB20_116
; %bb.107:
	s_andn2_b64 vcc, exec, s[6:7]
	s_cbranch_vccnz .LBB20_109
; %bb.108:
	scratch_load_dwordx2 v[46:47], v21, off
	ds_read_b64 v[48:49], v1
	s_waitcnt vmcnt(0) lgkmcnt(0)
	v_mul_f64 v[46:47], v[46:47], v[48:49]
	s_cbranch_execz .LBB20_110
	s_branch .LBB20_111
.LBB20_109:
                                        ; implicit-def: $vgpr46_vgpr47
.LBB20_110:
	ds_read_b64 v[46:47], v1
.LBB20_111:
	s_and_saveexec_b64 s[8:9], s[2:3]
	s_cbranch_execz .LBB20_115
; %bb.112:
	s_movk_i32 s14, 0x48
	v_add_u32_e32 v48, -9, v0
	s_movk_i32 s15, 0xf8
	s_mov_b64 s[2:3], 0
.LBB20_113:                             ; =>This Inner Loop Header: Depth=1
	scratch_load_dwordx2 v[50:51], off, s14
	v_mov_b32_e32 v49, s15
	ds_read_b64 v[52:53], v49
	v_add_u32_e32 v48, -1, v48
	s_add_i32 s15, s15, 8
	s_add_i32 s14, s14, 8
	v_cmp_eq_u32_e32 vcc, 0, v48
	s_or_b64 s[2:3], vcc, s[2:3]
	s_waitcnt vmcnt(0) lgkmcnt(0)
	v_fmac_f64_e32 v[46:47], v[50:51], v[52:53]
	s_andn2_b64 exec, exec, s[2:3]
	s_cbranch_execnz .LBB20_113
; %bb.114:
	s_or_b64 exec, exec, s[2:3]
.LBB20_115:
	s_or_b64 exec, exec, s[8:9]
	v_mov_b32_e32 v48, 0
	ds_read_b64 v[48:49], v48 offset:64
	s_waitcnt lgkmcnt(0)
	v_mul_f64 v[46:47], v[46:47], v[48:49]
	scratch_store_dwordx2 off, v[46:47], off offset:64
.LBB20_116:
	s_or_b64 exec, exec, s[4:5]
	scratch_load_dwordx2 v[46:47], off, off offset:56
	v_cmp_lt_u32_e64 s[2:3], 7, v0
	s_waitcnt vmcnt(0)
	ds_write_b64 v1, v[46:47]
	s_waitcnt lgkmcnt(0)
	; wave barrier
	s_and_saveexec_b64 s[4:5], s[2:3]
	s_cbranch_execz .LBB20_126
; %bb.117:
	s_andn2_b64 vcc, exec, s[6:7]
	s_cbranch_vccnz .LBB20_119
; %bb.118:
	scratch_load_dwordx2 v[46:47], v21, off
	ds_read_b64 v[48:49], v1
	s_waitcnt vmcnt(0) lgkmcnt(0)
	v_mul_f64 v[46:47], v[46:47], v[48:49]
	s_cbranch_execz .LBB20_120
	s_branch .LBB20_121
.LBB20_119:
                                        ; implicit-def: $vgpr46_vgpr47
.LBB20_120:
	ds_read_b64 v[46:47], v1
.LBB20_121:
	s_and_saveexec_b64 s[8:9], s[0:1]
	s_cbranch_execz .LBB20_125
; %bb.122:
	v_add_u32_e32 v48, -8, v0
	s_movk_i32 s14, 0xf0
	s_mov_b64 s[0:1], 0
.LBB20_123:                             ; =>This Inner Loop Header: Depth=1
	scratch_load_dwordx2 v[50:51], off, s13
	v_mov_b32_e32 v49, s14
	ds_read_b64 v[52:53], v49
	v_add_u32_e32 v48, -1, v48
	s_add_i32 s14, s14, 8
	s_add_i32 s13, s13, 8
	v_cmp_eq_u32_e32 vcc, 0, v48
	s_or_b64 s[0:1], vcc, s[0:1]
	s_waitcnt vmcnt(0) lgkmcnt(0)
	v_fmac_f64_e32 v[46:47], v[50:51], v[52:53]
	s_andn2_b64 exec, exec, s[0:1]
	s_cbranch_execnz .LBB20_123
; %bb.124:
	s_or_b64 exec, exec, s[0:1]
.LBB20_125:
	s_or_b64 exec, exec, s[8:9]
	v_mov_b32_e32 v48, 0
	ds_read_b64 v[48:49], v48 offset:56
	s_waitcnt lgkmcnt(0)
	v_mul_f64 v[46:47], v[46:47], v[48:49]
	scratch_store_dwordx2 off, v[46:47], off offset:56
.LBB20_126:
	s_or_b64 exec, exec, s[4:5]
	scratch_load_dwordx2 v[46:47], off, off offset:48
	v_cmp_lt_u32_e64 s[0:1], 6, v0
	s_waitcnt vmcnt(0)
	ds_write_b64 v1, v[46:47]
	s_waitcnt lgkmcnt(0)
	; wave barrier
	s_and_saveexec_b64 s[4:5], s[0:1]
	s_cbranch_execz .LBB20_136
; %bb.127:
	s_andn2_b64 vcc, exec, s[6:7]
	s_cbranch_vccnz .LBB20_129
; %bb.128:
	scratch_load_dwordx2 v[46:47], v21, off
	ds_read_b64 v[48:49], v1
	s_waitcnt vmcnt(0) lgkmcnt(0)
	v_mul_f64 v[46:47], v[46:47], v[48:49]
	s_cbranch_execz .LBB20_130
	s_branch .LBB20_131
.LBB20_129:
                                        ; implicit-def: $vgpr46_vgpr47
.LBB20_130:
	ds_read_b64 v[46:47], v1
.LBB20_131:
	s_and_saveexec_b64 s[8:9], s[2:3]
	s_cbranch_execz .LBB20_135
; %bb.132:
	s_mov_b32 s13, 56
	v_add_u32_e32 v48, -7, v0
	s_movk_i32 s14, 0xe8
	s_mov_b64 s[2:3], 0
.LBB20_133:                             ; =>This Inner Loop Header: Depth=1
	scratch_load_dwordx2 v[50:51], off, s13
	v_mov_b32_e32 v49, s14
	ds_read_b64 v[52:53], v49
	v_add_u32_e32 v48, -1, v48
	s_add_i32 s14, s14, 8
	s_add_i32 s13, s13, 8
	v_cmp_eq_u32_e32 vcc, 0, v48
	s_or_b64 s[2:3], vcc, s[2:3]
	s_waitcnt vmcnt(0) lgkmcnt(0)
	v_fmac_f64_e32 v[46:47], v[50:51], v[52:53]
	s_andn2_b64 exec, exec, s[2:3]
	s_cbranch_execnz .LBB20_133
; %bb.134:
	s_or_b64 exec, exec, s[2:3]
.LBB20_135:
	s_or_b64 exec, exec, s[8:9]
	v_mov_b32_e32 v48, 0
	ds_read_b64 v[48:49], v48 offset:48
	s_waitcnt lgkmcnt(0)
	v_mul_f64 v[46:47], v[46:47], v[48:49]
	scratch_store_dwordx2 off, v[46:47], off offset:48
.LBB20_136:
	s_or_b64 exec, exec, s[4:5]
	scratch_load_dwordx2 v[46:47], off, off offset:40
	v_cmp_lt_u32_e64 s[2:3], 5, v0
	s_waitcnt vmcnt(0)
	ds_write_b64 v1, v[46:47]
	s_waitcnt lgkmcnt(0)
	; wave barrier
	s_and_saveexec_b64 s[4:5], s[2:3]
	s_cbranch_execz .LBB20_146
; %bb.137:
	s_andn2_b64 vcc, exec, s[6:7]
	s_cbranch_vccnz .LBB20_139
; %bb.138:
	scratch_load_dwordx2 v[46:47], v21, off
	ds_read_b64 v[48:49], v1
	s_waitcnt vmcnt(0) lgkmcnt(0)
	v_mul_f64 v[46:47], v[46:47], v[48:49]
	s_cbranch_execz .LBB20_140
	s_branch .LBB20_141
.LBB20_139:
                                        ; implicit-def: $vgpr46_vgpr47
.LBB20_140:
	ds_read_b64 v[46:47], v1
.LBB20_141:
	s_and_saveexec_b64 s[8:9], s[0:1]
	s_cbranch_execz .LBB20_145
; %bb.142:
	v_add_u32_e32 v48, -6, v0
	s_movk_i32 s13, 0xe0
	s_mov_b64 s[0:1], 0
.LBB20_143:                             ; =>This Inner Loop Header: Depth=1
	scratch_load_dwordx2 v[50:51], off, s12
	v_mov_b32_e32 v49, s13
	ds_read_b64 v[52:53], v49
	v_add_u32_e32 v48, -1, v48
	s_add_i32 s13, s13, 8
	s_add_i32 s12, s12, 8
	v_cmp_eq_u32_e32 vcc, 0, v48
	s_or_b64 s[0:1], vcc, s[0:1]
	s_waitcnt vmcnt(0) lgkmcnt(0)
	v_fmac_f64_e32 v[46:47], v[50:51], v[52:53]
	s_andn2_b64 exec, exec, s[0:1]
	s_cbranch_execnz .LBB20_143
; %bb.144:
	s_or_b64 exec, exec, s[0:1]
.LBB20_145:
	s_or_b64 exec, exec, s[8:9]
	v_mov_b32_e32 v48, 0
	ds_read_b64 v[48:49], v48 offset:40
	s_waitcnt lgkmcnt(0)
	v_mul_f64 v[46:47], v[46:47], v[48:49]
	scratch_store_dwordx2 off, v[46:47], off offset:40
.LBB20_146:
	s_or_b64 exec, exec, s[4:5]
	scratch_load_dwordx2 v[46:47], off, off offset:32
	v_cmp_lt_u32_e64 s[0:1], 4, v0
	s_waitcnt vmcnt(0)
	ds_write_b64 v1, v[46:47]
	s_waitcnt lgkmcnt(0)
	; wave barrier
	s_and_saveexec_b64 s[4:5], s[0:1]
	s_cbranch_execz .LBB20_156
; %bb.147:
	s_andn2_b64 vcc, exec, s[6:7]
	s_cbranch_vccnz .LBB20_149
; %bb.148:
	scratch_load_dwordx2 v[46:47], v21, off
	ds_read_b64 v[48:49], v1
	s_waitcnt vmcnt(0) lgkmcnt(0)
	v_mul_f64 v[46:47], v[46:47], v[48:49]
	s_cbranch_execz .LBB20_150
	s_branch .LBB20_151
.LBB20_149:
                                        ; implicit-def: $vgpr46_vgpr47
.LBB20_150:
	ds_read_b64 v[46:47], v1
.LBB20_151:
	s_and_saveexec_b64 s[8:9], s[2:3]
	s_cbranch_execz .LBB20_155
; %bb.152:
	s_mov_b32 s12, 40
	v_add_u32_e32 v48, -5, v0
	s_movk_i32 s13, 0xd8
	s_mov_b64 s[2:3], 0
.LBB20_153:                             ; =>This Inner Loop Header: Depth=1
	scratch_load_dwordx2 v[50:51], off, s12
	v_mov_b32_e32 v49, s13
	ds_read_b64 v[52:53], v49
	v_add_u32_e32 v48, -1, v48
	s_add_i32 s13, s13, 8
	s_add_i32 s12, s12, 8
	v_cmp_eq_u32_e32 vcc, 0, v48
	s_or_b64 s[2:3], vcc, s[2:3]
	s_waitcnt vmcnt(0) lgkmcnt(0)
	v_fmac_f64_e32 v[46:47], v[50:51], v[52:53]
	s_andn2_b64 exec, exec, s[2:3]
	s_cbranch_execnz .LBB20_153
; %bb.154:
	s_or_b64 exec, exec, s[2:3]
.LBB20_155:
	s_or_b64 exec, exec, s[8:9]
	v_mov_b32_e32 v48, 0
	ds_read_b64 v[48:49], v48 offset:32
	s_waitcnt lgkmcnt(0)
	v_mul_f64 v[46:47], v[46:47], v[48:49]
	scratch_store_dwordx2 off, v[46:47], off offset:32
.LBB20_156:
	s_or_b64 exec, exec, s[4:5]
	scratch_load_dwordx2 v[46:47], off, off offset:24
	v_cmp_lt_u32_e64 s[2:3], 3, v0
	s_waitcnt vmcnt(0)
	ds_write_b64 v1, v[46:47]
	s_waitcnt lgkmcnt(0)
	; wave barrier
	s_and_saveexec_b64 s[4:5], s[2:3]
	s_cbranch_execz .LBB20_166
; %bb.157:
	s_andn2_b64 vcc, exec, s[6:7]
	s_cbranch_vccnz .LBB20_159
; %bb.158:
	scratch_load_dwordx2 v[46:47], v21, off
	ds_read_b64 v[48:49], v1
	s_waitcnt vmcnt(0) lgkmcnt(0)
	v_mul_f64 v[46:47], v[46:47], v[48:49]
	s_cbranch_execz .LBB20_160
	s_branch .LBB20_161
.LBB20_159:
                                        ; implicit-def: $vgpr46_vgpr47
.LBB20_160:
	ds_read_b64 v[46:47], v1
.LBB20_161:
	s_and_saveexec_b64 s[8:9], s[0:1]
	s_cbranch_execz .LBB20_165
; %bb.162:
	v_add_u32_e32 v48, -4, v0
	s_movk_i32 s12, 0xd0
	s_mov_b64 s[0:1], 0
.LBB20_163:                             ; =>This Inner Loop Header: Depth=1
	scratch_load_dwordx2 v[50:51], off, s11
	v_mov_b32_e32 v49, s12
	ds_read_b64 v[52:53], v49
	v_add_u32_e32 v48, -1, v48
	s_add_i32 s12, s12, 8
	s_add_i32 s11, s11, 8
	v_cmp_eq_u32_e32 vcc, 0, v48
	s_or_b64 s[0:1], vcc, s[0:1]
	s_waitcnt vmcnt(0) lgkmcnt(0)
	v_fmac_f64_e32 v[46:47], v[50:51], v[52:53]
	s_andn2_b64 exec, exec, s[0:1]
	s_cbranch_execnz .LBB20_163
; %bb.164:
	s_or_b64 exec, exec, s[0:1]
.LBB20_165:
	s_or_b64 exec, exec, s[8:9]
	v_mov_b32_e32 v48, 0
	ds_read_b64 v[48:49], v48 offset:24
	s_waitcnt lgkmcnt(0)
	v_mul_f64 v[46:47], v[46:47], v[48:49]
	scratch_store_dwordx2 off, v[46:47], off offset:24
.LBB20_166:
	s_or_b64 exec, exec, s[4:5]
	scratch_load_dwordx2 v[46:47], off, off offset:16
	v_cmp_lt_u32_e64 s[0:1], 2, v0
	s_waitcnt vmcnt(0)
	ds_write_b64 v1, v[46:47]
	s_waitcnt lgkmcnt(0)
	; wave barrier
	s_and_saveexec_b64 s[4:5], s[0:1]
	s_cbranch_execz .LBB20_176
; %bb.167:
	s_andn2_b64 vcc, exec, s[6:7]
	s_cbranch_vccnz .LBB20_169
; %bb.168:
	scratch_load_dwordx2 v[46:47], v21, off
	ds_read_b64 v[48:49], v1
	s_waitcnt vmcnt(0) lgkmcnt(0)
	v_mul_f64 v[46:47], v[46:47], v[48:49]
	s_cbranch_execz .LBB20_170
	s_branch .LBB20_171
.LBB20_169:
                                        ; implicit-def: $vgpr46_vgpr47
.LBB20_170:
	ds_read_b64 v[46:47], v1
.LBB20_171:
	s_and_saveexec_b64 s[8:9], s[2:3]
	s_cbranch_execz .LBB20_175
; %bb.172:
	s_mov_b32 s11, 24
	v_add_u32_e32 v48, -3, v0
	s_movk_i32 s12, 0xc8
	s_mov_b64 s[2:3], 0
.LBB20_173:                             ; =>This Inner Loop Header: Depth=1
	scratch_load_dwordx2 v[50:51], off, s11
	v_mov_b32_e32 v49, s12
	ds_read_b64 v[52:53], v49
	v_add_u32_e32 v48, -1, v48
	s_add_i32 s12, s12, 8
	s_add_i32 s11, s11, 8
	v_cmp_eq_u32_e32 vcc, 0, v48
	s_or_b64 s[2:3], vcc, s[2:3]
	s_waitcnt vmcnt(0) lgkmcnt(0)
	v_fmac_f64_e32 v[46:47], v[50:51], v[52:53]
	s_andn2_b64 exec, exec, s[2:3]
	s_cbranch_execnz .LBB20_173
; %bb.174:
	s_or_b64 exec, exec, s[2:3]
.LBB20_175:
	s_or_b64 exec, exec, s[8:9]
	v_mov_b32_e32 v48, 0
	ds_read_b64 v[48:49], v48 offset:16
	s_waitcnt lgkmcnt(0)
	v_mul_f64 v[46:47], v[46:47], v[48:49]
	scratch_store_dwordx2 off, v[46:47], off offset:16
.LBB20_176:
	s_or_b64 exec, exec, s[4:5]
	scratch_load_dwordx2 v[46:47], off, off offset:8
	v_cmp_lt_u32_e64 s[2:3], 1, v0
	s_waitcnt vmcnt(0)
	ds_write_b64 v1, v[46:47]
	s_waitcnt lgkmcnt(0)
	; wave barrier
	s_and_saveexec_b64 s[4:5], s[2:3]
	s_cbranch_execz .LBB20_186
; %bb.177:
	s_andn2_b64 vcc, exec, s[6:7]
	s_cbranch_vccnz .LBB20_179
; %bb.178:
	scratch_load_dwordx2 v[46:47], v21, off
	ds_read_b64 v[48:49], v1
	s_waitcnt vmcnt(0) lgkmcnt(0)
	v_mul_f64 v[46:47], v[46:47], v[48:49]
	s_cbranch_execz .LBB20_180
	s_branch .LBB20_181
.LBB20_179:
                                        ; implicit-def: $vgpr46_vgpr47
.LBB20_180:
	ds_read_b64 v[46:47], v1
.LBB20_181:
	s_and_saveexec_b64 s[8:9], s[0:1]
	s_cbranch_execz .LBB20_185
; %bb.182:
	v_add_u32_e32 v48, -2, v0
	s_movk_i32 s11, 0xc0
	s_mov_b64 s[0:1], 0
.LBB20_183:                             ; =>This Inner Loop Header: Depth=1
	scratch_load_dwordx2 v[50:51], off, s10
	v_mov_b32_e32 v49, s11
	ds_read_b64 v[52:53], v49
	v_add_u32_e32 v48, -1, v48
	s_add_i32 s11, s11, 8
	s_add_i32 s10, s10, 8
	v_cmp_eq_u32_e32 vcc, 0, v48
	s_or_b64 s[0:1], vcc, s[0:1]
	s_waitcnt vmcnt(0) lgkmcnt(0)
	v_fmac_f64_e32 v[46:47], v[50:51], v[52:53]
	s_andn2_b64 exec, exec, s[0:1]
	s_cbranch_execnz .LBB20_183
; %bb.184:
	s_or_b64 exec, exec, s[0:1]
.LBB20_185:
	s_or_b64 exec, exec, s[8:9]
	v_mov_b32_e32 v48, 0
	ds_read_b64 v[48:49], v48 offset:8
	s_waitcnt lgkmcnt(0)
	v_mul_f64 v[46:47], v[46:47], v[48:49]
	scratch_store_dwordx2 off, v[46:47], off offset:8
.LBB20_186:
	s_or_b64 exec, exec, s[4:5]
	scratch_load_dwordx2 v[46:47], off, off
	v_cmp_ne_u32_e32 vcc, 0, v0
	s_waitcnt vmcnt(0)
	ds_write_b64 v1, v[46:47]
	s_waitcnt lgkmcnt(0)
	; wave barrier
	s_and_saveexec_b64 s[0:1], vcc
	s_cbranch_execz .LBB20_196
; %bb.187:
	s_andn2_b64 vcc, exec, s[6:7]
	s_cbranch_vccnz .LBB20_189
; %bb.188:
	scratch_load_dwordx2 v[46:47], v21, off
	ds_read_b64 v[48:49], v1
	s_waitcnt vmcnt(0) lgkmcnt(0)
	v_mul_f64 v[46:47], v[46:47], v[48:49]
	s_cbranch_execz .LBB20_190
	s_branch .LBB20_191
.LBB20_189:
                                        ; implicit-def: $vgpr46_vgpr47
.LBB20_190:
	ds_read_b64 v[46:47], v1
.LBB20_191:
	s_and_saveexec_b64 s[4:5], s[2:3]
	s_cbranch_execz .LBB20_195
; %bb.192:
	s_or_b32 s8, 0, 8
	v_add_u32_e32 v48, -1, v0
	s_movk_i32 s9, 0xb8
	s_mov_b64 s[2:3], 0
.LBB20_193:                             ; =>This Inner Loop Header: Depth=1
	scratch_load_dwordx2 v[50:51], off, s8
	v_mov_b32_e32 v49, s9
	ds_read_b64 v[52:53], v49
	v_add_u32_e32 v48, -1, v48
	s_add_i32 s9, s9, 8
	s_add_i32 s8, s8, 8
	v_cmp_eq_u32_e32 vcc, 0, v48
	s_or_b64 s[2:3], vcc, s[2:3]
	s_waitcnt vmcnt(0) lgkmcnt(0)
	v_fmac_f64_e32 v[46:47], v[50:51], v[52:53]
	s_andn2_b64 exec, exec, s[2:3]
	s_cbranch_execnz .LBB20_193
; %bb.194:
	s_or_b64 exec, exec, s[2:3]
.LBB20_195:
	s_or_b64 exec, exec, s[4:5]
	v_mov_b32_e32 v48, 0
	ds_read_b64 v[48:49], v48
	s_waitcnt lgkmcnt(0)
	v_mul_f64 v[46:47], v[46:47], v[48:49]
	scratch_store_dwordx2 off, v[46:47], off
.LBB20_196:
	s_or_b64 exec, exec, s[0:1]
	s_mov_b64 s[0:1], 0
.LBB20_197:
	s_and_b64 vcc, exec, s[0:1]
	s_cbranch_vccz .LBB20_389
; %bb.198:
	scratch_load_dwordx2 v[46:47], off, off offset:8
	v_cmp_eq_u32_e64 s[2:3], 0, v0
	s_waitcnt vmcnt(0)
	ds_write_b64 v1, v[46:47]
	s_waitcnt lgkmcnt(0)
	; wave barrier
	s_and_saveexec_b64 s[0:1], s[2:3]
	s_cbranch_execz .LBB20_204
; %bb.199:
	s_and_b64 vcc, exec, s[6:7]
	s_cbranch_vccz .LBB20_201
; %bb.200:
	scratch_load_dwordx2 v[46:47], v21, off
	ds_read_b64 v[48:49], v1
	s_waitcnt vmcnt(0) lgkmcnt(0)
	v_mul_f64 v[46:47], v[46:47], v[48:49]
	s_cbranch_execz .LBB20_202
	s_branch .LBB20_203
.LBB20_201:
                                        ; implicit-def: $vgpr46_vgpr47
.LBB20_202:
	ds_read_b64 v[46:47], v1
.LBB20_203:
	v_mov_b32_e32 v48, 0
	ds_read_b64 v[48:49], v48 offset:8
	s_waitcnt lgkmcnt(0)
	v_mul_f64 v[46:47], v[46:47], v[48:49]
	scratch_store_dwordx2 off, v[46:47], off offset:8
.LBB20_204:
	s_or_b64 exec, exec, s[0:1]
	scratch_load_dwordx2 v[46:47], off, off offset:16
	v_cndmask_b32_e64 v48, 0, 1, s[6:7]
	v_cmp_gt_u32_e32 vcc, 2, v0
	v_cmp_ne_u32_e64 s[0:1], 1, v48
	s_waitcnt vmcnt(0)
	ds_write_b64 v1, v[46:47]
	s_waitcnt lgkmcnt(0)
	; wave barrier
	s_and_saveexec_b64 s[4:5], vcc
	s_cbranch_execz .LBB20_210
; %bb.205:
	s_and_b64 vcc, exec, s[0:1]
	s_cbranch_vccnz .LBB20_207
; %bb.206:
	scratch_load_dwordx2 v[46:47], v21, off
	ds_read_b64 v[48:49], v1
	s_waitcnt vmcnt(0) lgkmcnt(0)
	v_mul_f64 v[46:47], v[46:47], v[48:49]
	s_cbranch_execz .LBB20_208
	s_branch .LBB20_209
.LBB20_207:
                                        ; implicit-def: $vgpr46_vgpr47
.LBB20_208:
	ds_read_b64 v[46:47], v1
.LBB20_209:
	scratch_load_dwordx2 v[52:53], off, off offset:8
	v_mov_b32_e32 v48, 0
	ds_read2_b64 v[48:51], v48 offset0:2 offset1:23
	s_waitcnt vmcnt(0) lgkmcnt(0)
	v_fma_f64 v[50:51], v[52:53], v[50:51], v[46:47]
	v_cndmask_b32_e64 v47, v47, v51, s[2:3]
	v_cndmask_b32_e64 v46, v46, v50, s[2:3]
	v_mul_f64 v[46:47], v[46:47], v[48:49]
	scratch_store_dwordx2 off, v[46:47], off offset:16
.LBB20_210:
	s_or_b64 exec, exec, s[4:5]
	scratch_load_dwordx2 v[46:47], off, off offset:24
	v_cmp_gt_u32_e32 vcc, 3, v0
	s_waitcnt vmcnt(0)
	ds_write_b64 v1, v[46:47]
	s_waitcnt lgkmcnt(0)
	; wave barrier
	s_and_saveexec_b64 s[4:5], vcc
	s_cbranch_execz .LBB20_218
; %bb.211:
	s_and_b64 vcc, exec, s[0:1]
	s_cbranch_vccnz .LBB20_213
; %bb.212:
	scratch_load_dwordx2 v[46:47], v21, off
	ds_read_b64 v[48:49], v1
	s_waitcnt vmcnt(0) lgkmcnt(0)
	v_mul_f64 v[46:47], v[46:47], v[48:49]
	s_cbranch_execz .LBB20_214
	s_branch .LBB20_215
.LBB20_213:
                                        ; implicit-def: $vgpr46_vgpr47
.LBB20_214:
	ds_read_b64 v[46:47], v1
.LBB20_215:
	v_cmp_ne_u32_e32 vcc, 2, v0
	s_and_saveexec_b64 s[6:7], vcc
	s_cbranch_execz .LBB20_217
; %bb.216:
	scratch_load_dwordx2 v[48:49], v21, off offset:8
	scratch_load_dwordx2 v[50:51], off, off offset:16
	ds_read_b64 v[52:53], v1 offset:8
	v_mov_b32_e32 v54, 0
	ds_read_b64 v[54:55], v54 offset:192
	s_waitcnt vmcnt(1) lgkmcnt(1)
	v_fmac_f64_e32 v[46:47], v[48:49], v[52:53]
	s_waitcnt vmcnt(0) lgkmcnt(0)
	v_fma_f64 v[48:49], v[50:51], v[54:55], v[46:47]
	v_cndmask_b32_e64 v47, v47, v49, s[2:3]
	v_cndmask_b32_e64 v46, v46, v48, s[2:3]
.LBB20_217:
	s_or_b64 exec, exec, s[6:7]
	v_mov_b32_e32 v48, 0
	ds_read_b64 v[48:49], v48 offset:24
	s_waitcnt lgkmcnt(0)
	v_mul_f64 v[46:47], v[46:47], v[48:49]
	scratch_store_dwordx2 off, v[46:47], off offset:24
.LBB20_218:
	s_or_b64 exec, exec, s[4:5]
	scratch_load_dwordx2 v[46:47], off, off offset:32
	v_cmp_gt_u32_e32 vcc, 4, v0
	s_waitcnt vmcnt(0)
	ds_write_b64 v1, v[46:47]
	s_waitcnt lgkmcnt(0)
	; wave barrier
	s_and_saveexec_b64 s[2:3], vcc
	s_cbranch_execz .LBB20_228
; %bb.219:
	s_and_b64 vcc, exec, s[0:1]
	s_cbranch_vccnz .LBB20_221
; %bb.220:
	scratch_load_dwordx2 v[46:47], v21, off
	ds_read_b64 v[48:49], v1
	s_waitcnt vmcnt(0) lgkmcnt(0)
	v_mul_f64 v[46:47], v[46:47], v[48:49]
	s_cbranch_execz .LBB20_222
	s_branch .LBB20_223
.LBB20_221:
                                        ; implicit-def: $vgpr46_vgpr47
.LBB20_222:
	ds_read_b64 v[46:47], v1
.LBB20_223:
	v_cmp_ne_u32_e32 vcc, 3, v0
	s_and_saveexec_b64 s[4:5], vcc
	s_cbranch_execz .LBB20_227
; %bb.224:
	s_mov_b32 s6, 0
	v_add_u32_e32 v48, 0xb8, v20
	v_add3_u32 v49, v20, s6, 8
	s_mov_b64 s[6:7], 0
	v_mov_b32_e32 v50, v0
.LBB20_225:                             ; =>This Inner Loop Header: Depth=1
	scratch_load_dwordx2 v[52:53], v49, off
	ds_read_b64 v[54:55], v48
	v_add_u32_e32 v50, 1, v50
	v_cmp_lt_u32_e32 vcc, 2, v50
	v_add_u32_e32 v48, 8, v48
	v_add_u32_e32 v49, 8, v49
	s_or_b64 s[6:7], vcc, s[6:7]
	s_waitcnt vmcnt(0) lgkmcnt(0)
	v_fmac_f64_e32 v[46:47], v[52:53], v[54:55]
	s_andn2_b64 exec, exec, s[6:7]
	s_cbranch_execnz .LBB20_225
; %bb.226:
	s_or_b64 exec, exec, s[6:7]
.LBB20_227:
	s_or_b64 exec, exec, s[4:5]
	v_mov_b32_e32 v48, 0
	ds_read_b64 v[48:49], v48 offset:32
	s_waitcnt lgkmcnt(0)
	v_mul_f64 v[46:47], v[46:47], v[48:49]
	scratch_store_dwordx2 off, v[46:47], off offset:32
.LBB20_228:
	s_or_b64 exec, exec, s[2:3]
	scratch_load_dwordx2 v[46:47], off, off offset:40
	v_cmp_gt_u32_e32 vcc, 5, v0
	s_waitcnt vmcnt(0)
	ds_write_b64 v1, v[46:47]
	s_waitcnt lgkmcnt(0)
	; wave barrier
	s_and_saveexec_b64 s[2:3], vcc
	s_cbranch_execz .LBB20_238
; %bb.229:
	s_and_b64 vcc, exec, s[0:1]
	s_cbranch_vccnz .LBB20_231
; %bb.230:
	scratch_load_dwordx2 v[46:47], v21, off
	ds_read_b64 v[48:49], v1
	s_waitcnt vmcnt(0) lgkmcnt(0)
	v_mul_f64 v[46:47], v[46:47], v[48:49]
	s_cbranch_execz .LBB20_232
	s_branch .LBB20_233
.LBB20_231:
                                        ; implicit-def: $vgpr46_vgpr47
.LBB20_232:
	ds_read_b64 v[46:47], v1
.LBB20_233:
	v_cmp_ne_u32_e32 vcc, 4, v0
	s_and_saveexec_b64 s[4:5], vcc
	s_cbranch_execz .LBB20_237
; %bb.234:
	s_mov_b32 s6, 0
	v_add_u32_e32 v48, 0xb8, v20
	v_add3_u32 v49, v20, s6, 8
	s_mov_b64 s[6:7], 0
	v_mov_b32_e32 v50, v0
.LBB20_235:                             ; =>This Inner Loop Header: Depth=1
	scratch_load_dwordx2 v[52:53], v49, off
	ds_read_b64 v[54:55], v48
	v_add_u32_e32 v50, 1, v50
	v_cmp_lt_u32_e32 vcc, 3, v50
	v_add_u32_e32 v48, 8, v48
	v_add_u32_e32 v49, 8, v49
	s_or_b64 s[6:7], vcc, s[6:7]
	s_waitcnt vmcnt(0) lgkmcnt(0)
	v_fmac_f64_e32 v[46:47], v[52:53], v[54:55]
	s_andn2_b64 exec, exec, s[6:7]
	s_cbranch_execnz .LBB20_235
; %bb.236:
	s_or_b64 exec, exec, s[6:7]
.LBB20_237:
	s_or_b64 exec, exec, s[4:5]
	v_mov_b32_e32 v48, 0
	ds_read_b64 v[48:49], v48 offset:40
	s_waitcnt lgkmcnt(0)
	v_mul_f64 v[46:47], v[46:47], v[48:49]
	scratch_store_dwordx2 off, v[46:47], off offset:40
.LBB20_238:
	;; [unrolled: 55-line block ×15, first 2 shown]
	s_or_b64 exec, exec, s[2:3]
	scratch_load_dwordx2 v[46:47], off, off offset:152
	v_cmp_gt_u32_e64 s[2:3], 19, v0
	s_waitcnt vmcnt(0)
	ds_write_b64 v1, v[46:47]
	s_waitcnt lgkmcnt(0)
	; wave barrier
	s_and_saveexec_b64 s[4:5], s[2:3]
	s_cbranch_execz .LBB20_378
; %bb.369:
	s_and_b64 vcc, exec, s[0:1]
	s_cbranch_vccnz .LBB20_371
; %bb.370:
	scratch_load_dwordx2 v[46:47], v21, off
	ds_read_b64 v[48:49], v1
	s_waitcnt vmcnt(0) lgkmcnt(0)
	v_mul_f64 v[46:47], v[46:47], v[48:49]
	s_cbranch_execz .LBB20_372
	s_branch .LBB20_373
.LBB20_371:
                                        ; implicit-def: $vgpr46_vgpr47
.LBB20_372:
	ds_read_b64 v[46:47], v1
.LBB20_373:
	v_cmp_ne_u32_e32 vcc, 18, v0
	s_and_saveexec_b64 s[6:7], vcc
	s_cbranch_execz .LBB20_377
; %bb.374:
	s_mov_b32 s8, 0
	v_add_u32_e32 v48, 0xb8, v20
	v_add3_u32 v49, v20, s8, 8
	s_mov_b64 s[8:9], 0
	v_mov_b32_e32 v50, v0
.LBB20_375:                             ; =>This Inner Loop Header: Depth=1
	scratch_load_dwordx2 v[52:53], v49, off
	ds_read_b64 v[54:55], v48
	v_add_u32_e32 v50, 1, v50
	v_cmp_lt_u32_e32 vcc, 17, v50
	v_add_u32_e32 v48, 8, v48
	v_add_u32_e32 v49, 8, v49
	s_or_b64 s[8:9], vcc, s[8:9]
	s_waitcnt vmcnt(0) lgkmcnt(0)
	v_fmac_f64_e32 v[46:47], v[52:53], v[54:55]
	s_andn2_b64 exec, exec, s[8:9]
	s_cbranch_execnz .LBB20_375
; %bb.376:
	s_or_b64 exec, exec, s[8:9]
.LBB20_377:
	s_or_b64 exec, exec, s[6:7]
	v_mov_b32_e32 v48, 0
	ds_read_b64 v[48:49], v48 offset:152
	s_waitcnt lgkmcnt(0)
	v_mul_f64 v[46:47], v[46:47], v[48:49]
	scratch_store_dwordx2 off, v[46:47], off offset:152
.LBB20_378:
	s_or_b64 exec, exec, s[4:5]
	scratch_load_dwordx2 v[46:47], off, off offset:160
	v_cmp_ne_u32_e32 vcc, 20, v0
	s_waitcnt vmcnt(0)
	ds_write_b64 v1, v[46:47]
	s_waitcnt lgkmcnt(0)
	; wave barrier
	s_and_saveexec_b64 s[4:5], vcc
	s_cbranch_execz .LBB20_388
; %bb.379:
	s_and_b64 vcc, exec, s[0:1]
	s_cbranch_vccnz .LBB20_381
; %bb.380:
	scratch_load_dwordx2 v[46:47], v21, off
	ds_read_b64 v[48:49], v1
	s_waitcnt vmcnt(0) lgkmcnt(0)
	v_mul_f64 v[46:47], v[46:47], v[48:49]
	s_cbranch_execz .LBB20_382
	s_branch .LBB20_383
.LBB20_381:
                                        ; implicit-def: $vgpr46_vgpr47
.LBB20_382:
	ds_read_b64 v[46:47], v1
.LBB20_383:
	s_and_saveexec_b64 s[0:1], s[2:3]
	s_cbranch_execz .LBB20_387
; %bb.384:
	s_mov_b32 s2, 0
	v_add_u32_e32 v1, 0xb8, v20
	v_add3_u32 v20, v20, s2, 8
	s_mov_b64 s[2:3], 0
.LBB20_385:                             ; =>This Inner Loop Header: Depth=1
	scratch_load_dwordx2 v[48:49], v20, off
	ds_read_b64 v[50:51], v1
	v_add_u32_e32 v0, 1, v0
	v_cmp_lt_u32_e32 vcc, 18, v0
	v_add_u32_e32 v1, 8, v1
	v_add_u32_e32 v20, 8, v20
	s_or_b64 s[2:3], vcc, s[2:3]
	s_waitcnt vmcnt(0) lgkmcnt(0)
	v_fmac_f64_e32 v[46:47], v[48:49], v[50:51]
	s_andn2_b64 exec, exec, s[2:3]
	s_cbranch_execnz .LBB20_385
; %bb.386:
	s_or_b64 exec, exec, s[2:3]
.LBB20_387:
	s_or_b64 exec, exec, s[0:1]
	v_mov_b32_e32 v0, 0
	ds_read_b64 v[0:1], v0 offset:160
	s_waitcnt lgkmcnt(0)
	v_mul_f64 v[0:1], v[46:47], v[0:1]
	scratch_store_dwordx2 off, v[0:1], off offset:160
.LBB20_388:
	s_or_b64 exec, exec, s[4:5]
.LBB20_389:
	scratch_load_dwordx4 v[46:49], off, off
	s_waitcnt vmcnt(0)
	global_store_dwordx2 v[2:3], v[46:47], off
	global_store_dwordx2 v[4:5], v[48:49], off
	scratch_load_dwordx4 v[0:3], off, off offset:16
	s_waitcnt vmcnt(0)
	global_store_dwordx2 v[6:7], v[0:1], off
	global_store_dwordx2 v[8:9], v[2:3], off
	scratch_load_dwordx4 v[0:3], off, off offset:32
	;; [unrolled: 4-line block ×9, first 2 shown]
	s_waitcnt vmcnt(0)
	global_store_dwordx2 v[42:43], v[0:1], off
	global_store_dwordx2 v[44:45], v[2:3], off
	scratch_load_dwordx2 v[0:1], off, off offset:160
	s_waitcnt vmcnt(0)
	global_store_dwordx2 v[38:39], v[0:1], off
.LBB20_390:
	s_endpgm
	.section	.rodata,"a",@progbits
	.p2align	6, 0x0
	.amdhsa_kernel _ZN9rocsolver6v33100L18trti2_kernel_smallILi21EdPdEEv13rocblas_fill_17rocblas_diagonal_T1_iil
		.amdhsa_group_segment_fixed_size 344
		.amdhsa_private_segment_fixed_size 176
		.amdhsa_kernarg_size 32
		.amdhsa_user_sgpr_count 2
		.amdhsa_user_sgpr_dispatch_ptr 0
		.amdhsa_user_sgpr_queue_ptr 0
		.amdhsa_user_sgpr_kernarg_segment_ptr 1
		.amdhsa_user_sgpr_dispatch_id 0
		.amdhsa_user_sgpr_kernarg_preload_length 0
		.amdhsa_user_sgpr_kernarg_preload_offset 0
		.amdhsa_user_sgpr_private_segment_size 0
		.amdhsa_uses_dynamic_stack 0
		.amdhsa_enable_private_segment 1
		.amdhsa_system_sgpr_workgroup_id_x 1
		.amdhsa_system_sgpr_workgroup_id_y 0
		.amdhsa_system_sgpr_workgroup_id_z 0
		.amdhsa_system_sgpr_workgroup_info 0
		.amdhsa_system_vgpr_workitem_id 0
		.amdhsa_next_free_vgpr 56
		.amdhsa_next_free_sgpr 20
		.amdhsa_accum_offset 56
		.amdhsa_reserve_vcc 1
		.amdhsa_float_round_mode_32 0
		.amdhsa_float_round_mode_16_64 0
		.amdhsa_float_denorm_mode_32 3
		.amdhsa_float_denorm_mode_16_64 3
		.amdhsa_dx10_clamp 1
		.amdhsa_ieee_mode 1
		.amdhsa_fp16_overflow 0
		.amdhsa_tg_split 0
		.amdhsa_exception_fp_ieee_invalid_op 0
		.amdhsa_exception_fp_denorm_src 0
		.amdhsa_exception_fp_ieee_div_zero 0
		.amdhsa_exception_fp_ieee_overflow 0
		.amdhsa_exception_fp_ieee_underflow 0
		.amdhsa_exception_fp_ieee_inexact 0
		.amdhsa_exception_int_div_zero 0
	.end_amdhsa_kernel
	.section	.text._ZN9rocsolver6v33100L18trti2_kernel_smallILi21EdPdEEv13rocblas_fill_17rocblas_diagonal_T1_iil,"axG",@progbits,_ZN9rocsolver6v33100L18trti2_kernel_smallILi21EdPdEEv13rocblas_fill_17rocblas_diagonal_T1_iil,comdat
.Lfunc_end20:
	.size	_ZN9rocsolver6v33100L18trti2_kernel_smallILi21EdPdEEv13rocblas_fill_17rocblas_diagonal_T1_iil, .Lfunc_end20-_ZN9rocsolver6v33100L18trti2_kernel_smallILi21EdPdEEv13rocblas_fill_17rocblas_diagonal_T1_iil
                                        ; -- End function
	.set _ZN9rocsolver6v33100L18trti2_kernel_smallILi21EdPdEEv13rocblas_fill_17rocblas_diagonal_T1_iil.num_vgpr, 56
	.set _ZN9rocsolver6v33100L18trti2_kernel_smallILi21EdPdEEv13rocblas_fill_17rocblas_diagonal_T1_iil.num_agpr, 0
	.set _ZN9rocsolver6v33100L18trti2_kernel_smallILi21EdPdEEv13rocblas_fill_17rocblas_diagonal_T1_iil.numbered_sgpr, 20
	.set _ZN9rocsolver6v33100L18trti2_kernel_smallILi21EdPdEEv13rocblas_fill_17rocblas_diagonal_T1_iil.num_named_barrier, 0
	.set _ZN9rocsolver6v33100L18trti2_kernel_smallILi21EdPdEEv13rocblas_fill_17rocblas_diagonal_T1_iil.private_seg_size, 176
	.set _ZN9rocsolver6v33100L18trti2_kernel_smallILi21EdPdEEv13rocblas_fill_17rocblas_diagonal_T1_iil.uses_vcc, 1
	.set _ZN9rocsolver6v33100L18trti2_kernel_smallILi21EdPdEEv13rocblas_fill_17rocblas_diagonal_T1_iil.uses_flat_scratch, 0
	.set _ZN9rocsolver6v33100L18trti2_kernel_smallILi21EdPdEEv13rocblas_fill_17rocblas_diagonal_T1_iil.has_dyn_sized_stack, 0
	.set _ZN9rocsolver6v33100L18trti2_kernel_smallILi21EdPdEEv13rocblas_fill_17rocblas_diagonal_T1_iil.has_recursion, 0
	.set _ZN9rocsolver6v33100L18trti2_kernel_smallILi21EdPdEEv13rocblas_fill_17rocblas_diagonal_T1_iil.has_indirect_call, 0
	.section	.AMDGPU.csdata,"",@progbits
; Kernel info:
; codeLenInByte = 9728
; TotalNumSgprs: 26
; NumVgprs: 56
; NumAgprs: 0
; TotalNumVgprs: 56
; ScratchSize: 176
; MemoryBound: 0
; FloatMode: 240
; IeeeMode: 1
; LDSByteSize: 344 bytes/workgroup (compile time only)
; SGPRBlocks: 3
; VGPRBlocks: 6
; NumSGPRsForWavesPerEU: 26
; NumVGPRsForWavesPerEU: 56
; AccumOffset: 56
; Occupancy: 8
; WaveLimiterHint : 0
; COMPUTE_PGM_RSRC2:SCRATCH_EN: 1
; COMPUTE_PGM_RSRC2:USER_SGPR: 2
; COMPUTE_PGM_RSRC2:TRAP_HANDLER: 0
; COMPUTE_PGM_RSRC2:TGID_X_EN: 1
; COMPUTE_PGM_RSRC2:TGID_Y_EN: 0
; COMPUTE_PGM_RSRC2:TGID_Z_EN: 0
; COMPUTE_PGM_RSRC2:TIDIG_COMP_CNT: 0
; COMPUTE_PGM_RSRC3_GFX90A:ACCUM_OFFSET: 13
; COMPUTE_PGM_RSRC3_GFX90A:TG_SPLIT: 0
	.section	.text._ZN9rocsolver6v33100L18trti2_kernel_smallILi22EdPdEEv13rocblas_fill_17rocblas_diagonal_T1_iil,"axG",@progbits,_ZN9rocsolver6v33100L18trti2_kernel_smallILi22EdPdEEv13rocblas_fill_17rocblas_diagonal_T1_iil,comdat
	.globl	_ZN9rocsolver6v33100L18trti2_kernel_smallILi22EdPdEEv13rocblas_fill_17rocblas_diagonal_T1_iil ; -- Begin function _ZN9rocsolver6v33100L18trti2_kernel_smallILi22EdPdEEv13rocblas_fill_17rocblas_diagonal_T1_iil
	.p2align	8
	.type	_ZN9rocsolver6v33100L18trti2_kernel_smallILi22EdPdEEv13rocblas_fill_17rocblas_diagonal_T1_iil,@function
_ZN9rocsolver6v33100L18trti2_kernel_smallILi22EdPdEEv13rocblas_fill_17rocblas_diagonal_T1_iil: ; @_ZN9rocsolver6v33100L18trti2_kernel_smallILi22EdPdEEv13rocblas_fill_17rocblas_diagonal_T1_iil
; %bb.0:
	v_cmp_gt_u32_e32 vcc, 22, v0
	s_and_saveexec_b64 s[4:5], vcc
	s_cbranch_execz .LBB21_410
; %bb.1:
	s_load_dwordx8 s[4:11], s[0:1], 0x0
	s_ashr_i32 s3, s2, 31
	v_lshlrev_b32_e32 v20, 3, v0
	v_mov_b32_e32 v21, 0
	s_waitcnt lgkmcnt(0)
	s_ashr_i32 s1, s8, 31
	s_mov_b32 s0, s8
	s_mul_hi_u32 s8, s10, s2
	s_mul_i32 s3, s10, s3
	s_add_i32 s3, s8, s3
	s_mul_i32 s8, s11, s2
	s_add_i32 s3, s3, s8
	s_mul_i32 s2, s10, s2
	s_lshl_b64 s[2:3], s[2:3], 3
	s_add_u32 s2, s6, s2
	s_addc_u32 s3, s7, s3
	s_lshl_b64 s[0:1], s[0:1], 3
	s_add_u32 s0, s2, s0
	s_addc_u32 s1, s3, s1
	v_lshl_add_u64 v[2:3], s[0:1], 0, v[20:21]
	s_ashr_i32 s3, s9, 31
	s_mov_b32 s2, s9
	v_lshl_add_u64 v[4:5], s[2:3], 3, v[2:3]
	global_load_dwordx2 v[6:7], v20, s[0:1]
	global_load_dwordx2 v[8:9], v[4:5], off
	s_add_i32 s2, s9, s9
	s_cmpk_lg_i32 s5, 0x84
	s_cselect_b64 s[6:7], -1, 0
	s_cmpk_eq_i32 s5, 0x84
	s_waitcnt vmcnt(0)
	scratch_store_dwordx4 off, v[6:9], off
	s_nop 1
	v_add_u32_e32 v8, s2, v0
	v_add_u32_e32 v10, s9, v8
	v_ashrrev_i32_e32 v9, 31, v8
	v_ashrrev_i32_e32 v11, 31, v10
	v_lshl_add_u64 v[6:7], v[8:9], 3, s[0:1]
	v_lshl_add_u64 v[8:9], v[10:11], 3, s[0:1]
	global_load_dwordx2 v[12:13], v[6:7], off
	global_load_dwordx2 v[14:15], v[8:9], off
	s_waitcnt vmcnt(0)
	scratch_store_dwordx4 off, v[12:15], off offset:16
	s_nop 1
	v_add_u32_e32 v12, s9, v10
	v_add_u32_e32 v14, s9, v12
	v_ashrrev_i32_e32 v13, 31, v12
	v_ashrrev_i32_e32 v15, 31, v14
	v_lshl_add_u64 v[10:11], v[12:13], 3, s[0:1]
	v_lshl_add_u64 v[12:13], v[14:15], 3, s[0:1]
	global_load_dwordx2 v[16:17], v[10:11], off
	global_load_dwordx2 v[18:19], v[12:13], off
	s_waitcnt vmcnt(0)
	scratch_store_dwordx4 off, v[16:19], off offset:32
	;; [unrolled: 11-line block ×7, first 2 shown]
	s_nop 1
	v_add_u32_e32 v38, s9, v36
	v_ashrrev_i32_e32 v39, 31, v38
	v_lshl_add_u64 v[36:37], v[38:39], 3, s[0:1]
	v_add_u32_e32 v38, s9, v38
	v_ashrrev_i32_e32 v39, 31, v38
	v_lshl_add_u64 v[40:41], v[38:39], 3, s[0:1]
	global_load_dwordx2 v[42:43], v[36:37], off
	global_load_dwordx2 v[44:45], v[40:41], off
	v_add_u32_e32 v38, s9, v38
	v_ashrrev_i32_e32 v39, 31, v38
	s_waitcnt vmcnt(0)
	scratch_store_dwordx4 off, v[42:45], off offset:128
	s_nop 1
	v_lshl_add_u64 v[44:45], v[38:39], 3, s[0:1]
	v_add_u32_e32 v38, s9, v38
	v_ashrrev_i32_e32 v39, 31, v38
	v_lshl_add_u64 v[46:47], v[38:39], 3, s[0:1]
	global_load_dwordx2 v[48:49], v[44:45], off
	global_load_dwordx2 v[50:51], v[46:47], off
	v_add_u32_e32 v42, s9, v38
	v_ashrrev_i32_e32 v43, 31, v42
	v_lshl_add_u64 v[38:39], v[42:43], 3, s[0:1]
	v_add_u32_e32 v42, s9, v42
	v_ashrrev_i32_e32 v43, 31, v42
	v_lshl_add_u64 v[42:43], v[42:43], 3, s[0:1]
	s_waitcnt vmcnt(0)
	scratch_store_dwordx4 off, v[48:51], off offset:144
	global_load_dwordx2 v[48:49], v[38:39], off
	s_nop 0
	global_load_dwordx2 v[50:51], v[42:43], off
	s_waitcnt vmcnt(0)
	scratch_store_dwordx4 off, v[48:51], off offset:160
	s_nop 1
	v_mov_b64_e32 v[48:49], -1.0
	s_cbranch_scc1 .LBB21_3
; %bb.2:
	scratch_load_dwordx2 v[48:49], v20, off
	s_waitcnt vmcnt(0)
	v_div_scale_f64 v[50:51], s[0:1], v[48:49], v[48:49], 1.0
	v_rcp_f64_e32 v[52:53], v[50:51]
	v_div_scale_f64 v[54:55], vcc, 1.0, v[48:49], 1.0
	v_fma_f64 v[56:57], -v[50:51], v[52:53], 1.0
	v_fmac_f64_e32 v[52:53], v[52:53], v[56:57]
	v_fma_f64 v[56:57], -v[50:51], v[52:53], 1.0
	v_fmac_f64_e32 v[52:53], v[52:53], v[56:57]
	v_mul_f64 v[56:57], v[54:55], v[52:53]
	v_fma_f64 v[50:51], -v[50:51], v[56:57], v[54:55]
	v_div_fmas_f64 v[50:51], v[50:51], v[52:53], v[56:57]
	v_div_fixup_f64 v[48:49], v[50:51], v[48:49], 1.0
	scratch_store_dwordx2 v20, v[48:49], off
	v_xor_b32_e32 v49, 0x80000000, v49
.LBB21_3:
	s_cmpk_eq_i32 s4, 0x79
	v_add_u32_e32 v1, 0xb0, v20
	v_mov_b32_e32 v21, v20
	s_mov_b64 s[0:1], -1
	ds_write_b64 v20, v[48:49]
	s_cbranch_scc1 .LBB21_207
; %bb.4:
	scratch_load_dwordx2 v[48:49], off, off offset:160
	s_movk_i32 s8, 0x50
	s_movk_i32 s9, 0x60
	;; [unrolled: 1-line block ×5, first 2 shown]
	v_cmp_eq_u32_e64 s[0:1], 21, v0
	s_waitcnt vmcnt(0)
	ds_write_b64 v1, v[48:49]
	s_waitcnt lgkmcnt(0)
	; wave barrier
	s_and_saveexec_b64 s[2:3], s[0:1]
	s_cbranch_execz .LBB21_10
; %bb.5:
	s_and_b64 vcc, exec, s[6:7]
	s_cbranch_vccz .LBB21_7
; %bb.6:
	scratch_load_dwordx2 v[48:49], v21, off
	ds_read_b64 v[50:51], v1
	s_waitcnt vmcnt(0) lgkmcnt(0)
	v_mul_f64 v[48:49], v[48:49], v[50:51]
	s_cbranch_execz .LBB21_8
	s_branch .LBB21_9
.LBB21_7:
                                        ; implicit-def: $vgpr48_vgpr49
.LBB21_8:
	ds_read_b64 v[48:49], v1
.LBB21_9:
	v_mov_b32_e32 v50, 0
	ds_read_b64 v[50:51], v50 offset:160
	s_waitcnt lgkmcnt(0)
	v_mul_f64 v[48:49], v[48:49], v[50:51]
	scratch_store_dwordx2 off, v[48:49], off offset:160
.LBB21_10:
	s_or_b64 exec, exec, s[2:3]
	scratch_load_dwordx2 v[48:49], off, off offset:152
	s_mov_b32 s10, 16
	s_mov_b32 s11, 32
	s_mov_b32 s12, 48
	s_mov_b32 s13, 64
	s_mov_b32 s14, s8
	s_mov_b32 s15, s9
	v_cmp_lt_u32_e64 s[2:3], 19, v0
	s_waitcnt vmcnt(0)
	ds_write_b64 v1, v[48:49]
	s_waitcnt lgkmcnt(0)
	; wave barrier
	s_and_saveexec_b64 s[4:5], s[2:3]
	s_cbranch_execz .LBB21_16
; %bb.11:
	s_andn2_b64 vcc, exec, s[6:7]
	s_cbranch_vccnz .LBB21_13
; %bb.12:
	scratch_load_dwordx2 v[48:49], v21, off
	ds_read_b64 v[50:51], v1
	s_waitcnt vmcnt(0) lgkmcnt(0)
	v_mul_f64 v[48:49], v[48:49], v[50:51]
	s_cbranch_execz .LBB21_14
	s_branch .LBB21_15
.LBB21_13:
                                        ; implicit-def: $vgpr48_vgpr49
.LBB21_14:
	ds_read_b64 v[48:49], v1
.LBB21_15:
	scratch_load_dwordx2 v[54:55], off, off offset:160
	v_mov_b32_e32 v50, 0
	ds_read2_b64 v[50:53], v50 offset0:19 offset1:42
	s_waitcnt vmcnt(0) lgkmcnt(0)
	v_fma_f64 v[52:53], v[54:55], v[52:53], v[48:49]
	v_cndmask_b32_e64 v49, v49, v53, s[0:1]
	v_cndmask_b32_e64 v48, v48, v52, s[0:1]
	v_mul_f64 v[48:49], v[48:49], v[50:51]
	scratch_store_dwordx2 off, v[48:49], off offset:152
.LBB21_16:
	s_or_b64 exec, exec, s[4:5]
	scratch_load_dwordx2 v[48:49], off, off offset:144
	v_cmp_lt_u32_e64 s[0:1], 18, v0
	s_waitcnt vmcnt(0)
	ds_write_b64 v1, v[48:49]
	s_waitcnt lgkmcnt(0)
	; wave barrier
	s_and_saveexec_b64 s[4:5], s[0:1]
	s_cbranch_execz .LBB21_26
; %bb.17:
	s_andn2_b64 vcc, exec, s[6:7]
	s_cbranch_vccnz .LBB21_19
; %bb.18:
	scratch_load_dwordx2 v[48:49], v21, off
	ds_read_b64 v[50:51], v1
	s_waitcnt vmcnt(0) lgkmcnt(0)
	v_mul_f64 v[48:49], v[48:49], v[50:51]
	s_cbranch_execz .LBB21_20
	s_branch .LBB21_21
.LBB21_19:
                                        ; implicit-def: $vgpr48_vgpr49
.LBB21_20:
	ds_read_b64 v[48:49], v1
.LBB21_21:
	s_and_saveexec_b64 s[8:9], s[2:3]
	s_cbranch_execz .LBB21_25
; %bb.22:
	s_movk_i32 s19, 0x98
	v_subrev_u32_e32 v50, 19, v0
	s_movk_i32 s20, 0x148
	s_mov_b64 s[2:3], 0
.LBB21_23:                              ; =>This Inner Loop Header: Depth=1
	scratch_load_dwordx2 v[52:53], off, s19
	v_mov_b32_e32 v51, s20
	ds_read_b64 v[54:55], v51
	v_add_u32_e32 v50, -1, v50
	s_add_i32 s20, s20, 8
	s_add_i32 s19, s19, 8
	v_cmp_eq_u32_e32 vcc, 0, v50
	s_or_b64 s[2:3], vcc, s[2:3]
	s_waitcnt vmcnt(0) lgkmcnt(0)
	v_fmac_f64_e32 v[48:49], v[52:53], v[54:55]
	s_andn2_b64 exec, exec, s[2:3]
	s_cbranch_execnz .LBB21_23
; %bb.24:
	s_or_b64 exec, exec, s[2:3]
.LBB21_25:
	s_or_b64 exec, exec, s[8:9]
	v_mov_b32_e32 v50, 0
	ds_read_b64 v[50:51], v50 offset:144
	s_waitcnt lgkmcnt(0)
	v_mul_f64 v[48:49], v[48:49], v[50:51]
	scratch_store_dwordx2 off, v[48:49], off offset:144
.LBB21_26:
	s_or_b64 exec, exec, s[4:5]
	scratch_load_dwordx2 v[48:49], off, off offset:136
	v_cmp_lt_u32_e64 s[2:3], 17, v0
	s_waitcnt vmcnt(0)
	ds_write_b64 v1, v[48:49]
	s_waitcnt lgkmcnt(0)
	; wave barrier
	s_and_saveexec_b64 s[4:5], s[2:3]
	s_cbranch_execz .LBB21_36
; %bb.27:
	s_andn2_b64 vcc, exec, s[6:7]
	s_cbranch_vccnz .LBB21_29
; %bb.28:
	scratch_load_dwordx2 v[48:49], v21, off
	ds_read_b64 v[50:51], v1
	s_waitcnt vmcnt(0) lgkmcnt(0)
	v_mul_f64 v[48:49], v[48:49], v[50:51]
	s_cbranch_execz .LBB21_30
	s_branch .LBB21_31
.LBB21_29:
                                        ; implicit-def: $vgpr48_vgpr49
.LBB21_30:
	ds_read_b64 v[48:49], v1
.LBB21_31:
	s_and_saveexec_b64 s[8:9], s[0:1]
	s_cbranch_execz .LBB21_35
; %bb.32:
	v_subrev_u32_e32 v50, 18, v0
	s_movk_i32 s19, 0x140
	s_mov_b64 s[0:1], 0
.LBB21_33:                              ; =>This Inner Loop Header: Depth=1
	scratch_load_dwordx2 v[52:53], off, s18
	v_mov_b32_e32 v51, s19
	ds_read_b64 v[54:55], v51
	v_add_u32_e32 v50, -1, v50
	s_add_i32 s19, s19, 8
	s_add_i32 s18, s18, 8
	v_cmp_eq_u32_e32 vcc, 0, v50
	s_or_b64 s[0:1], vcc, s[0:1]
	s_waitcnt vmcnt(0) lgkmcnt(0)
	v_fmac_f64_e32 v[48:49], v[52:53], v[54:55]
	s_andn2_b64 exec, exec, s[0:1]
	s_cbranch_execnz .LBB21_33
; %bb.34:
	s_or_b64 exec, exec, s[0:1]
.LBB21_35:
	s_or_b64 exec, exec, s[8:9]
	v_mov_b32_e32 v50, 0
	ds_read_b64 v[50:51], v50 offset:136
	s_waitcnt lgkmcnt(0)
	v_mul_f64 v[48:49], v[48:49], v[50:51]
	scratch_store_dwordx2 off, v[48:49], off offset:136
.LBB21_36:
	s_or_b64 exec, exec, s[4:5]
	scratch_load_dwordx2 v[48:49], off, off offset:128
	v_cmp_lt_u32_e64 s[0:1], 16, v0
	s_waitcnt vmcnt(0)
	ds_write_b64 v1, v[48:49]
	s_waitcnt lgkmcnt(0)
	; wave barrier
	s_and_saveexec_b64 s[4:5], s[0:1]
	s_cbranch_execz .LBB21_46
; %bb.37:
	s_andn2_b64 vcc, exec, s[6:7]
	s_cbranch_vccnz .LBB21_39
; %bb.38:
	scratch_load_dwordx2 v[48:49], v21, off
	ds_read_b64 v[50:51], v1
	s_waitcnt vmcnt(0) lgkmcnt(0)
	v_mul_f64 v[48:49], v[48:49], v[50:51]
	s_cbranch_execz .LBB21_40
	s_branch .LBB21_41
.LBB21_39:
                                        ; implicit-def: $vgpr48_vgpr49
.LBB21_40:
	ds_read_b64 v[48:49], v1
.LBB21_41:
	s_and_saveexec_b64 s[8:9], s[2:3]
	s_cbranch_execz .LBB21_45
; %bb.42:
	s_movk_i32 s18, 0x88
	v_subrev_u32_e32 v50, 17, v0
	s_movk_i32 s19, 0x138
	s_mov_b64 s[2:3], 0
.LBB21_43:                              ; =>This Inner Loop Header: Depth=1
	scratch_load_dwordx2 v[52:53], off, s18
	v_mov_b32_e32 v51, s19
	ds_read_b64 v[54:55], v51
	v_add_u32_e32 v50, -1, v50
	s_add_i32 s19, s19, 8
	s_add_i32 s18, s18, 8
	v_cmp_eq_u32_e32 vcc, 0, v50
	s_or_b64 s[2:3], vcc, s[2:3]
	s_waitcnt vmcnt(0) lgkmcnt(0)
	v_fmac_f64_e32 v[48:49], v[52:53], v[54:55]
	s_andn2_b64 exec, exec, s[2:3]
	s_cbranch_execnz .LBB21_43
; %bb.44:
	s_or_b64 exec, exec, s[2:3]
.LBB21_45:
	s_or_b64 exec, exec, s[8:9]
	v_mov_b32_e32 v50, 0
	ds_read_b64 v[50:51], v50 offset:128
	s_waitcnt lgkmcnt(0)
	v_mul_f64 v[48:49], v[48:49], v[50:51]
	scratch_store_dwordx2 off, v[48:49], off offset:128
.LBB21_46:
	s_or_b64 exec, exec, s[4:5]
	scratch_load_dwordx2 v[48:49], off, off offset:120
	v_cmp_lt_u32_e64 s[2:3], 15, v0
	s_waitcnt vmcnt(0)
	ds_write_b64 v1, v[48:49]
	s_waitcnt lgkmcnt(0)
	; wave barrier
	s_and_saveexec_b64 s[4:5], s[2:3]
	s_cbranch_execz .LBB21_56
; %bb.47:
	s_andn2_b64 vcc, exec, s[6:7]
	s_cbranch_vccnz .LBB21_49
; %bb.48:
	scratch_load_dwordx2 v[48:49], v21, off
	ds_read_b64 v[50:51], v1
	s_waitcnt vmcnt(0) lgkmcnt(0)
	v_mul_f64 v[48:49], v[48:49], v[50:51]
	s_cbranch_execz .LBB21_50
	s_branch .LBB21_51
.LBB21_49:
                                        ; implicit-def: $vgpr48_vgpr49
.LBB21_50:
	ds_read_b64 v[48:49], v1
.LBB21_51:
	s_and_saveexec_b64 s[8:9], s[0:1]
	s_cbranch_execz .LBB21_55
; %bb.52:
	v_add_u32_e32 v50, -16, v0
	s_movk_i32 s18, 0x130
	s_mov_b64 s[0:1], 0
.LBB21_53:                              ; =>This Inner Loop Header: Depth=1
	scratch_load_dwordx2 v[52:53], off, s17
	v_mov_b32_e32 v51, s18
	ds_read_b64 v[54:55], v51
	v_add_u32_e32 v50, -1, v50
	s_add_i32 s18, s18, 8
	s_add_i32 s17, s17, 8
	v_cmp_eq_u32_e32 vcc, 0, v50
	s_or_b64 s[0:1], vcc, s[0:1]
	s_waitcnt vmcnt(0) lgkmcnt(0)
	v_fmac_f64_e32 v[48:49], v[52:53], v[54:55]
	s_andn2_b64 exec, exec, s[0:1]
	s_cbranch_execnz .LBB21_53
; %bb.54:
	s_or_b64 exec, exec, s[0:1]
.LBB21_55:
	s_or_b64 exec, exec, s[8:9]
	v_mov_b32_e32 v50, 0
	ds_read_b64 v[50:51], v50 offset:120
	s_waitcnt lgkmcnt(0)
	v_mul_f64 v[48:49], v[48:49], v[50:51]
	scratch_store_dwordx2 off, v[48:49], off offset:120
.LBB21_56:
	s_or_b64 exec, exec, s[4:5]
	scratch_load_dwordx2 v[48:49], off, off offset:112
	v_cmp_lt_u32_e64 s[0:1], 14, v0
	s_waitcnt vmcnt(0)
	ds_write_b64 v1, v[48:49]
	s_waitcnt lgkmcnt(0)
	; wave barrier
	s_and_saveexec_b64 s[4:5], s[0:1]
	s_cbranch_execz .LBB21_66
; %bb.57:
	s_andn2_b64 vcc, exec, s[6:7]
	s_cbranch_vccnz .LBB21_59
; %bb.58:
	scratch_load_dwordx2 v[48:49], v21, off
	ds_read_b64 v[50:51], v1
	s_waitcnt vmcnt(0) lgkmcnt(0)
	v_mul_f64 v[48:49], v[48:49], v[50:51]
	s_cbranch_execz .LBB21_60
	s_branch .LBB21_61
.LBB21_59:
                                        ; implicit-def: $vgpr48_vgpr49
.LBB21_60:
	ds_read_b64 v[48:49], v1
.LBB21_61:
	s_and_saveexec_b64 s[8:9], s[2:3]
	s_cbranch_execz .LBB21_65
; %bb.62:
	s_movk_i32 s17, 0x78
	v_add_u32_e32 v50, -15, v0
	s_movk_i32 s18, 0x128
	s_mov_b64 s[2:3], 0
.LBB21_63:                              ; =>This Inner Loop Header: Depth=1
	scratch_load_dwordx2 v[52:53], off, s17
	v_mov_b32_e32 v51, s18
	ds_read_b64 v[54:55], v51
	v_add_u32_e32 v50, -1, v50
	s_add_i32 s18, s18, 8
	s_add_i32 s17, s17, 8
	v_cmp_eq_u32_e32 vcc, 0, v50
	s_or_b64 s[2:3], vcc, s[2:3]
	s_waitcnt vmcnt(0) lgkmcnt(0)
	v_fmac_f64_e32 v[48:49], v[52:53], v[54:55]
	s_andn2_b64 exec, exec, s[2:3]
	s_cbranch_execnz .LBB21_63
; %bb.64:
	s_or_b64 exec, exec, s[2:3]
.LBB21_65:
	s_or_b64 exec, exec, s[8:9]
	v_mov_b32_e32 v50, 0
	ds_read_b64 v[50:51], v50 offset:112
	s_waitcnt lgkmcnt(0)
	v_mul_f64 v[48:49], v[48:49], v[50:51]
	scratch_store_dwordx2 off, v[48:49], off offset:112
.LBB21_66:
	s_or_b64 exec, exec, s[4:5]
	scratch_load_dwordx2 v[48:49], off, off offset:104
	v_cmp_lt_u32_e64 s[2:3], 13, v0
	s_waitcnt vmcnt(0)
	ds_write_b64 v1, v[48:49]
	s_waitcnt lgkmcnt(0)
	; wave barrier
	s_and_saveexec_b64 s[4:5], s[2:3]
	s_cbranch_execz .LBB21_76
; %bb.67:
	s_andn2_b64 vcc, exec, s[6:7]
	s_cbranch_vccnz .LBB21_69
; %bb.68:
	scratch_load_dwordx2 v[48:49], v21, off
	ds_read_b64 v[50:51], v1
	s_waitcnt vmcnt(0) lgkmcnt(0)
	v_mul_f64 v[48:49], v[48:49], v[50:51]
	s_cbranch_execz .LBB21_70
	s_branch .LBB21_71
.LBB21_69:
                                        ; implicit-def: $vgpr48_vgpr49
.LBB21_70:
	ds_read_b64 v[48:49], v1
.LBB21_71:
	s_and_saveexec_b64 s[8:9], s[0:1]
	s_cbranch_execz .LBB21_75
; %bb.72:
	v_add_u32_e32 v50, -14, v0
	s_movk_i32 s17, 0x120
	s_mov_b64 s[0:1], 0
.LBB21_73:                              ; =>This Inner Loop Header: Depth=1
	scratch_load_dwordx2 v[52:53], off, s16
	v_mov_b32_e32 v51, s17
	ds_read_b64 v[54:55], v51
	v_add_u32_e32 v50, -1, v50
	s_add_i32 s17, s17, 8
	s_add_i32 s16, s16, 8
	v_cmp_eq_u32_e32 vcc, 0, v50
	s_or_b64 s[0:1], vcc, s[0:1]
	s_waitcnt vmcnt(0) lgkmcnt(0)
	v_fmac_f64_e32 v[48:49], v[52:53], v[54:55]
	s_andn2_b64 exec, exec, s[0:1]
	s_cbranch_execnz .LBB21_73
; %bb.74:
	s_or_b64 exec, exec, s[0:1]
.LBB21_75:
	s_or_b64 exec, exec, s[8:9]
	v_mov_b32_e32 v50, 0
	ds_read_b64 v[50:51], v50 offset:104
	s_waitcnt lgkmcnt(0)
	v_mul_f64 v[48:49], v[48:49], v[50:51]
	scratch_store_dwordx2 off, v[48:49], off offset:104
.LBB21_76:
	s_or_b64 exec, exec, s[4:5]
	scratch_load_dwordx2 v[48:49], off, off offset:96
	v_cmp_lt_u32_e64 s[0:1], 12, v0
	s_waitcnt vmcnt(0)
	ds_write_b64 v1, v[48:49]
	s_waitcnt lgkmcnt(0)
	; wave barrier
	s_and_saveexec_b64 s[4:5], s[0:1]
	s_cbranch_execz .LBB21_86
; %bb.77:
	s_andn2_b64 vcc, exec, s[6:7]
	s_cbranch_vccnz .LBB21_79
; %bb.78:
	scratch_load_dwordx2 v[48:49], v21, off
	ds_read_b64 v[50:51], v1
	s_waitcnt vmcnt(0) lgkmcnt(0)
	v_mul_f64 v[48:49], v[48:49], v[50:51]
	s_cbranch_execz .LBB21_80
	s_branch .LBB21_81
.LBB21_79:
                                        ; implicit-def: $vgpr48_vgpr49
.LBB21_80:
	ds_read_b64 v[48:49], v1
.LBB21_81:
	s_and_saveexec_b64 s[8:9], s[2:3]
	s_cbranch_execz .LBB21_85
; %bb.82:
	s_movk_i32 s16, 0x68
	v_add_u32_e32 v50, -13, v0
	s_movk_i32 s17, 0x118
	s_mov_b64 s[2:3], 0
.LBB21_83:                              ; =>This Inner Loop Header: Depth=1
	scratch_load_dwordx2 v[52:53], off, s16
	v_mov_b32_e32 v51, s17
	ds_read_b64 v[54:55], v51
	v_add_u32_e32 v50, -1, v50
	s_add_i32 s17, s17, 8
	s_add_i32 s16, s16, 8
	v_cmp_eq_u32_e32 vcc, 0, v50
	s_or_b64 s[2:3], vcc, s[2:3]
	s_waitcnt vmcnt(0) lgkmcnt(0)
	v_fmac_f64_e32 v[48:49], v[52:53], v[54:55]
	s_andn2_b64 exec, exec, s[2:3]
	s_cbranch_execnz .LBB21_83
; %bb.84:
	s_or_b64 exec, exec, s[2:3]
.LBB21_85:
	s_or_b64 exec, exec, s[8:9]
	v_mov_b32_e32 v50, 0
	ds_read_b64 v[50:51], v50 offset:96
	s_waitcnt lgkmcnt(0)
	v_mul_f64 v[48:49], v[48:49], v[50:51]
	scratch_store_dwordx2 off, v[48:49], off offset:96
.LBB21_86:
	s_or_b64 exec, exec, s[4:5]
	scratch_load_dwordx2 v[48:49], off, off offset:88
	v_cmp_lt_u32_e64 s[2:3], 11, v0
	s_waitcnt vmcnt(0)
	ds_write_b64 v1, v[48:49]
	s_waitcnt lgkmcnt(0)
	; wave barrier
	s_and_saveexec_b64 s[4:5], s[2:3]
	s_cbranch_execz .LBB21_96
; %bb.87:
	s_andn2_b64 vcc, exec, s[6:7]
	s_cbranch_vccnz .LBB21_89
; %bb.88:
	scratch_load_dwordx2 v[48:49], v21, off
	ds_read_b64 v[50:51], v1
	s_waitcnt vmcnt(0) lgkmcnt(0)
	v_mul_f64 v[48:49], v[48:49], v[50:51]
	s_cbranch_execz .LBB21_90
	s_branch .LBB21_91
.LBB21_89:
                                        ; implicit-def: $vgpr48_vgpr49
.LBB21_90:
	ds_read_b64 v[48:49], v1
.LBB21_91:
	s_and_saveexec_b64 s[8:9], s[0:1]
	s_cbranch_execz .LBB21_95
; %bb.92:
	v_add_u32_e32 v50, -12, v0
	s_movk_i32 s16, 0x110
	s_mov_b64 s[0:1], 0
.LBB21_93:                              ; =>This Inner Loop Header: Depth=1
	scratch_load_dwordx2 v[52:53], off, s15
	v_mov_b32_e32 v51, s16
	ds_read_b64 v[54:55], v51
	v_add_u32_e32 v50, -1, v50
	s_add_i32 s16, s16, 8
	s_add_i32 s15, s15, 8
	v_cmp_eq_u32_e32 vcc, 0, v50
	s_or_b64 s[0:1], vcc, s[0:1]
	s_waitcnt vmcnt(0) lgkmcnt(0)
	v_fmac_f64_e32 v[48:49], v[52:53], v[54:55]
	s_andn2_b64 exec, exec, s[0:1]
	s_cbranch_execnz .LBB21_93
; %bb.94:
	s_or_b64 exec, exec, s[0:1]
.LBB21_95:
	s_or_b64 exec, exec, s[8:9]
	v_mov_b32_e32 v50, 0
	ds_read_b64 v[50:51], v50 offset:88
	s_waitcnt lgkmcnt(0)
	v_mul_f64 v[48:49], v[48:49], v[50:51]
	scratch_store_dwordx2 off, v[48:49], off offset:88
.LBB21_96:
	s_or_b64 exec, exec, s[4:5]
	scratch_load_dwordx2 v[48:49], off, off offset:80
	v_cmp_lt_u32_e64 s[0:1], 10, v0
	s_waitcnt vmcnt(0)
	ds_write_b64 v1, v[48:49]
	s_waitcnt lgkmcnt(0)
	; wave barrier
	s_and_saveexec_b64 s[4:5], s[0:1]
	s_cbranch_execz .LBB21_106
; %bb.97:
	s_andn2_b64 vcc, exec, s[6:7]
	s_cbranch_vccnz .LBB21_99
; %bb.98:
	scratch_load_dwordx2 v[48:49], v21, off
	ds_read_b64 v[50:51], v1
	s_waitcnt vmcnt(0) lgkmcnt(0)
	v_mul_f64 v[48:49], v[48:49], v[50:51]
	s_cbranch_execz .LBB21_100
	s_branch .LBB21_101
.LBB21_99:
                                        ; implicit-def: $vgpr48_vgpr49
.LBB21_100:
	ds_read_b64 v[48:49], v1
.LBB21_101:
	s_and_saveexec_b64 s[8:9], s[2:3]
	s_cbranch_execz .LBB21_105
; %bb.102:
	s_movk_i32 s15, 0x58
	v_add_u32_e32 v50, -11, v0
	s_movk_i32 s16, 0x108
	s_mov_b64 s[2:3], 0
.LBB21_103:                             ; =>This Inner Loop Header: Depth=1
	scratch_load_dwordx2 v[52:53], off, s15
	v_mov_b32_e32 v51, s16
	ds_read_b64 v[54:55], v51
	v_add_u32_e32 v50, -1, v50
	s_add_i32 s16, s16, 8
	s_add_i32 s15, s15, 8
	v_cmp_eq_u32_e32 vcc, 0, v50
	s_or_b64 s[2:3], vcc, s[2:3]
	s_waitcnt vmcnt(0) lgkmcnt(0)
	v_fmac_f64_e32 v[48:49], v[52:53], v[54:55]
	s_andn2_b64 exec, exec, s[2:3]
	s_cbranch_execnz .LBB21_103
; %bb.104:
	s_or_b64 exec, exec, s[2:3]
.LBB21_105:
	s_or_b64 exec, exec, s[8:9]
	v_mov_b32_e32 v50, 0
	ds_read_b64 v[50:51], v50 offset:80
	s_waitcnt lgkmcnt(0)
	v_mul_f64 v[48:49], v[48:49], v[50:51]
	scratch_store_dwordx2 off, v[48:49], off offset:80
.LBB21_106:
	s_or_b64 exec, exec, s[4:5]
	scratch_load_dwordx2 v[48:49], off, off offset:72
	v_cmp_lt_u32_e64 s[2:3], 9, v0
	s_waitcnt vmcnt(0)
	ds_write_b64 v1, v[48:49]
	s_waitcnt lgkmcnt(0)
	; wave barrier
	s_and_saveexec_b64 s[4:5], s[2:3]
	s_cbranch_execz .LBB21_116
; %bb.107:
	s_andn2_b64 vcc, exec, s[6:7]
	s_cbranch_vccnz .LBB21_109
; %bb.108:
	scratch_load_dwordx2 v[48:49], v21, off
	ds_read_b64 v[50:51], v1
	s_waitcnt vmcnt(0) lgkmcnt(0)
	v_mul_f64 v[48:49], v[48:49], v[50:51]
	s_cbranch_execz .LBB21_110
	s_branch .LBB21_111
.LBB21_109:
                                        ; implicit-def: $vgpr48_vgpr49
.LBB21_110:
	ds_read_b64 v[48:49], v1
.LBB21_111:
	s_and_saveexec_b64 s[8:9], s[0:1]
	s_cbranch_execz .LBB21_115
; %bb.112:
	v_add_u32_e32 v50, -10, v0
	s_movk_i32 s15, 0x100
	s_mov_b64 s[0:1], 0
.LBB21_113:                             ; =>This Inner Loop Header: Depth=1
	scratch_load_dwordx2 v[52:53], off, s14
	v_mov_b32_e32 v51, s15
	ds_read_b64 v[54:55], v51
	v_add_u32_e32 v50, -1, v50
	s_add_i32 s15, s15, 8
	s_add_i32 s14, s14, 8
	v_cmp_eq_u32_e32 vcc, 0, v50
	s_or_b64 s[0:1], vcc, s[0:1]
	s_waitcnt vmcnt(0) lgkmcnt(0)
	v_fmac_f64_e32 v[48:49], v[52:53], v[54:55]
	s_andn2_b64 exec, exec, s[0:1]
	s_cbranch_execnz .LBB21_113
; %bb.114:
	s_or_b64 exec, exec, s[0:1]
.LBB21_115:
	s_or_b64 exec, exec, s[8:9]
	v_mov_b32_e32 v50, 0
	ds_read_b64 v[50:51], v50 offset:72
	s_waitcnt lgkmcnt(0)
	v_mul_f64 v[48:49], v[48:49], v[50:51]
	scratch_store_dwordx2 off, v[48:49], off offset:72
.LBB21_116:
	s_or_b64 exec, exec, s[4:5]
	scratch_load_dwordx2 v[48:49], off, off offset:64
	v_cmp_lt_u32_e64 s[0:1], 8, v0
	s_waitcnt vmcnt(0)
	ds_write_b64 v1, v[48:49]
	s_waitcnt lgkmcnt(0)
	; wave barrier
	s_and_saveexec_b64 s[4:5], s[0:1]
	s_cbranch_execz .LBB21_126
; %bb.117:
	s_andn2_b64 vcc, exec, s[6:7]
	s_cbranch_vccnz .LBB21_119
; %bb.118:
	scratch_load_dwordx2 v[48:49], v21, off
	ds_read_b64 v[50:51], v1
	s_waitcnt vmcnt(0) lgkmcnt(0)
	v_mul_f64 v[48:49], v[48:49], v[50:51]
	s_cbranch_execz .LBB21_120
	s_branch .LBB21_121
.LBB21_119:
                                        ; implicit-def: $vgpr48_vgpr49
.LBB21_120:
	ds_read_b64 v[48:49], v1
.LBB21_121:
	s_and_saveexec_b64 s[8:9], s[2:3]
	s_cbranch_execz .LBB21_125
; %bb.122:
	s_movk_i32 s14, 0x48
	v_add_u32_e32 v50, -9, v0
	s_movk_i32 s15, 0xf8
	s_mov_b64 s[2:3], 0
.LBB21_123:                             ; =>This Inner Loop Header: Depth=1
	scratch_load_dwordx2 v[52:53], off, s14
	v_mov_b32_e32 v51, s15
	ds_read_b64 v[54:55], v51
	v_add_u32_e32 v50, -1, v50
	s_add_i32 s15, s15, 8
	s_add_i32 s14, s14, 8
	v_cmp_eq_u32_e32 vcc, 0, v50
	s_or_b64 s[2:3], vcc, s[2:3]
	s_waitcnt vmcnt(0) lgkmcnt(0)
	v_fmac_f64_e32 v[48:49], v[52:53], v[54:55]
	s_andn2_b64 exec, exec, s[2:3]
	s_cbranch_execnz .LBB21_123
; %bb.124:
	s_or_b64 exec, exec, s[2:3]
.LBB21_125:
	s_or_b64 exec, exec, s[8:9]
	v_mov_b32_e32 v50, 0
	ds_read_b64 v[50:51], v50 offset:64
	s_waitcnt lgkmcnt(0)
	v_mul_f64 v[48:49], v[48:49], v[50:51]
	scratch_store_dwordx2 off, v[48:49], off offset:64
.LBB21_126:
	s_or_b64 exec, exec, s[4:5]
	scratch_load_dwordx2 v[48:49], off, off offset:56
	v_cmp_lt_u32_e64 s[2:3], 7, v0
	s_waitcnt vmcnt(0)
	ds_write_b64 v1, v[48:49]
	s_waitcnt lgkmcnt(0)
	; wave barrier
	s_and_saveexec_b64 s[4:5], s[2:3]
	s_cbranch_execz .LBB21_136
; %bb.127:
	s_andn2_b64 vcc, exec, s[6:7]
	s_cbranch_vccnz .LBB21_129
; %bb.128:
	scratch_load_dwordx2 v[48:49], v21, off
	ds_read_b64 v[50:51], v1
	s_waitcnt vmcnt(0) lgkmcnt(0)
	v_mul_f64 v[48:49], v[48:49], v[50:51]
	s_cbranch_execz .LBB21_130
	s_branch .LBB21_131
.LBB21_129:
                                        ; implicit-def: $vgpr48_vgpr49
.LBB21_130:
	ds_read_b64 v[48:49], v1
.LBB21_131:
	s_and_saveexec_b64 s[8:9], s[0:1]
	s_cbranch_execz .LBB21_135
; %bb.132:
	v_add_u32_e32 v50, -8, v0
	s_movk_i32 s14, 0xf0
	s_mov_b64 s[0:1], 0
.LBB21_133:                             ; =>This Inner Loop Header: Depth=1
	scratch_load_dwordx2 v[52:53], off, s13
	v_mov_b32_e32 v51, s14
	ds_read_b64 v[54:55], v51
	v_add_u32_e32 v50, -1, v50
	s_add_i32 s14, s14, 8
	s_add_i32 s13, s13, 8
	v_cmp_eq_u32_e32 vcc, 0, v50
	s_or_b64 s[0:1], vcc, s[0:1]
	s_waitcnt vmcnt(0) lgkmcnt(0)
	v_fmac_f64_e32 v[48:49], v[52:53], v[54:55]
	s_andn2_b64 exec, exec, s[0:1]
	s_cbranch_execnz .LBB21_133
; %bb.134:
	s_or_b64 exec, exec, s[0:1]
.LBB21_135:
	s_or_b64 exec, exec, s[8:9]
	v_mov_b32_e32 v50, 0
	ds_read_b64 v[50:51], v50 offset:56
	s_waitcnt lgkmcnt(0)
	v_mul_f64 v[48:49], v[48:49], v[50:51]
	scratch_store_dwordx2 off, v[48:49], off offset:56
.LBB21_136:
	s_or_b64 exec, exec, s[4:5]
	scratch_load_dwordx2 v[48:49], off, off offset:48
	v_cmp_lt_u32_e64 s[0:1], 6, v0
	s_waitcnt vmcnt(0)
	ds_write_b64 v1, v[48:49]
	s_waitcnt lgkmcnt(0)
	; wave barrier
	s_and_saveexec_b64 s[4:5], s[0:1]
	s_cbranch_execz .LBB21_146
; %bb.137:
	s_andn2_b64 vcc, exec, s[6:7]
	s_cbranch_vccnz .LBB21_139
; %bb.138:
	scratch_load_dwordx2 v[48:49], v21, off
	ds_read_b64 v[50:51], v1
	s_waitcnt vmcnt(0) lgkmcnt(0)
	v_mul_f64 v[48:49], v[48:49], v[50:51]
	s_cbranch_execz .LBB21_140
	s_branch .LBB21_141
.LBB21_139:
                                        ; implicit-def: $vgpr48_vgpr49
.LBB21_140:
	ds_read_b64 v[48:49], v1
.LBB21_141:
	s_and_saveexec_b64 s[8:9], s[2:3]
	s_cbranch_execz .LBB21_145
; %bb.142:
	s_mov_b32 s13, 56
	v_add_u32_e32 v50, -7, v0
	s_movk_i32 s14, 0xe8
	s_mov_b64 s[2:3], 0
.LBB21_143:                             ; =>This Inner Loop Header: Depth=1
	scratch_load_dwordx2 v[52:53], off, s13
	v_mov_b32_e32 v51, s14
	ds_read_b64 v[54:55], v51
	v_add_u32_e32 v50, -1, v50
	s_add_i32 s14, s14, 8
	s_add_i32 s13, s13, 8
	v_cmp_eq_u32_e32 vcc, 0, v50
	s_or_b64 s[2:3], vcc, s[2:3]
	s_waitcnt vmcnt(0) lgkmcnt(0)
	v_fmac_f64_e32 v[48:49], v[52:53], v[54:55]
	s_andn2_b64 exec, exec, s[2:3]
	s_cbranch_execnz .LBB21_143
; %bb.144:
	s_or_b64 exec, exec, s[2:3]
.LBB21_145:
	s_or_b64 exec, exec, s[8:9]
	v_mov_b32_e32 v50, 0
	ds_read_b64 v[50:51], v50 offset:48
	s_waitcnt lgkmcnt(0)
	v_mul_f64 v[48:49], v[48:49], v[50:51]
	scratch_store_dwordx2 off, v[48:49], off offset:48
.LBB21_146:
	s_or_b64 exec, exec, s[4:5]
	scratch_load_dwordx2 v[48:49], off, off offset:40
	v_cmp_lt_u32_e64 s[2:3], 5, v0
	s_waitcnt vmcnt(0)
	ds_write_b64 v1, v[48:49]
	s_waitcnt lgkmcnt(0)
	; wave barrier
	s_and_saveexec_b64 s[4:5], s[2:3]
	s_cbranch_execz .LBB21_156
; %bb.147:
	s_andn2_b64 vcc, exec, s[6:7]
	s_cbranch_vccnz .LBB21_149
; %bb.148:
	scratch_load_dwordx2 v[48:49], v21, off
	ds_read_b64 v[50:51], v1
	s_waitcnt vmcnt(0) lgkmcnt(0)
	v_mul_f64 v[48:49], v[48:49], v[50:51]
	s_cbranch_execz .LBB21_150
	s_branch .LBB21_151
.LBB21_149:
                                        ; implicit-def: $vgpr48_vgpr49
.LBB21_150:
	ds_read_b64 v[48:49], v1
.LBB21_151:
	s_and_saveexec_b64 s[8:9], s[0:1]
	s_cbranch_execz .LBB21_155
; %bb.152:
	v_add_u32_e32 v50, -6, v0
	s_movk_i32 s13, 0xe0
	s_mov_b64 s[0:1], 0
.LBB21_153:                             ; =>This Inner Loop Header: Depth=1
	scratch_load_dwordx2 v[52:53], off, s12
	v_mov_b32_e32 v51, s13
	ds_read_b64 v[54:55], v51
	v_add_u32_e32 v50, -1, v50
	s_add_i32 s13, s13, 8
	s_add_i32 s12, s12, 8
	v_cmp_eq_u32_e32 vcc, 0, v50
	s_or_b64 s[0:1], vcc, s[0:1]
	s_waitcnt vmcnt(0) lgkmcnt(0)
	v_fmac_f64_e32 v[48:49], v[52:53], v[54:55]
	s_andn2_b64 exec, exec, s[0:1]
	s_cbranch_execnz .LBB21_153
; %bb.154:
	s_or_b64 exec, exec, s[0:1]
.LBB21_155:
	s_or_b64 exec, exec, s[8:9]
	v_mov_b32_e32 v50, 0
	ds_read_b64 v[50:51], v50 offset:40
	s_waitcnt lgkmcnt(0)
	v_mul_f64 v[48:49], v[48:49], v[50:51]
	scratch_store_dwordx2 off, v[48:49], off offset:40
.LBB21_156:
	s_or_b64 exec, exec, s[4:5]
	scratch_load_dwordx2 v[48:49], off, off offset:32
	v_cmp_lt_u32_e64 s[0:1], 4, v0
	s_waitcnt vmcnt(0)
	ds_write_b64 v1, v[48:49]
	s_waitcnt lgkmcnt(0)
	; wave barrier
	s_and_saveexec_b64 s[4:5], s[0:1]
	s_cbranch_execz .LBB21_166
; %bb.157:
	s_andn2_b64 vcc, exec, s[6:7]
	s_cbranch_vccnz .LBB21_159
; %bb.158:
	scratch_load_dwordx2 v[48:49], v21, off
	ds_read_b64 v[50:51], v1
	s_waitcnt vmcnt(0) lgkmcnt(0)
	v_mul_f64 v[48:49], v[48:49], v[50:51]
	s_cbranch_execz .LBB21_160
	s_branch .LBB21_161
.LBB21_159:
                                        ; implicit-def: $vgpr48_vgpr49
.LBB21_160:
	ds_read_b64 v[48:49], v1
.LBB21_161:
	s_and_saveexec_b64 s[8:9], s[2:3]
	s_cbranch_execz .LBB21_165
; %bb.162:
	s_mov_b32 s12, 40
	v_add_u32_e32 v50, -5, v0
	s_movk_i32 s13, 0xd8
	s_mov_b64 s[2:3], 0
.LBB21_163:                             ; =>This Inner Loop Header: Depth=1
	scratch_load_dwordx2 v[52:53], off, s12
	v_mov_b32_e32 v51, s13
	ds_read_b64 v[54:55], v51
	v_add_u32_e32 v50, -1, v50
	s_add_i32 s13, s13, 8
	s_add_i32 s12, s12, 8
	v_cmp_eq_u32_e32 vcc, 0, v50
	s_or_b64 s[2:3], vcc, s[2:3]
	s_waitcnt vmcnt(0) lgkmcnt(0)
	v_fmac_f64_e32 v[48:49], v[52:53], v[54:55]
	s_andn2_b64 exec, exec, s[2:3]
	s_cbranch_execnz .LBB21_163
; %bb.164:
	s_or_b64 exec, exec, s[2:3]
.LBB21_165:
	s_or_b64 exec, exec, s[8:9]
	v_mov_b32_e32 v50, 0
	ds_read_b64 v[50:51], v50 offset:32
	s_waitcnt lgkmcnt(0)
	v_mul_f64 v[48:49], v[48:49], v[50:51]
	scratch_store_dwordx2 off, v[48:49], off offset:32
.LBB21_166:
	s_or_b64 exec, exec, s[4:5]
	scratch_load_dwordx2 v[48:49], off, off offset:24
	v_cmp_lt_u32_e64 s[2:3], 3, v0
	s_waitcnt vmcnt(0)
	ds_write_b64 v1, v[48:49]
	s_waitcnt lgkmcnt(0)
	; wave barrier
	s_and_saveexec_b64 s[4:5], s[2:3]
	s_cbranch_execz .LBB21_176
; %bb.167:
	s_andn2_b64 vcc, exec, s[6:7]
	s_cbranch_vccnz .LBB21_169
; %bb.168:
	scratch_load_dwordx2 v[48:49], v21, off
	ds_read_b64 v[50:51], v1
	s_waitcnt vmcnt(0) lgkmcnt(0)
	v_mul_f64 v[48:49], v[48:49], v[50:51]
	s_cbranch_execz .LBB21_170
	s_branch .LBB21_171
.LBB21_169:
                                        ; implicit-def: $vgpr48_vgpr49
.LBB21_170:
	ds_read_b64 v[48:49], v1
.LBB21_171:
	s_and_saveexec_b64 s[8:9], s[0:1]
	s_cbranch_execz .LBB21_175
; %bb.172:
	v_add_u32_e32 v50, -4, v0
	s_movk_i32 s12, 0xd0
	s_mov_b64 s[0:1], 0
.LBB21_173:                             ; =>This Inner Loop Header: Depth=1
	scratch_load_dwordx2 v[52:53], off, s11
	v_mov_b32_e32 v51, s12
	ds_read_b64 v[54:55], v51
	v_add_u32_e32 v50, -1, v50
	s_add_i32 s12, s12, 8
	s_add_i32 s11, s11, 8
	v_cmp_eq_u32_e32 vcc, 0, v50
	s_or_b64 s[0:1], vcc, s[0:1]
	s_waitcnt vmcnt(0) lgkmcnt(0)
	v_fmac_f64_e32 v[48:49], v[52:53], v[54:55]
	s_andn2_b64 exec, exec, s[0:1]
	s_cbranch_execnz .LBB21_173
; %bb.174:
	s_or_b64 exec, exec, s[0:1]
.LBB21_175:
	s_or_b64 exec, exec, s[8:9]
	v_mov_b32_e32 v50, 0
	ds_read_b64 v[50:51], v50 offset:24
	s_waitcnt lgkmcnt(0)
	v_mul_f64 v[48:49], v[48:49], v[50:51]
	scratch_store_dwordx2 off, v[48:49], off offset:24
.LBB21_176:
	s_or_b64 exec, exec, s[4:5]
	scratch_load_dwordx2 v[48:49], off, off offset:16
	v_cmp_lt_u32_e64 s[0:1], 2, v0
	s_waitcnt vmcnt(0)
	ds_write_b64 v1, v[48:49]
	s_waitcnt lgkmcnt(0)
	; wave barrier
	s_and_saveexec_b64 s[4:5], s[0:1]
	s_cbranch_execz .LBB21_186
; %bb.177:
	s_andn2_b64 vcc, exec, s[6:7]
	s_cbranch_vccnz .LBB21_179
; %bb.178:
	scratch_load_dwordx2 v[48:49], v21, off
	ds_read_b64 v[50:51], v1
	s_waitcnt vmcnt(0) lgkmcnt(0)
	v_mul_f64 v[48:49], v[48:49], v[50:51]
	s_cbranch_execz .LBB21_180
	s_branch .LBB21_181
.LBB21_179:
                                        ; implicit-def: $vgpr48_vgpr49
.LBB21_180:
	ds_read_b64 v[48:49], v1
.LBB21_181:
	s_and_saveexec_b64 s[8:9], s[2:3]
	s_cbranch_execz .LBB21_185
; %bb.182:
	s_mov_b32 s11, 24
	v_add_u32_e32 v50, -3, v0
	s_movk_i32 s12, 0xc8
	s_mov_b64 s[2:3], 0
.LBB21_183:                             ; =>This Inner Loop Header: Depth=1
	scratch_load_dwordx2 v[52:53], off, s11
	v_mov_b32_e32 v51, s12
	ds_read_b64 v[54:55], v51
	v_add_u32_e32 v50, -1, v50
	s_add_i32 s12, s12, 8
	s_add_i32 s11, s11, 8
	v_cmp_eq_u32_e32 vcc, 0, v50
	s_or_b64 s[2:3], vcc, s[2:3]
	s_waitcnt vmcnt(0) lgkmcnt(0)
	v_fmac_f64_e32 v[48:49], v[52:53], v[54:55]
	s_andn2_b64 exec, exec, s[2:3]
	s_cbranch_execnz .LBB21_183
; %bb.184:
	s_or_b64 exec, exec, s[2:3]
.LBB21_185:
	s_or_b64 exec, exec, s[8:9]
	v_mov_b32_e32 v50, 0
	ds_read_b64 v[50:51], v50 offset:16
	s_waitcnt lgkmcnt(0)
	v_mul_f64 v[48:49], v[48:49], v[50:51]
	scratch_store_dwordx2 off, v[48:49], off offset:16
.LBB21_186:
	s_or_b64 exec, exec, s[4:5]
	scratch_load_dwordx2 v[48:49], off, off offset:8
	v_cmp_lt_u32_e64 s[2:3], 1, v0
	s_waitcnt vmcnt(0)
	ds_write_b64 v1, v[48:49]
	s_waitcnt lgkmcnt(0)
	; wave barrier
	s_and_saveexec_b64 s[4:5], s[2:3]
	s_cbranch_execz .LBB21_196
; %bb.187:
	s_andn2_b64 vcc, exec, s[6:7]
	s_cbranch_vccnz .LBB21_189
; %bb.188:
	scratch_load_dwordx2 v[48:49], v21, off
	ds_read_b64 v[50:51], v1
	s_waitcnt vmcnt(0) lgkmcnt(0)
	v_mul_f64 v[48:49], v[48:49], v[50:51]
	s_cbranch_execz .LBB21_190
	s_branch .LBB21_191
.LBB21_189:
                                        ; implicit-def: $vgpr48_vgpr49
.LBB21_190:
	ds_read_b64 v[48:49], v1
.LBB21_191:
	s_and_saveexec_b64 s[8:9], s[0:1]
	s_cbranch_execz .LBB21_195
; %bb.192:
	v_add_u32_e32 v50, -2, v0
	s_movk_i32 s11, 0xc0
	s_mov_b64 s[0:1], 0
.LBB21_193:                             ; =>This Inner Loop Header: Depth=1
	scratch_load_dwordx2 v[52:53], off, s10
	v_mov_b32_e32 v51, s11
	ds_read_b64 v[54:55], v51
	v_add_u32_e32 v50, -1, v50
	s_add_i32 s11, s11, 8
	s_add_i32 s10, s10, 8
	v_cmp_eq_u32_e32 vcc, 0, v50
	s_or_b64 s[0:1], vcc, s[0:1]
	s_waitcnt vmcnt(0) lgkmcnt(0)
	v_fmac_f64_e32 v[48:49], v[52:53], v[54:55]
	s_andn2_b64 exec, exec, s[0:1]
	s_cbranch_execnz .LBB21_193
; %bb.194:
	s_or_b64 exec, exec, s[0:1]
.LBB21_195:
	s_or_b64 exec, exec, s[8:9]
	v_mov_b32_e32 v50, 0
	ds_read_b64 v[50:51], v50 offset:8
	s_waitcnt lgkmcnt(0)
	v_mul_f64 v[48:49], v[48:49], v[50:51]
	scratch_store_dwordx2 off, v[48:49], off offset:8
.LBB21_196:
	s_or_b64 exec, exec, s[4:5]
	scratch_load_dwordx2 v[48:49], off, off
	v_cmp_ne_u32_e32 vcc, 0, v0
	s_waitcnt vmcnt(0)
	ds_write_b64 v1, v[48:49]
	s_waitcnt lgkmcnt(0)
	; wave barrier
	s_and_saveexec_b64 s[0:1], vcc
	s_cbranch_execz .LBB21_206
; %bb.197:
	s_andn2_b64 vcc, exec, s[6:7]
	s_cbranch_vccnz .LBB21_199
; %bb.198:
	scratch_load_dwordx2 v[48:49], v21, off
	ds_read_b64 v[50:51], v1
	s_waitcnt vmcnt(0) lgkmcnt(0)
	v_mul_f64 v[48:49], v[48:49], v[50:51]
	s_cbranch_execz .LBB21_200
	s_branch .LBB21_201
.LBB21_199:
                                        ; implicit-def: $vgpr48_vgpr49
.LBB21_200:
	ds_read_b64 v[48:49], v1
.LBB21_201:
	s_and_saveexec_b64 s[4:5], s[2:3]
	s_cbranch_execz .LBB21_205
; %bb.202:
	s_or_b32 s8, 0, 8
	v_add_u32_e32 v50, -1, v0
	s_movk_i32 s9, 0xb8
	s_mov_b64 s[2:3], 0
.LBB21_203:                             ; =>This Inner Loop Header: Depth=1
	scratch_load_dwordx2 v[52:53], off, s8
	v_mov_b32_e32 v51, s9
	ds_read_b64 v[54:55], v51
	v_add_u32_e32 v50, -1, v50
	s_add_i32 s9, s9, 8
	s_add_i32 s8, s8, 8
	v_cmp_eq_u32_e32 vcc, 0, v50
	s_or_b64 s[2:3], vcc, s[2:3]
	s_waitcnt vmcnt(0) lgkmcnt(0)
	v_fmac_f64_e32 v[48:49], v[52:53], v[54:55]
	s_andn2_b64 exec, exec, s[2:3]
	s_cbranch_execnz .LBB21_203
; %bb.204:
	s_or_b64 exec, exec, s[2:3]
.LBB21_205:
	s_or_b64 exec, exec, s[4:5]
	v_mov_b32_e32 v50, 0
	ds_read_b64 v[50:51], v50
	s_waitcnt lgkmcnt(0)
	v_mul_f64 v[48:49], v[48:49], v[50:51]
	scratch_store_dwordx2 off, v[48:49], off
.LBB21_206:
	s_or_b64 exec, exec, s[0:1]
	s_mov_b64 s[0:1], 0
.LBB21_207:
	s_and_b64 vcc, exec, s[0:1]
	s_cbranch_vccz .LBB21_409
; %bb.208:
	scratch_load_dwordx2 v[48:49], off, off offset:8
	v_cmp_eq_u32_e64 s[2:3], 0, v0
	s_waitcnt vmcnt(0)
	ds_write_b64 v1, v[48:49]
	s_waitcnt lgkmcnt(0)
	; wave barrier
	s_and_saveexec_b64 s[0:1], s[2:3]
	s_cbranch_execz .LBB21_214
; %bb.209:
	s_and_b64 vcc, exec, s[6:7]
	s_cbranch_vccz .LBB21_211
; %bb.210:
	scratch_load_dwordx2 v[48:49], v21, off
	ds_read_b64 v[50:51], v1
	s_waitcnt vmcnt(0) lgkmcnt(0)
	v_mul_f64 v[48:49], v[48:49], v[50:51]
	s_cbranch_execz .LBB21_212
	s_branch .LBB21_213
.LBB21_211:
                                        ; implicit-def: $vgpr48_vgpr49
.LBB21_212:
	ds_read_b64 v[48:49], v1
.LBB21_213:
	v_mov_b32_e32 v50, 0
	ds_read_b64 v[50:51], v50 offset:8
	s_waitcnt lgkmcnt(0)
	v_mul_f64 v[48:49], v[48:49], v[50:51]
	scratch_store_dwordx2 off, v[48:49], off offset:8
.LBB21_214:
	s_or_b64 exec, exec, s[0:1]
	scratch_load_dwordx2 v[48:49], off, off offset:16
	v_cndmask_b32_e64 v50, 0, 1, s[6:7]
	v_cmp_gt_u32_e32 vcc, 2, v0
	v_cmp_ne_u32_e64 s[0:1], 1, v50
	s_waitcnt vmcnt(0)
	ds_write_b64 v1, v[48:49]
	s_waitcnt lgkmcnt(0)
	; wave barrier
	s_and_saveexec_b64 s[4:5], vcc
	s_cbranch_execz .LBB21_220
; %bb.215:
	s_and_b64 vcc, exec, s[0:1]
	s_cbranch_vccnz .LBB21_217
; %bb.216:
	scratch_load_dwordx2 v[48:49], v21, off
	ds_read_b64 v[50:51], v1
	s_waitcnt vmcnt(0) lgkmcnt(0)
	v_mul_f64 v[48:49], v[48:49], v[50:51]
	s_cbranch_execz .LBB21_218
	s_branch .LBB21_219
.LBB21_217:
                                        ; implicit-def: $vgpr48_vgpr49
.LBB21_218:
	ds_read_b64 v[48:49], v1
.LBB21_219:
	scratch_load_dwordx2 v[54:55], off, off offset:8
	v_mov_b32_e32 v50, 0
	ds_read2_b64 v[50:53], v50 offset0:2 offset1:23
	s_waitcnt vmcnt(0) lgkmcnt(0)
	v_fma_f64 v[52:53], v[54:55], v[52:53], v[48:49]
	v_cndmask_b32_e64 v49, v49, v53, s[2:3]
	v_cndmask_b32_e64 v48, v48, v52, s[2:3]
	v_mul_f64 v[48:49], v[48:49], v[50:51]
	scratch_store_dwordx2 off, v[48:49], off offset:16
.LBB21_220:
	s_or_b64 exec, exec, s[4:5]
	scratch_load_dwordx2 v[48:49], off, off offset:24
	v_cmp_gt_u32_e32 vcc, 3, v0
	s_waitcnt vmcnt(0)
	ds_write_b64 v1, v[48:49]
	s_waitcnt lgkmcnt(0)
	; wave barrier
	s_and_saveexec_b64 s[4:5], vcc
	s_cbranch_execz .LBB21_228
; %bb.221:
	s_and_b64 vcc, exec, s[0:1]
	s_cbranch_vccnz .LBB21_223
; %bb.222:
	scratch_load_dwordx2 v[48:49], v21, off
	ds_read_b64 v[50:51], v1
	s_waitcnt vmcnt(0) lgkmcnt(0)
	v_mul_f64 v[48:49], v[48:49], v[50:51]
	s_cbranch_execz .LBB21_224
	s_branch .LBB21_225
.LBB21_223:
                                        ; implicit-def: $vgpr48_vgpr49
.LBB21_224:
	ds_read_b64 v[48:49], v1
.LBB21_225:
	v_cmp_ne_u32_e32 vcc, 2, v0
	s_and_saveexec_b64 s[6:7], vcc
	s_cbranch_execz .LBB21_227
; %bb.226:
	scratch_load_dwordx2 v[50:51], v21, off offset:8
	scratch_load_dwordx2 v[52:53], off, off offset:16
	ds_read_b64 v[54:55], v1 offset:8
	v_mov_b32_e32 v56, 0
	ds_read_b64 v[56:57], v56 offset:192
	s_waitcnt vmcnt(1) lgkmcnt(1)
	v_fmac_f64_e32 v[48:49], v[50:51], v[54:55]
	s_waitcnt vmcnt(0) lgkmcnt(0)
	v_fma_f64 v[50:51], v[52:53], v[56:57], v[48:49]
	v_cndmask_b32_e64 v49, v49, v51, s[2:3]
	v_cndmask_b32_e64 v48, v48, v50, s[2:3]
.LBB21_227:
	s_or_b64 exec, exec, s[6:7]
	v_mov_b32_e32 v50, 0
	ds_read_b64 v[50:51], v50 offset:24
	s_waitcnt lgkmcnt(0)
	v_mul_f64 v[48:49], v[48:49], v[50:51]
	scratch_store_dwordx2 off, v[48:49], off offset:24
.LBB21_228:
	s_or_b64 exec, exec, s[4:5]
	scratch_load_dwordx2 v[48:49], off, off offset:32
	v_cmp_gt_u32_e32 vcc, 4, v0
	s_waitcnt vmcnt(0)
	ds_write_b64 v1, v[48:49]
	s_waitcnt lgkmcnt(0)
	; wave barrier
	s_and_saveexec_b64 s[2:3], vcc
	s_cbranch_execz .LBB21_238
; %bb.229:
	s_and_b64 vcc, exec, s[0:1]
	s_cbranch_vccnz .LBB21_231
; %bb.230:
	scratch_load_dwordx2 v[48:49], v21, off
	ds_read_b64 v[50:51], v1
	s_waitcnt vmcnt(0) lgkmcnt(0)
	v_mul_f64 v[48:49], v[48:49], v[50:51]
	s_cbranch_execz .LBB21_232
	s_branch .LBB21_233
.LBB21_231:
                                        ; implicit-def: $vgpr48_vgpr49
.LBB21_232:
	ds_read_b64 v[48:49], v1
.LBB21_233:
	v_cmp_ne_u32_e32 vcc, 3, v0
	s_and_saveexec_b64 s[4:5], vcc
	s_cbranch_execz .LBB21_237
; %bb.234:
	s_mov_b32 s6, 0
	v_add_u32_e32 v50, 0xb8, v20
	v_add3_u32 v51, v20, s6, 8
	s_mov_b64 s[6:7], 0
	v_mov_b32_e32 v52, v0
.LBB21_235:                             ; =>This Inner Loop Header: Depth=1
	scratch_load_dwordx2 v[54:55], v51, off
	ds_read_b64 v[56:57], v50
	v_add_u32_e32 v52, 1, v52
	v_cmp_lt_u32_e32 vcc, 2, v52
	v_add_u32_e32 v50, 8, v50
	v_add_u32_e32 v51, 8, v51
	s_or_b64 s[6:7], vcc, s[6:7]
	s_waitcnt vmcnt(0) lgkmcnt(0)
	v_fmac_f64_e32 v[48:49], v[54:55], v[56:57]
	s_andn2_b64 exec, exec, s[6:7]
	s_cbranch_execnz .LBB21_235
; %bb.236:
	s_or_b64 exec, exec, s[6:7]
.LBB21_237:
	s_or_b64 exec, exec, s[4:5]
	v_mov_b32_e32 v50, 0
	ds_read_b64 v[50:51], v50 offset:32
	s_waitcnt lgkmcnt(0)
	v_mul_f64 v[48:49], v[48:49], v[50:51]
	scratch_store_dwordx2 off, v[48:49], off offset:32
.LBB21_238:
	s_or_b64 exec, exec, s[2:3]
	scratch_load_dwordx2 v[48:49], off, off offset:40
	v_cmp_gt_u32_e32 vcc, 5, v0
	s_waitcnt vmcnt(0)
	ds_write_b64 v1, v[48:49]
	s_waitcnt lgkmcnt(0)
	; wave barrier
	s_and_saveexec_b64 s[2:3], vcc
	s_cbranch_execz .LBB21_248
; %bb.239:
	s_and_b64 vcc, exec, s[0:1]
	s_cbranch_vccnz .LBB21_241
; %bb.240:
	scratch_load_dwordx2 v[48:49], v21, off
	ds_read_b64 v[50:51], v1
	s_waitcnt vmcnt(0) lgkmcnt(0)
	v_mul_f64 v[48:49], v[48:49], v[50:51]
	s_cbranch_execz .LBB21_242
	s_branch .LBB21_243
.LBB21_241:
                                        ; implicit-def: $vgpr48_vgpr49
.LBB21_242:
	ds_read_b64 v[48:49], v1
.LBB21_243:
	v_cmp_ne_u32_e32 vcc, 4, v0
	s_and_saveexec_b64 s[4:5], vcc
	s_cbranch_execz .LBB21_247
; %bb.244:
	s_mov_b32 s6, 0
	v_add_u32_e32 v50, 0xb8, v20
	v_add3_u32 v51, v20, s6, 8
	s_mov_b64 s[6:7], 0
	v_mov_b32_e32 v52, v0
.LBB21_245:                             ; =>This Inner Loop Header: Depth=1
	scratch_load_dwordx2 v[54:55], v51, off
	ds_read_b64 v[56:57], v50
	v_add_u32_e32 v52, 1, v52
	v_cmp_lt_u32_e32 vcc, 3, v52
	v_add_u32_e32 v50, 8, v50
	v_add_u32_e32 v51, 8, v51
	s_or_b64 s[6:7], vcc, s[6:7]
	s_waitcnt vmcnt(0) lgkmcnt(0)
	v_fmac_f64_e32 v[48:49], v[54:55], v[56:57]
	s_andn2_b64 exec, exec, s[6:7]
	s_cbranch_execnz .LBB21_245
; %bb.246:
	s_or_b64 exec, exec, s[6:7]
.LBB21_247:
	s_or_b64 exec, exec, s[4:5]
	v_mov_b32_e32 v50, 0
	ds_read_b64 v[50:51], v50 offset:40
	s_waitcnt lgkmcnt(0)
	v_mul_f64 v[48:49], v[48:49], v[50:51]
	scratch_store_dwordx2 off, v[48:49], off offset:40
.LBB21_248:
	;; [unrolled: 55-line block ×16, first 2 shown]
	s_or_b64 exec, exec, s[2:3]
	scratch_load_dwordx2 v[48:49], off, off offset:160
	v_cmp_gt_u32_e64 s[2:3], 20, v0
	s_waitcnt vmcnt(0)
	ds_write_b64 v1, v[48:49]
	s_waitcnt lgkmcnt(0)
	; wave barrier
	s_and_saveexec_b64 s[4:5], s[2:3]
	s_cbranch_execz .LBB21_398
; %bb.389:
	s_and_b64 vcc, exec, s[0:1]
	s_cbranch_vccnz .LBB21_391
; %bb.390:
	scratch_load_dwordx2 v[48:49], v21, off
	ds_read_b64 v[50:51], v1
	s_waitcnt vmcnt(0) lgkmcnt(0)
	v_mul_f64 v[48:49], v[48:49], v[50:51]
	s_cbranch_execz .LBB21_392
	s_branch .LBB21_393
.LBB21_391:
                                        ; implicit-def: $vgpr48_vgpr49
.LBB21_392:
	ds_read_b64 v[48:49], v1
.LBB21_393:
	v_cmp_ne_u32_e32 vcc, 19, v0
	s_and_saveexec_b64 s[6:7], vcc
	s_cbranch_execz .LBB21_397
; %bb.394:
	s_mov_b32 s8, 0
	v_add_u32_e32 v50, 0xb8, v20
	v_add3_u32 v51, v20, s8, 8
	s_mov_b64 s[8:9], 0
	v_mov_b32_e32 v52, v0
.LBB21_395:                             ; =>This Inner Loop Header: Depth=1
	scratch_load_dwordx2 v[54:55], v51, off
	ds_read_b64 v[56:57], v50
	v_add_u32_e32 v52, 1, v52
	v_cmp_lt_u32_e32 vcc, 18, v52
	v_add_u32_e32 v50, 8, v50
	v_add_u32_e32 v51, 8, v51
	s_or_b64 s[8:9], vcc, s[8:9]
	s_waitcnt vmcnt(0) lgkmcnt(0)
	v_fmac_f64_e32 v[48:49], v[54:55], v[56:57]
	s_andn2_b64 exec, exec, s[8:9]
	s_cbranch_execnz .LBB21_395
; %bb.396:
	s_or_b64 exec, exec, s[8:9]
.LBB21_397:
	s_or_b64 exec, exec, s[6:7]
	v_mov_b32_e32 v50, 0
	ds_read_b64 v[50:51], v50 offset:160
	s_waitcnt lgkmcnt(0)
	v_mul_f64 v[48:49], v[48:49], v[50:51]
	scratch_store_dwordx2 off, v[48:49], off offset:160
.LBB21_398:
	s_or_b64 exec, exec, s[4:5]
	scratch_load_dwordx2 v[48:49], off, off offset:168
	v_cmp_ne_u32_e32 vcc, 21, v0
	s_waitcnt vmcnt(0)
	ds_write_b64 v1, v[48:49]
	s_waitcnt lgkmcnt(0)
	; wave barrier
	s_and_saveexec_b64 s[4:5], vcc
	s_cbranch_execz .LBB21_408
; %bb.399:
	s_and_b64 vcc, exec, s[0:1]
	s_cbranch_vccnz .LBB21_401
; %bb.400:
	scratch_load_dwordx2 v[48:49], v21, off
	ds_read_b64 v[50:51], v1
	s_waitcnt vmcnt(0) lgkmcnt(0)
	v_mul_f64 v[48:49], v[48:49], v[50:51]
	s_cbranch_execz .LBB21_402
	s_branch .LBB21_403
.LBB21_401:
                                        ; implicit-def: $vgpr48_vgpr49
.LBB21_402:
	ds_read_b64 v[48:49], v1
.LBB21_403:
	s_and_saveexec_b64 s[0:1], s[2:3]
	s_cbranch_execz .LBB21_407
; %bb.404:
	s_mov_b32 s2, 0
	v_add_u32_e32 v1, 0xb8, v20
	v_add3_u32 v20, v20, s2, 8
	s_mov_b64 s[2:3], 0
.LBB21_405:                             ; =>This Inner Loop Header: Depth=1
	scratch_load_dwordx2 v[50:51], v20, off
	ds_read_b64 v[52:53], v1
	v_add_u32_e32 v0, 1, v0
	v_cmp_lt_u32_e32 vcc, 19, v0
	v_add_u32_e32 v1, 8, v1
	v_add_u32_e32 v20, 8, v20
	s_or_b64 s[2:3], vcc, s[2:3]
	s_waitcnt vmcnt(0) lgkmcnt(0)
	v_fmac_f64_e32 v[48:49], v[50:51], v[52:53]
	s_andn2_b64 exec, exec, s[2:3]
	s_cbranch_execnz .LBB21_405
; %bb.406:
	s_or_b64 exec, exec, s[2:3]
.LBB21_407:
	s_or_b64 exec, exec, s[0:1]
	v_mov_b32_e32 v0, 0
	ds_read_b64 v[0:1], v0 offset:168
	s_waitcnt lgkmcnt(0)
	v_mul_f64 v[0:1], v[48:49], v[0:1]
	scratch_store_dwordx2 off, v[0:1], off offset:168
.LBB21_408:
	s_or_b64 exec, exec, s[4:5]
.LBB21_409:
	scratch_load_dwordx4 v[48:51], off, off
	s_waitcnt vmcnt(0)
	global_store_dwordx2 v[2:3], v[48:49], off
	global_store_dwordx2 v[4:5], v[50:51], off
	scratch_load_dwordx4 v[0:3], off, off offset:16
	s_waitcnt vmcnt(0)
	global_store_dwordx2 v[6:7], v[0:1], off
	global_store_dwordx2 v[8:9], v[2:3], off
	scratch_load_dwordx4 v[0:3], off, off offset:32
	;; [unrolled: 4-line block ×10, first 2 shown]
	s_waitcnt vmcnt(0)
	global_store_dwordx2 v[38:39], v[0:1], off
	global_store_dwordx2 v[42:43], v[2:3], off
.LBB21_410:
	s_endpgm
	.section	.rodata,"a",@progbits
	.p2align	6, 0x0
	.amdhsa_kernel _ZN9rocsolver6v33100L18trti2_kernel_smallILi22EdPdEEv13rocblas_fill_17rocblas_diagonal_T1_iil
		.amdhsa_group_segment_fixed_size 352
		.amdhsa_private_segment_fixed_size 192
		.amdhsa_kernarg_size 32
		.amdhsa_user_sgpr_count 2
		.amdhsa_user_sgpr_dispatch_ptr 0
		.amdhsa_user_sgpr_queue_ptr 0
		.amdhsa_user_sgpr_kernarg_segment_ptr 1
		.amdhsa_user_sgpr_dispatch_id 0
		.amdhsa_user_sgpr_kernarg_preload_length 0
		.amdhsa_user_sgpr_kernarg_preload_offset 0
		.amdhsa_user_sgpr_private_segment_size 0
		.amdhsa_uses_dynamic_stack 0
		.amdhsa_enable_private_segment 1
		.amdhsa_system_sgpr_workgroup_id_x 1
		.amdhsa_system_sgpr_workgroup_id_y 0
		.amdhsa_system_sgpr_workgroup_id_z 0
		.amdhsa_system_sgpr_workgroup_info 0
		.amdhsa_system_vgpr_workitem_id 0
		.amdhsa_next_free_vgpr 58
		.amdhsa_next_free_sgpr 21
		.amdhsa_accum_offset 60
		.amdhsa_reserve_vcc 1
		.amdhsa_float_round_mode_32 0
		.amdhsa_float_round_mode_16_64 0
		.amdhsa_float_denorm_mode_32 3
		.amdhsa_float_denorm_mode_16_64 3
		.amdhsa_dx10_clamp 1
		.amdhsa_ieee_mode 1
		.amdhsa_fp16_overflow 0
		.amdhsa_tg_split 0
		.amdhsa_exception_fp_ieee_invalid_op 0
		.amdhsa_exception_fp_denorm_src 0
		.amdhsa_exception_fp_ieee_div_zero 0
		.amdhsa_exception_fp_ieee_overflow 0
		.amdhsa_exception_fp_ieee_underflow 0
		.amdhsa_exception_fp_ieee_inexact 0
		.amdhsa_exception_int_div_zero 0
	.end_amdhsa_kernel
	.section	.text._ZN9rocsolver6v33100L18trti2_kernel_smallILi22EdPdEEv13rocblas_fill_17rocblas_diagonal_T1_iil,"axG",@progbits,_ZN9rocsolver6v33100L18trti2_kernel_smallILi22EdPdEEv13rocblas_fill_17rocblas_diagonal_T1_iil,comdat
.Lfunc_end21:
	.size	_ZN9rocsolver6v33100L18trti2_kernel_smallILi22EdPdEEv13rocblas_fill_17rocblas_diagonal_T1_iil, .Lfunc_end21-_ZN9rocsolver6v33100L18trti2_kernel_smallILi22EdPdEEv13rocblas_fill_17rocblas_diagonal_T1_iil
                                        ; -- End function
	.set _ZN9rocsolver6v33100L18trti2_kernel_smallILi22EdPdEEv13rocblas_fill_17rocblas_diagonal_T1_iil.num_vgpr, 58
	.set _ZN9rocsolver6v33100L18trti2_kernel_smallILi22EdPdEEv13rocblas_fill_17rocblas_diagonal_T1_iil.num_agpr, 0
	.set _ZN9rocsolver6v33100L18trti2_kernel_smallILi22EdPdEEv13rocblas_fill_17rocblas_diagonal_T1_iil.numbered_sgpr, 21
	.set _ZN9rocsolver6v33100L18trti2_kernel_smallILi22EdPdEEv13rocblas_fill_17rocblas_diagonal_T1_iil.num_named_barrier, 0
	.set _ZN9rocsolver6v33100L18trti2_kernel_smallILi22EdPdEEv13rocblas_fill_17rocblas_diagonal_T1_iil.private_seg_size, 192
	.set _ZN9rocsolver6v33100L18trti2_kernel_smallILi22EdPdEEv13rocblas_fill_17rocblas_diagonal_T1_iil.uses_vcc, 1
	.set _ZN9rocsolver6v33100L18trti2_kernel_smallILi22EdPdEEv13rocblas_fill_17rocblas_diagonal_T1_iil.uses_flat_scratch, 0
	.set _ZN9rocsolver6v33100L18trti2_kernel_smallILi22EdPdEEv13rocblas_fill_17rocblas_diagonal_T1_iil.has_dyn_sized_stack, 0
	.set _ZN9rocsolver6v33100L18trti2_kernel_smallILi22EdPdEEv13rocblas_fill_17rocblas_diagonal_T1_iil.has_recursion, 0
	.set _ZN9rocsolver6v33100L18trti2_kernel_smallILi22EdPdEEv13rocblas_fill_17rocblas_diagonal_T1_iil.has_indirect_call, 0
	.section	.AMDGPU.csdata,"",@progbits
; Kernel info:
; codeLenInByte = 10208
; TotalNumSgprs: 27
; NumVgprs: 58
; NumAgprs: 0
; TotalNumVgprs: 58
; ScratchSize: 192
; MemoryBound: 0
; FloatMode: 240
; IeeeMode: 1
; LDSByteSize: 352 bytes/workgroup (compile time only)
; SGPRBlocks: 3
; VGPRBlocks: 7
; NumSGPRsForWavesPerEU: 27
; NumVGPRsForWavesPerEU: 58
; AccumOffset: 60
; Occupancy: 8
; WaveLimiterHint : 0
; COMPUTE_PGM_RSRC2:SCRATCH_EN: 1
; COMPUTE_PGM_RSRC2:USER_SGPR: 2
; COMPUTE_PGM_RSRC2:TRAP_HANDLER: 0
; COMPUTE_PGM_RSRC2:TGID_X_EN: 1
; COMPUTE_PGM_RSRC2:TGID_Y_EN: 0
; COMPUTE_PGM_RSRC2:TGID_Z_EN: 0
; COMPUTE_PGM_RSRC2:TIDIG_COMP_CNT: 0
; COMPUTE_PGM_RSRC3_GFX90A:ACCUM_OFFSET: 14
; COMPUTE_PGM_RSRC3_GFX90A:TG_SPLIT: 0
	.section	.text._ZN9rocsolver6v33100L18trti2_kernel_smallILi23EdPdEEv13rocblas_fill_17rocblas_diagonal_T1_iil,"axG",@progbits,_ZN9rocsolver6v33100L18trti2_kernel_smallILi23EdPdEEv13rocblas_fill_17rocblas_diagonal_T1_iil,comdat
	.globl	_ZN9rocsolver6v33100L18trti2_kernel_smallILi23EdPdEEv13rocblas_fill_17rocblas_diagonal_T1_iil ; -- Begin function _ZN9rocsolver6v33100L18trti2_kernel_smallILi23EdPdEEv13rocblas_fill_17rocblas_diagonal_T1_iil
	.p2align	8
	.type	_ZN9rocsolver6v33100L18trti2_kernel_smallILi23EdPdEEv13rocblas_fill_17rocblas_diagonal_T1_iil,@function
_ZN9rocsolver6v33100L18trti2_kernel_smallILi23EdPdEEv13rocblas_fill_17rocblas_diagonal_T1_iil: ; @_ZN9rocsolver6v33100L18trti2_kernel_smallILi23EdPdEEv13rocblas_fill_17rocblas_diagonal_T1_iil
; %bb.0:
	v_cmp_gt_u32_e32 vcc, 23, v0
	s_and_saveexec_b64 s[4:5], vcc
	s_cbranch_execz .LBB22_430
; %bb.1:
	s_load_dwordx8 s[4:11], s[0:1], 0x0
	s_ashr_i32 s3, s2, 31
	v_lshlrev_b32_e32 v20, 3, v0
	v_mov_b32_e32 v21, 0
	s_waitcnt lgkmcnt(0)
	s_ashr_i32 s1, s8, 31
	s_mov_b32 s0, s8
	s_mul_hi_u32 s8, s10, s2
	s_mul_i32 s3, s10, s3
	s_add_i32 s3, s8, s3
	s_mul_i32 s8, s11, s2
	s_add_i32 s3, s3, s8
	s_mul_i32 s2, s10, s2
	s_lshl_b64 s[2:3], s[2:3], 3
	s_add_u32 s2, s6, s2
	s_addc_u32 s3, s7, s3
	s_lshl_b64 s[0:1], s[0:1], 3
	s_add_u32 s0, s2, s0
	s_addc_u32 s1, s3, s1
	v_lshl_add_u64 v[2:3], s[0:1], 0, v[20:21]
	s_ashr_i32 s3, s9, 31
	s_mov_b32 s2, s9
	v_lshl_add_u64 v[4:5], s[2:3], 3, v[2:3]
	global_load_dwordx2 v[6:7], v20, s[0:1]
	global_load_dwordx2 v[8:9], v[4:5], off
	s_add_i32 s2, s9, s9
	s_cmpk_lg_i32 s5, 0x84
	s_cselect_b64 s[6:7], -1, 0
	s_cmpk_eq_i32 s5, 0x84
	s_waitcnt vmcnt(0)
	scratch_store_dwordx4 off, v[6:9], off
	s_nop 1
	v_add_u32_e32 v8, s2, v0
	v_add_u32_e32 v10, s9, v8
	v_ashrrev_i32_e32 v9, 31, v8
	v_ashrrev_i32_e32 v11, 31, v10
	v_lshl_add_u64 v[6:7], v[8:9], 3, s[0:1]
	v_lshl_add_u64 v[8:9], v[10:11], 3, s[0:1]
	global_load_dwordx2 v[12:13], v[6:7], off
	global_load_dwordx2 v[14:15], v[8:9], off
	s_waitcnt vmcnt(0)
	scratch_store_dwordx4 off, v[12:15], off offset:16
	s_nop 1
	v_add_u32_e32 v12, s9, v10
	v_add_u32_e32 v14, s9, v12
	v_ashrrev_i32_e32 v13, 31, v12
	v_ashrrev_i32_e32 v15, 31, v14
	v_lshl_add_u64 v[10:11], v[12:13], 3, s[0:1]
	v_lshl_add_u64 v[12:13], v[14:15], 3, s[0:1]
	global_load_dwordx2 v[16:17], v[10:11], off
	global_load_dwordx2 v[18:19], v[12:13], off
	s_waitcnt vmcnt(0)
	scratch_store_dwordx4 off, v[16:19], off offset:32
	;; [unrolled: 11-line block ×8, first 2 shown]
	s_nop 1
	v_add_u32_e32 v42, s9, v40
	v_ashrrev_i32_e32 v43, 31, v42
	v_lshl_add_u64 v[40:41], v[42:43], 3, s[0:1]
	v_add_u32_e32 v42, s9, v42
	v_ashrrev_i32_e32 v43, 31, v42
	v_lshl_add_u64 v[44:45], v[42:43], 3, s[0:1]
	global_load_dwordx2 v[46:47], v[40:41], off
	global_load_dwordx2 v[48:49], v[44:45], off
	v_add_u32_e32 v42, s9, v42
	v_ashrrev_i32_e32 v43, 31, v42
	s_waitcnt vmcnt(0)
	scratch_store_dwordx4 off, v[46:49], off offset:144
	s_nop 1
	v_lshl_add_u64 v[46:47], v[42:43], 3, s[0:1]
	v_add_u32_e32 v42, s9, v42
	v_ashrrev_i32_e32 v43, 31, v42
	v_lshl_add_u64 v[48:49], v[42:43], 3, s[0:1]
	global_load_dwordx2 v[50:51], v[46:47], off
	global_load_dwordx2 v[52:53], v[48:49], off
	v_add_u32_e32 v42, s9, v42
	v_ashrrev_i32_e32 v43, 31, v42
	v_lshl_add_u64 v[42:43], v[42:43], 3, s[0:1]
	s_waitcnt vmcnt(0)
	scratch_store_dwordx4 off, v[50:53], off offset:160
	global_load_dwordx2 v[50:51], v[42:43], off
	s_waitcnt vmcnt(0)
	scratch_store_dwordx2 off, v[50:51], off offset:176
	v_mov_b64_e32 v[50:51], -1.0
	s_cbranch_scc1 .LBB22_3
; %bb.2:
	scratch_load_dwordx2 v[50:51], v20, off
	s_waitcnt vmcnt(0)
	v_div_scale_f64 v[52:53], s[0:1], v[50:51], v[50:51], 1.0
	v_rcp_f64_e32 v[54:55], v[52:53]
	v_div_scale_f64 v[56:57], vcc, 1.0, v[50:51], 1.0
	v_fma_f64 v[58:59], -v[52:53], v[54:55], 1.0
	v_fmac_f64_e32 v[54:55], v[54:55], v[58:59]
	v_fma_f64 v[58:59], -v[52:53], v[54:55], 1.0
	v_fmac_f64_e32 v[54:55], v[54:55], v[58:59]
	v_mul_f64 v[58:59], v[56:57], v[54:55]
	v_fma_f64 v[52:53], -v[52:53], v[58:59], v[56:57]
	v_div_fmas_f64 v[52:53], v[52:53], v[54:55], v[58:59]
	v_div_fixup_f64 v[50:51], v[52:53], v[50:51], 1.0
	scratch_store_dwordx2 v20, v[50:51], off
	v_xor_b32_e32 v51, 0x80000000, v51
.LBB22_3:
	s_cmpk_eq_i32 s4, 0x79
	v_add_u32_e32 v1, 0xc0, v20
	v_mov_b32_e32 v21, v20
	s_mov_b64 s[0:1], -1
	ds_write_b64 v20, v[50:51]
	s_cbranch_scc1 .LBB22_217
; %bb.4:
	scratch_load_dwordx2 v[50:51], off, off offset:168
	s_movk_i32 s8, 0x50
	s_movk_i32 s9, 0x60
	;; [unrolled: 1-line block ×6, first 2 shown]
	v_cmp_eq_u32_e64 s[0:1], 22, v0
	s_waitcnt vmcnt(0)
	ds_write_b64 v1, v[50:51]
	s_waitcnt lgkmcnt(0)
	; wave barrier
	s_and_saveexec_b64 s[2:3], s[0:1]
	s_cbranch_execz .LBB22_10
; %bb.5:
	s_and_b64 vcc, exec, s[6:7]
	s_cbranch_vccz .LBB22_7
; %bb.6:
	scratch_load_dwordx2 v[50:51], v21, off
	ds_read_b64 v[52:53], v1
	s_waitcnt vmcnt(0) lgkmcnt(0)
	v_mul_f64 v[50:51], v[50:51], v[52:53]
	s_cbranch_execz .LBB22_8
	s_branch .LBB22_9
.LBB22_7:
                                        ; implicit-def: $vgpr50_vgpr51
.LBB22_8:
	ds_read_b64 v[50:51], v1
.LBB22_9:
	v_mov_b32_e32 v52, 0
	ds_read_b64 v[52:53], v52 offset:168
	s_waitcnt lgkmcnt(0)
	v_mul_f64 v[50:51], v[50:51], v[52:53]
	scratch_store_dwordx2 off, v[50:51], off offset:168
.LBB22_10:
	s_or_b64 exec, exec, s[2:3]
	scratch_load_dwordx2 v[50:51], off, off offset:160
	s_mov_b32 s10, 16
	s_mov_b32 s11, 32
	;; [unrolled: 1-line block ×6, first 2 shown]
	v_cmp_lt_u32_e64 s[4:5], 20, v0
	s_waitcnt vmcnt(0)
	ds_write_b64 v1, v[50:51]
	s_waitcnt lgkmcnt(0)
	; wave barrier
	s_and_saveexec_b64 s[2:3], s[4:5]
	s_cbranch_execz .LBB22_16
; %bb.11:
	s_andn2_b64 vcc, exec, s[6:7]
	s_cbranch_vccnz .LBB22_13
; %bb.12:
	scratch_load_dwordx2 v[50:51], v21, off
	ds_read_b64 v[52:53], v1
	s_waitcnt vmcnt(0) lgkmcnt(0)
	v_mul_f64 v[50:51], v[50:51], v[52:53]
	s_cbranch_execz .LBB22_14
	s_branch .LBB22_15
.LBB22_13:
                                        ; implicit-def: $vgpr50_vgpr51
.LBB22_14:
	ds_read_b64 v[50:51], v1
.LBB22_15:
	scratch_load_dwordx2 v[56:57], off, off offset:168
	v_mov_b32_e32 v52, 0
	ds_read2_b64 v[52:55], v52 offset0:20 offset1:45
	s_waitcnt vmcnt(0) lgkmcnt(0)
	v_fma_f64 v[54:55], v[56:57], v[54:55], v[50:51]
	v_cndmask_b32_e64 v51, v51, v55, s[0:1]
	v_cndmask_b32_e64 v50, v50, v54, s[0:1]
	v_mul_f64 v[50:51], v[50:51], v[52:53]
	scratch_store_dwordx2 off, v[50:51], off offset:160
.LBB22_16:
	s_or_b64 exec, exec, s[2:3]
	scratch_load_dwordx2 v[50:51], off, off offset:152
	v_cmp_lt_u32_e64 s[2:3], 19, v0
	s_waitcnt vmcnt(0)
	ds_write_b64 v1, v[50:51]
	s_waitcnt lgkmcnt(0)
	; wave barrier
	s_and_saveexec_b64 s[0:1], s[2:3]
	s_cbranch_execz .LBB22_26
; %bb.17:
	s_andn2_b64 vcc, exec, s[6:7]
	s_cbranch_vccnz .LBB22_19
; %bb.18:
	scratch_load_dwordx2 v[50:51], v21, off
	ds_read_b64 v[52:53], v1
	s_waitcnt vmcnt(0) lgkmcnt(0)
	v_mul_f64 v[50:51], v[50:51], v[52:53]
	s_cbranch_execz .LBB22_20
	s_branch .LBB22_21
.LBB22_19:
                                        ; implicit-def: $vgpr50_vgpr51
.LBB22_20:
	ds_read_b64 v[50:51], v1
.LBB22_21:
	s_and_saveexec_b64 s[8:9], s[4:5]
	s_cbranch_execz .LBB22_25
; %bb.22:
	v_subrev_u32_e32 v52, 20, v0
	s_movk_i32 s20, 0x160
	s_mov_b64 s[4:5], 0
.LBB22_23:                              ; =>This Inner Loop Header: Depth=1
	scratch_load_dwordx2 v[54:55], off, s19
	v_mov_b32_e32 v53, s20
	ds_read_b64 v[56:57], v53
	v_add_u32_e32 v52, -1, v52
	s_add_i32 s20, s20, 8
	s_add_i32 s19, s19, 8
	v_cmp_eq_u32_e32 vcc, 0, v52
	s_or_b64 s[4:5], vcc, s[4:5]
	s_waitcnt vmcnt(0) lgkmcnt(0)
	v_fmac_f64_e32 v[50:51], v[54:55], v[56:57]
	s_andn2_b64 exec, exec, s[4:5]
	s_cbranch_execnz .LBB22_23
; %bb.24:
	s_or_b64 exec, exec, s[4:5]
.LBB22_25:
	s_or_b64 exec, exec, s[8:9]
	v_mov_b32_e32 v52, 0
	ds_read_b64 v[52:53], v52 offset:152
	s_waitcnt lgkmcnt(0)
	v_mul_f64 v[50:51], v[50:51], v[52:53]
	scratch_store_dwordx2 off, v[50:51], off offset:152
.LBB22_26:
	s_or_b64 exec, exec, s[0:1]
	scratch_load_dwordx2 v[50:51], off, off offset:144
	v_cmp_lt_u32_e64 s[0:1], 18, v0
	s_waitcnt vmcnt(0)
	ds_write_b64 v1, v[50:51]
	s_waitcnt lgkmcnt(0)
	; wave barrier
	s_and_saveexec_b64 s[4:5], s[0:1]
	s_cbranch_execz .LBB22_36
; %bb.27:
	s_andn2_b64 vcc, exec, s[6:7]
	s_cbranch_vccnz .LBB22_29
; %bb.28:
	scratch_load_dwordx2 v[50:51], v21, off
	ds_read_b64 v[52:53], v1
	s_waitcnt vmcnt(0) lgkmcnt(0)
	v_mul_f64 v[50:51], v[50:51], v[52:53]
	s_cbranch_execz .LBB22_30
	s_branch .LBB22_31
.LBB22_29:
                                        ; implicit-def: $vgpr50_vgpr51
.LBB22_30:
	ds_read_b64 v[50:51], v1
.LBB22_31:
	s_and_saveexec_b64 s[8:9], s[2:3]
	s_cbranch_execz .LBB22_35
; %bb.32:
	s_movk_i32 s19, 0x98
	v_subrev_u32_e32 v52, 19, v0
	s_movk_i32 s20, 0x158
	s_mov_b64 s[2:3], 0
.LBB22_33:                              ; =>This Inner Loop Header: Depth=1
	scratch_load_dwordx2 v[54:55], off, s19
	v_mov_b32_e32 v53, s20
	ds_read_b64 v[56:57], v53
	v_add_u32_e32 v52, -1, v52
	s_add_i32 s20, s20, 8
	s_add_i32 s19, s19, 8
	v_cmp_eq_u32_e32 vcc, 0, v52
	s_or_b64 s[2:3], vcc, s[2:3]
	s_waitcnt vmcnt(0) lgkmcnt(0)
	v_fmac_f64_e32 v[50:51], v[54:55], v[56:57]
	s_andn2_b64 exec, exec, s[2:3]
	s_cbranch_execnz .LBB22_33
; %bb.34:
	s_or_b64 exec, exec, s[2:3]
.LBB22_35:
	s_or_b64 exec, exec, s[8:9]
	v_mov_b32_e32 v52, 0
	ds_read_b64 v[52:53], v52 offset:144
	s_waitcnt lgkmcnt(0)
	v_mul_f64 v[50:51], v[50:51], v[52:53]
	scratch_store_dwordx2 off, v[50:51], off offset:144
.LBB22_36:
	s_or_b64 exec, exec, s[4:5]
	scratch_load_dwordx2 v[50:51], off, off offset:136
	v_cmp_lt_u32_e64 s[2:3], 17, v0
	s_waitcnt vmcnt(0)
	ds_write_b64 v1, v[50:51]
	s_waitcnt lgkmcnt(0)
	; wave barrier
	s_and_saveexec_b64 s[4:5], s[2:3]
	s_cbranch_execz .LBB22_46
; %bb.37:
	s_andn2_b64 vcc, exec, s[6:7]
	s_cbranch_vccnz .LBB22_39
; %bb.38:
	scratch_load_dwordx2 v[50:51], v21, off
	ds_read_b64 v[52:53], v1
	s_waitcnt vmcnt(0) lgkmcnt(0)
	v_mul_f64 v[50:51], v[50:51], v[52:53]
	s_cbranch_execz .LBB22_40
	s_branch .LBB22_41
.LBB22_39:
                                        ; implicit-def: $vgpr50_vgpr51
.LBB22_40:
	ds_read_b64 v[50:51], v1
.LBB22_41:
	s_and_saveexec_b64 s[8:9], s[0:1]
	s_cbranch_execz .LBB22_45
; %bb.42:
	v_subrev_u32_e32 v52, 18, v0
	s_movk_i32 s19, 0x150
	s_mov_b64 s[0:1], 0
.LBB22_43:                              ; =>This Inner Loop Header: Depth=1
	scratch_load_dwordx2 v[54:55], off, s18
	v_mov_b32_e32 v53, s19
	ds_read_b64 v[56:57], v53
	v_add_u32_e32 v52, -1, v52
	s_add_i32 s19, s19, 8
	s_add_i32 s18, s18, 8
	v_cmp_eq_u32_e32 vcc, 0, v52
	s_or_b64 s[0:1], vcc, s[0:1]
	s_waitcnt vmcnt(0) lgkmcnt(0)
	v_fmac_f64_e32 v[50:51], v[54:55], v[56:57]
	s_andn2_b64 exec, exec, s[0:1]
	s_cbranch_execnz .LBB22_43
; %bb.44:
	s_or_b64 exec, exec, s[0:1]
.LBB22_45:
	s_or_b64 exec, exec, s[8:9]
	v_mov_b32_e32 v52, 0
	ds_read_b64 v[52:53], v52 offset:136
	s_waitcnt lgkmcnt(0)
	v_mul_f64 v[50:51], v[50:51], v[52:53]
	scratch_store_dwordx2 off, v[50:51], off offset:136
.LBB22_46:
	s_or_b64 exec, exec, s[4:5]
	scratch_load_dwordx2 v[50:51], off, off offset:128
	v_cmp_lt_u32_e64 s[0:1], 16, v0
	s_waitcnt vmcnt(0)
	ds_write_b64 v1, v[50:51]
	s_waitcnt lgkmcnt(0)
	; wave barrier
	s_and_saveexec_b64 s[4:5], s[0:1]
	s_cbranch_execz .LBB22_56
; %bb.47:
	s_andn2_b64 vcc, exec, s[6:7]
	s_cbranch_vccnz .LBB22_49
; %bb.48:
	scratch_load_dwordx2 v[50:51], v21, off
	ds_read_b64 v[52:53], v1
	s_waitcnt vmcnt(0) lgkmcnt(0)
	v_mul_f64 v[50:51], v[50:51], v[52:53]
	s_cbranch_execz .LBB22_50
	s_branch .LBB22_51
.LBB22_49:
                                        ; implicit-def: $vgpr50_vgpr51
.LBB22_50:
	ds_read_b64 v[50:51], v1
.LBB22_51:
	s_and_saveexec_b64 s[8:9], s[2:3]
	s_cbranch_execz .LBB22_55
; %bb.52:
	s_movk_i32 s18, 0x88
	v_subrev_u32_e32 v52, 17, v0
	s_movk_i32 s19, 0x148
	s_mov_b64 s[2:3], 0
.LBB22_53:                              ; =>This Inner Loop Header: Depth=1
	scratch_load_dwordx2 v[54:55], off, s18
	v_mov_b32_e32 v53, s19
	ds_read_b64 v[56:57], v53
	v_add_u32_e32 v52, -1, v52
	s_add_i32 s19, s19, 8
	s_add_i32 s18, s18, 8
	v_cmp_eq_u32_e32 vcc, 0, v52
	s_or_b64 s[2:3], vcc, s[2:3]
	s_waitcnt vmcnt(0) lgkmcnt(0)
	v_fmac_f64_e32 v[50:51], v[54:55], v[56:57]
	s_andn2_b64 exec, exec, s[2:3]
	s_cbranch_execnz .LBB22_53
; %bb.54:
	s_or_b64 exec, exec, s[2:3]
.LBB22_55:
	s_or_b64 exec, exec, s[8:9]
	v_mov_b32_e32 v52, 0
	ds_read_b64 v[52:53], v52 offset:128
	s_waitcnt lgkmcnt(0)
	v_mul_f64 v[50:51], v[50:51], v[52:53]
	scratch_store_dwordx2 off, v[50:51], off offset:128
.LBB22_56:
	s_or_b64 exec, exec, s[4:5]
	scratch_load_dwordx2 v[50:51], off, off offset:120
	v_cmp_lt_u32_e64 s[2:3], 15, v0
	s_waitcnt vmcnt(0)
	ds_write_b64 v1, v[50:51]
	s_waitcnt lgkmcnt(0)
	; wave barrier
	s_and_saveexec_b64 s[4:5], s[2:3]
	s_cbranch_execz .LBB22_66
; %bb.57:
	s_andn2_b64 vcc, exec, s[6:7]
	s_cbranch_vccnz .LBB22_59
; %bb.58:
	scratch_load_dwordx2 v[50:51], v21, off
	ds_read_b64 v[52:53], v1
	s_waitcnt vmcnt(0) lgkmcnt(0)
	v_mul_f64 v[50:51], v[50:51], v[52:53]
	s_cbranch_execz .LBB22_60
	s_branch .LBB22_61
.LBB22_59:
                                        ; implicit-def: $vgpr50_vgpr51
.LBB22_60:
	ds_read_b64 v[50:51], v1
.LBB22_61:
	s_and_saveexec_b64 s[8:9], s[0:1]
	s_cbranch_execz .LBB22_65
; %bb.62:
	v_add_u32_e32 v52, -16, v0
	s_movk_i32 s18, 0x140
	s_mov_b64 s[0:1], 0
.LBB22_63:                              ; =>This Inner Loop Header: Depth=1
	scratch_load_dwordx2 v[54:55], off, s17
	v_mov_b32_e32 v53, s18
	ds_read_b64 v[56:57], v53
	v_add_u32_e32 v52, -1, v52
	s_add_i32 s18, s18, 8
	s_add_i32 s17, s17, 8
	v_cmp_eq_u32_e32 vcc, 0, v52
	s_or_b64 s[0:1], vcc, s[0:1]
	s_waitcnt vmcnt(0) lgkmcnt(0)
	v_fmac_f64_e32 v[50:51], v[54:55], v[56:57]
	s_andn2_b64 exec, exec, s[0:1]
	s_cbranch_execnz .LBB22_63
; %bb.64:
	s_or_b64 exec, exec, s[0:1]
.LBB22_65:
	s_or_b64 exec, exec, s[8:9]
	v_mov_b32_e32 v52, 0
	ds_read_b64 v[52:53], v52 offset:120
	s_waitcnt lgkmcnt(0)
	v_mul_f64 v[50:51], v[50:51], v[52:53]
	scratch_store_dwordx2 off, v[50:51], off offset:120
.LBB22_66:
	s_or_b64 exec, exec, s[4:5]
	scratch_load_dwordx2 v[50:51], off, off offset:112
	v_cmp_lt_u32_e64 s[0:1], 14, v0
	s_waitcnt vmcnt(0)
	ds_write_b64 v1, v[50:51]
	s_waitcnt lgkmcnt(0)
	; wave barrier
	s_and_saveexec_b64 s[4:5], s[0:1]
	s_cbranch_execz .LBB22_76
; %bb.67:
	s_andn2_b64 vcc, exec, s[6:7]
	s_cbranch_vccnz .LBB22_69
; %bb.68:
	scratch_load_dwordx2 v[50:51], v21, off
	ds_read_b64 v[52:53], v1
	s_waitcnt vmcnt(0) lgkmcnt(0)
	v_mul_f64 v[50:51], v[50:51], v[52:53]
	s_cbranch_execz .LBB22_70
	s_branch .LBB22_71
.LBB22_69:
                                        ; implicit-def: $vgpr50_vgpr51
.LBB22_70:
	ds_read_b64 v[50:51], v1
.LBB22_71:
	s_and_saveexec_b64 s[8:9], s[2:3]
	s_cbranch_execz .LBB22_75
; %bb.72:
	s_movk_i32 s17, 0x78
	v_add_u32_e32 v52, -15, v0
	s_movk_i32 s18, 0x138
	s_mov_b64 s[2:3], 0
.LBB22_73:                              ; =>This Inner Loop Header: Depth=1
	scratch_load_dwordx2 v[54:55], off, s17
	v_mov_b32_e32 v53, s18
	ds_read_b64 v[56:57], v53
	v_add_u32_e32 v52, -1, v52
	s_add_i32 s18, s18, 8
	s_add_i32 s17, s17, 8
	v_cmp_eq_u32_e32 vcc, 0, v52
	s_or_b64 s[2:3], vcc, s[2:3]
	s_waitcnt vmcnt(0) lgkmcnt(0)
	v_fmac_f64_e32 v[50:51], v[54:55], v[56:57]
	s_andn2_b64 exec, exec, s[2:3]
	s_cbranch_execnz .LBB22_73
; %bb.74:
	s_or_b64 exec, exec, s[2:3]
.LBB22_75:
	s_or_b64 exec, exec, s[8:9]
	v_mov_b32_e32 v52, 0
	ds_read_b64 v[52:53], v52 offset:112
	s_waitcnt lgkmcnt(0)
	v_mul_f64 v[50:51], v[50:51], v[52:53]
	scratch_store_dwordx2 off, v[50:51], off offset:112
.LBB22_76:
	s_or_b64 exec, exec, s[4:5]
	scratch_load_dwordx2 v[50:51], off, off offset:104
	v_cmp_lt_u32_e64 s[2:3], 13, v0
	s_waitcnt vmcnt(0)
	ds_write_b64 v1, v[50:51]
	s_waitcnt lgkmcnt(0)
	; wave barrier
	s_and_saveexec_b64 s[4:5], s[2:3]
	s_cbranch_execz .LBB22_86
; %bb.77:
	s_andn2_b64 vcc, exec, s[6:7]
	s_cbranch_vccnz .LBB22_79
; %bb.78:
	scratch_load_dwordx2 v[50:51], v21, off
	ds_read_b64 v[52:53], v1
	s_waitcnt vmcnt(0) lgkmcnt(0)
	v_mul_f64 v[50:51], v[50:51], v[52:53]
	s_cbranch_execz .LBB22_80
	s_branch .LBB22_81
.LBB22_79:
                                        ; implicit-def: $vgpr50_vgpr51
.LBB22_80:
	ds_read_b64 v[50:51], v1
.LBB22_81:
	s_and_saveexec_b64 s[8:9], s[0:1]
	s_cbranch_execz .LBB22_85
; %bb.82:
	v_add_u32_e32 v52, -14, v0
	s_movk_i32 s17, 0x130
	s_mov_b64 s[0:1], 0
.LBB22_83:                              ; =>This Inner Loop Header: Depth=1
	scratch_load_dwordx2 v[54:55], off, s16
	v_mov_b32_e32 v53, s17
	ds_read_b64 v[56:57], v53
	v_add_u32_e32 v52, -1, v52
	s_add_i32 s17, s17, 8
	s_add_i32 s16, s16, 8
	v_cmp_eq_u32_e32 vcc, 0, v52
	s_or_b64 s[0:1], vcc, s[0:1]
	s_waitcnt vmcnt(0) lgkmcnt(0)
	v_fmac_f64_e32 v[50:51], v[54:55], v[56:57]
	s_andn2_b64 exec, exec, s[0:1]
	s_cbranch_execnz .LBB22_83
; %bb.84:
	s_or_b64 exec, exec, s[0:1]
.LBB22_85:
	s_or_b64 exec, exec, s[8:9]
	v_mov_b32_e32 v52, 0
	ds_read_b64 v[52:53], v52 offset:104
	s_waitcnt lgkmcnt(0)
	v_mul_f64 v[50:51], v[50:51], v[52:53]
	scratch_store_dwordx2 off, v[50:51], off offset:104
.LBB22_86:
	s_or_b64 exec, exec, s[4:5]
	scratch_load_dwordx2 v[50:51], off, off offset:96
	v_cmp_lt_u32_e64 s[0:1], 12, v0
	s_waitcnt vmcnt(0)
	ds_write_b64 v1, v[50:51]
	s_waitcnt lgkmcnt(0)
	; wave barrier
	s_and_saveexec_b64 s[4:5], s[0:1]
	s_cbranch_execz .LBB22_96
; %bb.87:
	s_andn2_b64 vcc, exec, s[6:7]
	s_cbranch_vccnz .LBB22_89
; %bb.88:
	scratch_load_dwordx2 v[50:51], v21, off
	ds_read_b64 v[52:53], v1
	s_waitcnt vmcnt(0) lgkmcnt(0)
	v_mul_f64 v[50:51], v[50:51], v[52:53]
	s_cbranch_execz .LBB22_90
	s_branch .LBB22_91
.LBB22_89:
                                        ; implicit-def: $vgpr50_vgpr51
.LBB22_90:
	ds_read_b64 v[50:51], v1
.LBB22_91:
	s_and_saveexec_b64 s[8:9], s[2:3]
	s_cbranch_execz .LBB22_95
; %bb.92:
	s_movk_i32 s16, 0x68
	v_add_u32_e32 v52, -13, v0
	s_movk_i32 s17, 0x128
	s_mov_b64 s[2:3], 0
.LBB22_93:                              ; =>This Inner Loop Header: Depth=1
	scratch_load_dwordx2 v[54:55], off, s16
	v_mov_b32_e32 v53, s17
	ds_read_b64 v[56:57], v53
	v_add_u32_e32 v52, -1, v52
	s_add_i32 s17, s17, 8
	s_add_i32 s16, s16, 8
	v_cmp_eq_u32_e32 vcc, 0, v52
	s_or_b64 s[2:3], vcc, s[2:3]
	s_waitcnt vmcnt(0) lgkmcnt(0)
	v_fmac_f64_e32 v[50:51], v[54:55], v[56:57]
	s_andn2_b64 exec, exec, s[2:3]
	s_cbranch_execnz .LBB22_93
; %bb.94:
	s_or_b64 exec, exec, s[2:3]
.LBB22_95:
	s_or_b64 exec, exec, s[8:9]
	v_mov_b32_e32 v52, 0
	ds_read_b64 v[52:53], v52 offset:96
	s_waitcnt lgkmcnt(0)
	v_mul_f64 v[50:51], v[50:51], v[52:53]
	scratch_store_dwordx2 off, v[50:51], off offset:96
.LBB22_96:
	s_or_b64 exec, exec, s[4:5]
	scratch_load_dwordx2 v[50:51], off, off offset:88
	v_cmp_lt_u32_e64 s[2:3], 11, v0
	s_waitcnt vmcnt(0)
	ds_write_b64 v1, v[50:51]
	s_waitcnt lgkmcnt(0)
	; wave barrier
	s_and_saveexec_b64 s[4:5], s[2:3]
	s_cbranch_execz .LBB22_106
; %bb.97:
	s_andn2_b64 vcc, exec, s[6:7]
	s_cbranch_vccnz .LBB22_99
; %bb.98:
	scratch_load_dwordx2 v[50:51], v21, off
	ds_read_b64 v[52:53], v1
	s_waitcnt vmcnt(0) lgkmcnt(0)
	v_mul_f64 v[50:51], v[50:51], v[52:53]
	s_cbranch_execz .LBB22_100
	s_branch .LBB22_101
.LBB22_99:
                                        ; implicit-def: $vgpr50_vgpr51
.LBB22_100:
	ds_read_b64 v[50:51], v1
.LBB22_101:
	s_and_saveexec_b64 s[8:9], s[0:1]
	s_cbranch_execz .LBB22_105
; %bb.102:
	v_add_u32_e32 v52, -12, v0
	s_movk_i32 s16, 0x120
	s_mov_b64 s[0:1], 0
.LBB22_103:                             ; =>This Inner Loop Header: Depth=1
	scratch_load_dwordx2 v[54:55], off, s15
	v_mov_b32_e32 v53, s16
	ds_read_b64 v[56:57], v53
	v_add_u32_e32 v52, -1, v52
	s_add_i32 s16, s16, 8
	s_add_i32 s15, s15, 8
	v_cmp_eq_u32_e32 vcc, 0, v52
	s_or_b64 s[0:1], vcc, s[0:1]
	s_waitcnt vmcnt(0) lgkmcnt(0)
	v_fmac_f64_e32 v[50:51], v[54:55], v[56:57]
	s_andn2_b64 exec, exec, s[0:1]
	s_cbranch_execnz .LBB22_103
; %bb.104:
	s_or_b64 exec, exec, s[0:1]
.LBB22_105:
	s_or_b64 exec, exec, s[8:9]
	v_mov_b32_e32 v52, 0
	ds_read_b64 v[52:53], v52 offset:88
	s_waitcnt lgkmcnt(0)
	v_mul_f64 v[50:51], v[50:51], v[52:53]
	scratch_store_dwordx2 off, v[50:51], off offset:88
.LBB22_106:
	s_or_b64 exec, exec, s[4:5]
	scratch_load_dwordx2 v[50:51], off, off offset:80
	v_cmp_lt_u32_e64 s[0:1], 10, v0
	s_waitcnt vmcnt(0)
	ds_write_b64 v1, v[50:51]
	s_waitcnt lgkmcnt(0)
	; wave barrier
	s_and_saveexec_b64 s[4:5], s[0:1]
	s_cbranch_execz .LBB22_116
; %bb.107:
	s_andn2_b64 vcc, exec, s[6:7]
	s_cbranch_vccnz .LBB22_109
; %bb.108:
	scratch_load_dwordx2 v[50:51], v21, off
	ds_read_b64 v[52:53], v1
	s_waitcnt vmcnt(0) lgkmcnt(0)
	v_mul_f64 v[50:51], v[50:51], v[52:53]
	s_cbranch_execz .LBB22_110
	s_branch .LBB22_111
.LBB22_109:
                                        ; implicit-def: $vgpr50_vgpr51
.LBB22_110:
	ds_read_b64 v[50:51], v1
.LBB22_111:
	s_and_saveexec_b64 s[8:9], s[2:3]
	s_cbranch_execz .LBB22_115
; %bb.112:
	s_movk_i32 s15, 0x58
	v_add_u32_e32 v52, -11, v0
	s_movk_i32 s16, 0x118
	s_mov_b64 s[2:3], 0
.LBB22_113:                             ; =>This Inner Loop Header: Depth=1
	scratch_load_dwordx2 v[54:55], off, s15
	v_mov_b32_e32 v53, s16
	ds_read_b64 v[56:57], v53
	v_add_u32_e32 v52, -1, v52
	s_add_i32 s16, s16, 8
	s_add_i32 s15, s15, 8
	v_cmp_eq_u32_e32 vcc, 0, v52
	s_or_b64 s[2:3], vcc, s[2:3]
	s_waitcnt vmcnt(0) lgkmcnt(0)
	v_fmac_f64_e32 v[50:51], v[54:55], v[56:57]
	s_andn2_b64 exec, exec, s[2:3]
	s_cbranch_execnz .LBB22_113
; %bb.114:
	s_or_b64 exec, exec, s[2:3]
.LBB22_115:
	s_or_b64 exec, exec, s[8:9]
	v_mov_b32_e32 v52, 0
	ds_read_b64 v[52:53], v52 offset:80
	s_waitcnt lgkmcnt(0)
	v_mul_f64 v[50:51], v[50:51], v[52:53]
	scratch_store_dwordx2 off, v[50:51], off offset:80
.LBB22_116:
	s_or_b64 exec, exec, s[4:5]
	scratch_load_dwordx2 v[50:51], off, off offset:72
	v_cmp_lt_u32_e64 s[2:3], 9, v0
	s_waitcnt vmcnt(0)
	ds_write_b64 v1, v[50:51]
	s_waitcnt lgkmcnt(0)
	; wave barrier
	s_and_saveexec_b64 s[4:5], s[2:3]
	s_cbranch_execz .LBB22_126
; %bb.117:
	s_andn2_b64 vcc, exec, s[6:7]
	s_cbranch_vccnz .LBB22_119
; %bb.118:
	scratch_load_dwordx2 v[50:51], v21, off
	ds_read_b64 v[52:53], v1
	s_waitcnt vmcnt(0) lgkmcnt(0)
	v_mul_f64 v[50:51], v[50:51], v[52:53]
	s_cbranch_execz .LBB22_120
	s_branch .LBB22_121
.LBB22_119:
                                        ; implicit-def: $vgpr50_vgpr51
.LBB22_120:
	ds_read_b64 v[50:51], v1
.LBB22_121:
	s_and_saveexec_b64 s[8:9], s[0:1]
	s_cbranch_execz .LBB22_125
; %bb.122:
	v_add_u32_e32 v52, -10, v0
	s_movk_i32 s15, 0x110
	s_mov_b64 s[0:1], 0
.LBB22_123:                             ; =>This Inner Loop Header: Depth=1
	scratch_load_dwordx2 v[54:55], off, s14
	v_mov_b32_e32 v53, s15
	ds_read_b64 v[56:57], v53
	v_add_u32_e32 v52, -1, v52
	s_add_i32 s15, s15, 8
	s_add_i32 s14, s14, 8
	v_cmp_eq_u32_e32 vcc, 0, v52
	s_or_b64 s[0:1], vcc, s[0:1]
	s_waitcnt vmcnt(0) lgkmcnt(0)
	v_fmac_f64_e32 v[50:51], v[54:55], v[56:57]
	s_andn2_b64 exec, exec, s[0:1]
	s_cbranch_execnz .LBB22_123
; %bb.124:
	s_or_b64 exec, exec, s[0:1]
.LBB22_125:
	s_or_b64 exec, exec, s[8:9]
	v_mov_b32_e32 v52, 0
	ds_read_b64 v[52:53], v52 offset:72
	s_waitcnt lgkmcnt(0)
	v_mul_f64 v[50:51], v[50:51], v[52:53]
	scratch_store_dwordx2 off, v[50:51], off offset:72
.LBB22_126:
	s_or_b64 exec, exec, s[4:5]
	scratch_load_dwordx2 v[50:51], off, off offset:64
	v_cmp_lt_u32_e64 s[0:1], 8, v0
	s_waitcnt vmcnt(0)
	ds_write_b64 v1, v[50:51]
	s_waitcnt lgkmcnt(0)
	; wave barrier
	s_and_saveexec_b64 s[4:5], s[0:1]
	s_cbranch_execz .LBB22_136
; %bb.127:
	s_andn2_b64 vcc, exec, s[6:7]
	s_cbranch_vccnz .LBB22_129
; %bb.128:
	scratch_load_dwordx2 v[50:51], v21, off
	ds_read_b64 v[52:53], v1
	s_waitcnt vmcnt(0) lgkmcnt(0)
	v_mul_f64 v[50:51], v[50:51], v[52:53]
	s_cbranch_execz .LBB22_130
	s_branch .LBB22_131
.LBB22_129:
                                        ; implicit-def: $vgpr50_vgpr51
.LBB22_130:
	ds_read_b64 v[50:51], v1
.LBB22_131:
	s_and_saveexec_b64 s[8:9], s[2:3]
	s_cbranch_execz .LBB22_135
; %bb.132:
	s_movk_i32 s14, 0x48
	v_add_u32_e32 v52, -9, v0
	s_movk_i32 s15, 0x108
	s_mov_b64 s[2:3], 0
.LBB22_133:                             ; =>This Inner Loop Header: Depth=1
	scratch_load_dwordx2 v[54:55], off, s14
	v_mov_b32_e32 v53, s15
	ds_read_b64 v[56:57], v53
	v_add_u32_e32 v52, -1, v52
	s_add_i32 s15, s15, 8
	s_add_i32 s14, s14, 8
	v_cmp_eq_u32_e32 vcc, 0, v52
	s_or_b64 s[2:3], vcc, s[2:3]
	s_waitcnt vmcnt(0) lgkmcnt(0)
	v_fmac_f64_e32 v[50:51], v[54:55], v[56:57]
	s_andn2_b64 exec, exec, s[2:3]
	s_cbranch_execnz .LBB22_133
; %bb.134:
	s_or_b64 exec, exec, s[2:3]
.LBB22_135:
	s_or_b64 exec, exec, s[8:9]
	v_mov_b32_e32 v52, 0
	ds_read_b64 v[52:53], v52 offset:64
	s_waitcnt lgkmcnt(0)
	v_mul_f64 v[50:51], v[50:51], v[52:53]
	scratch_store_dwordx2 off, v[50:51], off offset:64
.LBB22_136:
	s_or_b64 exec, exec, s[4:5]
	scratch_load_dwordx2 v[50:51], off, off offset:56
	v_cmp_lt_u32_e64 s[2:3], 7, v0
	s_waitcnt vmcnt(0)
	ds_write_b64 v1, v[50:51]
	s_waitcnt lgkmcnt(0)
	; wave barrier
	s_and_saveexec_b64 s[4:5], s[2:3]
	s_cbranch_execz .LBB22_146
; %bb.137:
	s_andn2_b64 vcc, exec, s[6:7]
	s_cbranch_vccnz .LBB22_139
; %bb.138:
	scratch_load_dwordx2 v[50:51], v21, off
	ds_read_b64 v[52:53], v1
	s_waitcnt vmcnt(0) lgkmcnt(0)
	v_mul_f64 v[50:51], v[50:51], v[52:53]
	s_cbranch_execz .LBB22_140
	s_branch .LBB22_141
.LBB22_139:
                                        ; implicit-def: $vgpr50_vgpr51
.LBB22_140:
	ds_read_b64 v[50:51], v1
.LBB22_141:
	s_and_saveexec_b64 s[8:9], s[0:1]
	s_cbranch_execz .LBB22_145
; %bb.142:
	v_add_u32_e32 v52, -8, v0
	s_movk_i32 s14, 0x100
	s_mov_b64 s[0:1], 0
.LBB22_143:                             ; =>This Inner Loop Header: Depth=1
	scratch_load_dwordx2 v[54:55], off, s13
	v_mov_b32_e32 v53, s14
	ds_read_b64 v[56:57], v53
	v_add_u32_e32 v52, -1, v52
	s_add_i32 s14, s14, 8
	s_add_i32 s13, s13, 8
	v_cmp_eq_u32_e32 vcc, 0, v52
	s_or_b64 s[0:1], vcc, s[0:1]
	s_waitcnt vmcnt(0) lgkmcnt(0)
	v_fmac_f64_e32 v[50:51], v[54:55], v[56:57]
	s_andn2_b64 exec, exec, s[0:1]
	s_cbranch_execnz .LBB22_143
; %bb.144:
	s_or_b64 exec, exec, s[0:1]
.LBB22_145:
	s_or_b64 exec, exec, s[8:9]
	v_mov_b32_e32 v52, 0
	ds_read_b64 v[52:53], v52 offset:56
	s_waitcnt lgkmcnt(0)
	v_mul_f64 v[50:51], v[50:51], v[52:53]
	scratch_store_dwordx2 off, v[50:51], off offset:56
.LBB22_146:
	s_or_b64 exec, exec, s[4:5]
	scratch_load_dwordx2 v[50:51], off, off offset:48
	v_cmp_lt_u32_e64 s[0:1], 6, v0
	s_waitcnt vmcnt(0)
	ds_write_b64 v1, v[50:51]
	s_waitcnt lgkmcnt(0)
	; wave barrier
	s_and_saveexec_b64 s[4:5], s[0:1]
	s_cbranch_execz .LBB22_156
; %bb.147:
	s_andn2_b64 vcc, exec, s[6:7]
	s_cbranch_vccnz .LBB22_149
; %bb.148:
	scratch_load_dwordx2 v[50:51], v21, off
	ds_read_b64 v[52:53], v1
	s_waitcnt vmcnt(0) lgkmcnt(0)
	v_mul_f64 v[50:51], v[50:51], v[52:53]
	s_cbranch_execz .LBB22_150
	s_branch .LBB22_151
.LBB22_149:
                                        ; implicit-def: $vgpr50_vgpr51
.LBB22_150:
	ds_read_b64 v[50:51], v1
.LBB22_151:
	s_and_saveexec_b64 s[8:9], s[2:3]
	s_cbranch_execz .LBB22_155
; %bb.152:
	s_mov_b32 s13, 56
	v_add_u32_e32 v52, -7, v0
	s_movk_i32 s14, 0xf8
	s_mov_b64 s[2:3], 0
.LBB22_153:                             ; =>This Inner Loop Header: Depth=1
	scratch_load_dwordx2 v[54:55], off, s13
	v_mov_b32_e32 v53, s14
	ds_read_b64 v[56:57], v53
	v_add_u32_e32 v52, -1, v52
	s_add_i32 s14, s14, 8
	s_add_i32 s13, s13, 8
	v_cmp_eq_u32_e32 vcc, 0, v52
	s_or_b64 s[2:3], vcc, s[2:3]
	s_waitcnt vmcnt(0) lgkmcnt(0)
	v_fmac_f64_e32 v[50:51], v[54:55], v[56:57]
	s_andn2_b64 exec, exec, s[2:3]
	s_cbranch_execnz .LBB22_153
; %bb.154:
	s_or_b64 exec, exec, s[2:3]
.LBB22_155:
	s_or_b64 exec, exec, s[8:9]
	v_mov_b32_e32 v52, 0
	ds_read_b64 v[52:53], v52 offset:48
	s_waitcnt lgkmcnt(0)
	v_mul_f64 v[50:51], v[50:51], v[52:53]
	scratch_store_dwordx2 off, v[50:51], off offset:48
.LBB22_156:
	s_or_b64 exec, exec, s[4:5]
	scratch_load_dwordx2 v[50:51], off, off offset:40
	v_cmp_lt_u32_e64 s[2:3], 5, v0
	s_waitcnt vmcnt(0)
	ds_write_b64 v1, v[50:51]
	s_waitcnt lgkmcnt(0)
	; wave barrier
	s_and_saveexec_b64 s[4:5], s[2:3]
	s_cbranch_execz .LBB22_166
; %bb.157:
	s_andn2_b64 vcc, exec, s[6:7]
	s_cbranch_vccnz .LBB22_159
; %bb.158:
	scratch_load_dwordx2 v[50:51], v21, off
	ds_read_b64 v[52:53], v1
	s_waitcnt vmcnt(0) lgkmcnt(0)
	v_mul_f64 v[50:51], v[50:51], v[52:53]
	s_cbranch_execz .LBB22_160
	s_branch .LBB22_161
.LBB22_159:
                                        ; implicit-def: $vgpr50_vgpr51
.LBB22_160:
	ds_read_b64 v[50:51], v1
.LBB22_161:
	s_and_saveexec_b64 s[8:9], s[0:1]
	s_cbranch_execz .LBB22_165
; %bb.162:
	v_add_u32_e32 v52, -6, v0
	s_movk_i32 s13, 0xf0
	s_mov_b64 s[0:1], 0
.LBB22_163:                             ; =>This Inner Loop Header: Depth=1
	scratch_load_dwordx2 v[54:55], off, s12
	v_mov_b32_e32 v53, s13
	ds_read_b64 v[56:57], v53
	v_add_u32_e32 v52, -1, v52
	s_add_i32 s13, s13, 8
	s_add_i32 s12, s12, 8
	v_cmp_eq_u32_e32 vcc, 0, v52
	s_or_b64 s[0:1], vcc, s[0:1]
	s_waitcnt vmcnt(0) lgkmcnt(0)
	v_fmac_f64_e32 v[50:51], v[54:55], v[56:57]
	s_andn2_b64 exec, exec, s[0:1]
	s_cbranch_execnz .LBB22_163
; %bb.164:
	s_or_b64 exec, exec, s[0:1]
.LBB22_165:
	s_or_b64 exec, exec, s[8:9]
	v_mov_b32_e32 v52, 0
	ds_read_b64 v[52:53], v52 offset:40
	s_waitcnt lgkmcnt(0)
	v_mul_f64 v[50:51], v[50:51], v[52:53]
	scratch_store_dwordx2 off, v[50:51], off offset:40
.LBB22_166:
	s_or_b64 exec, exec, s[4:5]
	scratch_load_dwordx2 v[50:51], off, off offset:32
	v_cmp_lt_u32_e64 s[0:1], 4, v0
	s_waitcnt vmcnt(0)
	ds_write_b64 v1, v[50:51]
	s_waitcnt lgkmcnt(0)
	; wave barrier
	s_and_saveexec_b64 s[4:5], s[0:1]
	s_cbranch_execz .LBB22_176
; %bb.167:
	s_andn2_b64 vcc, exec, s[6:7]
	s_cbranch_vccnz .LBB22_169
; %bb.168:
	scratch_load_dwordx2 v[50:51], v21, off
	ds_read_b64 v[52:53], v1
	s_waitcnt vmcnt(0) lgkmcnt(0)
	v_mul_f64 v[50:51], v[50:51], v[52:53]
	s_cbranch_execz .LBB22_170
	s_branch .LBB22_171
.LBB22_169:
                                        ; implicit-def: $vgpr50_vgpr51
.LBB22_170:
	ds_read_b64 v[50:51], v1
.LBB22_171:
	s_and_saveexec_b64 s[8:9], s[2:3]
	s_cbranch_execz .LBB22_175
; %bb.172:
	s_mov_b32 s12, 40
	v_add_u32_e32 v52, -5, v0
	s_movk_i32 s13, 0xe8
	s_mov_b64 s[2:3], 0
.LBB22_173:                             ; =>This Inner Loop Header: Depth=1
	scratch_load_dwordx2 v[54:55], off, s12
	v_mov_b32_e32 v53, s13
	ds_read_b64 v[56:57], v53
	v_add_u32_e32 v52, -1, v52
	s_add_i32 s13, s13, 8
	s_add_i32 s12, s12, 8
	v_cmp_eq_u32_e32 vcc, 0, v52
	s_or_b64 s[2:3], vcc, s[2:3]
	s_waitcnt vmcnt(0) lgkmcnt(0)
	v_fmac_f64_e32 v[50:51], v[54:55], v[56:57]
	s_andn2_b64 exec, exec, s[2:3]
	s_cbranch_execnz .LBB22_173
; %bb.174:
	s_or_b64 exec, exec, s[2:3]
.LBB22_175:
	s_or_b64 exec, exec, s[8:9]
	v_mov_b32_e32 v52, 0
	ds_read_b64 v[52:53], v52 offset:32
	s_waitcnt lgkmcnt(0)
	v_mul_f64 v[50:51], v[50:51], v[52:53]
	scratch_store_dwordx2 off, v[50:51], off offset:32
.LBB22_176:
	s_or_b64 exec, exec, s[4:5]
	scratch_load_dwordx2 v[50:51], off, off offset:24
	v_cmp_lt_u32_e64 s[2:3], 3, v0
	s_waitcnt vmcnt(0)
	ds_write_b64 v1, v[50:51]
	s_waitcnt lgkmcnt(0)
	; wave barrier
	s_and_saveexec_b64 s[4:5], s[2:3]
	s_cbranch_execz .LBB22_186
; %bb.177:
	s_andn2_b64 vcc, exec, s[6:7]
	s_cbranch_vccnz .LBB22_179
; %bb.178:
	scratch_load_dwordx2 v[50:51], v21, off
	ds_read_b64 v[52:53], v1
	s_waitcnt vmcnt(0) lgkmcnt(0)
	v_mul_f64 v[50:51], v[50:51], v[52:53]
	s_cbranch_execz .LBB22_180
	s_branch .LBB22_181
.LBB22_179:
                                        ; implicit-def: $vgpr50_vgpr51
.LBB22_180:
	ds_read_b64 v[50:51], v1
.LBB22_181:
	s_and_saveexec_b64 s[8:9], s[0:1]
	s_cbranch_execz .LBB22_185
; %bb.182:
	v_add_u32_e32 v52, -4, v0
	s_movk_i32 s12, 0xe0
	s_mov_b64 s[0:1], 0
.LBB22_183:                             ; =>This Inner Loop Header: Depth=1
	scratch_load_dwordx2 v[54:55], off, s11
	v_mov_b32_e32 v53, s12
	ds_read_b64 v[56:57], v53
	v_add_u32_e32 v52, -1, v52
	s_add_i32 s12, s12, 8
	s_add_i32 s11, s11, 8
	v_cmp_eq_u32_e32 vcc, 0, v52
	s_or_b64 s[0:1], vcc, s[0:1]
	s_waitcnt vmcnt(0) lgkmcnt(0)
	v_fmac_f64_e32 v[50:51], v[54:55], v[56:57]
	s_andn2_b64 exec, exec, s[0:1]
	s_cbranch_execnz .LBB22_183
; %bb.184:
	s_or_b64 exec, exec, s[0:1]
.LBB22_185:
	s_or_b64 exec, exec, s[8:9]
	v_mov_b32_e32 v52, 0
	ds_read_b64 v[52:53], v52 offset:24
	s_waitcnt lgkmcnt(0)
	v_mul_f64 v[50:51], v[50:51], v[52:53]
	scratch_store_dwordx2 off, v[50:51], off offset:24
.LBB22_186:
	s_or_b64 exec, exec, s[4:5]
	scratch_load_dwordx2 v[50:51], off, off offset:16
	v_cmp_lt_u32_e64 s[0:1], 2, v0
	s_waitcnt vmcnt(0)
	ds_write_b64 v1, v[50:51]
	s_waitcnt lgkmcnt(0)
	; wave barrier
	s_and_saveexec_b64 s[4:5], s[0:1]
	s_cbranch_execz .LBB22_196
; %bb.187:
	s_andn2_b64 vcc, exec, s[6:7]
	s_cbranch_vccnz .LBB22_189
; %bb.188:
	scratch_load_dwordx2 v[50:51], v21, off
	ds_read_b64 v[52:53], v1
	s_waitcnt vmcnt(0) lgkmcnt(0)
	v_mul_f64 v[50:51], v[50:51], v[52:53]
	s_cbranch_execz .LBB22_190
	s_branch .LBB22_191
.LBB22_189:
                                        ; implicit-def: $vgpr50_vgpr51
.LBB22_190:
	ds_read_b64 v[50:51], v1
.LBB22_191:
	s_and_saveexec_b64 s[8:9], s[2:3]
	s_cbranch_execz .LBB22_195
; %bb.192:
	s_mov_b32 s11, 24
	v_add_u32_e32 v52, -3, v0
	s_movk_i32 s12, 0xd8
	s_mov_b64 s[2:3], 0
.LBB22_193:                             ; =>This Inner Loop Header: Depth=1
	scratch_load_dwordx2 v[54:55], off, s11
	v_mov_b32_e32 v53, s12
	ds_read_b64 v[56:57], v53
	v_add_u32_e32 v52, -1, v52
	s_add_i32 s12, s12, 8
	s_add_i32 s11, s11, 8
	v_cmp_eq_u32_e32 vcc, 0, v52
	s_or_b64 s[2:3], vcc, s[2:3]
	s_waitcnt vmcnt(0) lgkmcnt(0)
	v_fmac_f64_e32 v[50:51], v[54:55], v[56:57]
	s_andn2_b64 exec, exec, s[2:3]
	s_cbranch_execnz .LBB22_193
; %bb.194:
	s_or_b64 exec, exec, s[2:3]
.LBB22_195:
	s_or_b64 exec, exec, s[8:9]
	v_mov_b32_e32 v52, 0
	ds_read_b64 v[52:53], v52 offset:16
	s_waitcnt lgkmcnt(0)
	v_mul_f64 v[50:51], v[50:51], v[52:53]
	scratch_store_dwordx2 off, v[50:51], off offset:16
.LBB22_196:
	s_or_b64 exec, exec, s[4:5]
	scratch_load_dwordx2 v[50:51], off, off offset:8
	v_cmp_lt_u32_e64 s[2:3], 1, v0
	s_waitcnt vmcnt(0)
	ds_write_b64 v1, v[50:51]
	s_waitcnt lgkmcnt(0)
	; wave barrier
	s_and_saveexec_b64 s[4:5], s[2:3]
	s_cbranch_execz .LBB22_206
; %bb.197:
	s_andn2_b64 vcc, exec, s[6:7]
	s_cbranch_vccnz .LBB22_199
; %bb.198:
	scratch_load_dwordx2 v[50:51], v21, off
	ds_read_b64 v[52:53], v1
	s_waitcnt vmcnt(0) lgkmcnt(0)
	v_mul_f64 v[50:51], v[50:51], v[52:53]
	s_cbranch_execz .LBB22_200
	s_branch .LBB22_201
.LBB22_199:
                                        ; implicit-def: $vgpr50_vgpr51
.LBB22_200:
	ds_read_b64 v[50:51], v1
.LBB22_201:
	s_and_saveexec_b64 s[8:9], s[0:1]
	s_cbranch_execz .LBB22_205
; %bb.202:
	v_add_u32_e32 v52, -2, v0
	s_movk_i32 s11, 0xd0
	s_mov_b64 s[0:1], 0
.LBB22_203:                             ; =>This Inner Loop Header: Depth=1
	scratch_load_dwordx2 v[54:55], off, s10
	v_mov_b32_e32 v53, s11
	ds_read_b64 v[56:57], v53
	v_add_u32_e32 v52, -1, v52
	s_add_i32 s11, s11, 8
	s_add_i32 s10, s10, 8
	v_cmp_eq_u32_e32 vcc, 0, v52
	s_or_b64 s[0:1], vcc, s[0:1]
	s_waitcnt vmcnt(0) lgkmcnt(0)
	v_fmac_f64_e32 v[50:51], v[54:55], v[56:57]
	s_andn2_b64 exec, exec, s[0:1]
	s_cbranch_execnz .LBB22_203
; %bb.204:
	s_or_b64 exec, exec, s[0:1]
.LBB22_205:
	s_or_b64 exec, exec, s[8:9]
	v_mov_b32_e32 v52, 0
	ds_read_b64 v[52:53], v52 offset:8
	s_waitcnt lgkmcnt(0)
	v_mul_f64 v[50:51], v[50:51], v[52:53]
	scratch_store_dwordx2 off, v[50:51], off offset:8
.LBB22_206:
	s_or_b64 exec, exec, s[4:5]
	scratch_load_dwordx2 v[50:51], off, off
	v_cmp_ne_u32_e32 vcc, 0, v0
	s_waitcnt vmcnt(0)
	ds_write_b64 v1, v[50:51]
	s_waitcnt lgkmcnt(0)
	; wave barrier
	s_and_saveexec_b64 s[0:1], vcc
	s_cbranch_execz .LBB22_216
; %bb.207:
	s_andn2_b64 vcc, exec, s[6:7]
	s_cbranch_vccnz .LBB22_209
; %bb.208:
	scratch_load_dwordx2 v[50:51], v21, off
	ds_read_b64 v[52:53], v1
	s_waitcnt vmcnt(0) lgkmcnt(0)
	v_mul_f64 v[50:51], v[50:51], v[52:53]
	s_cbranch_execz .LBB22_210
	s_branch .LBB22_211
.LBB22_209:
                                        ; implicit-def: $vgpr50_vgpr51
.LBB22_210:
	ds_read_b64 v[50:51], v1
.LBB22_211:
	s_and_saveexec_b64 s[4:5], s[2:3]
	s_cbranch_execz .LBB22_215
; %bb.212:
	s_or_b32 s8, 0, 8
	v_add_u32_e32 v52, -1, v0
	s_movk_i32 s9, 0xc8
	s_mov_b64 s[2:3], 0
.LBB22_213:                             ; =>This Inner Loop Header: Depth=1
	scratch_load_dwordx2 v[54:55], off, s8
	v_mov_b32_e32 v53, s9
	ds_read_b64 v[56:57], v53
	v_add_u32_e32 v52, -1, v52
	s_add_i32 s9, s9, 8
	s_add_i32 s8, s8, 8
	v_cmp_eq_u32_e32 vcc, 0, v52
	s_or_b64 s[2:3], vcc, s[2:3]
	s_waitcnt vmcnt(0) lgkmcnt(0)
	v_fmac_f64_e32 v[50:51], v[54:55], v[56:57]
	s_andn2_b64 exec, exec, s[2:3]
	s_cbranch_execnz .LBB22_213
; %bb.214:
	s_or_b64 exec, exec, s[2:3]
.LBB22_215:
	s_or_b64 exec, exec, s[4:5]
	v_mov_b32_e32 v52, 0
	ds_read_b64 v[52:53], v52
	s_waitcnt lgkmcnt(0)
	v_mul_f64 v[50:51], v[50:51], v[52:53]
	scratch_store_dwordx2 off, v[50:51], off
.LBB22_216:
	s_or_b64 exec, exec, s[0:1]
	s_mov_b64 s[0:1], 0
.LBB22_217:
	s_and_b64 vcc, exec, s[0:1]
	s_cbranch_vccz .LBB22_429
; %bb.218:
	scratch_load_dwordx2 v[50:51], off, off offset:8
	v_cmp_eq_u32_e64 s[2:3], 0, v0
	s_waitcnt vmcnt(0)
	ds_write_b64 v1, v[50:51]
	s_waitcnt lgkmcnt(0)
	; wave barrier
	s_and_saveexec_b64 s[0:1], s[2:3]
	s_cbranch_execz .LBB22_224
; %bb.219:
	s_and_b64 vcc, exec, s[6:7]
	s_cbranch_vccz .LBB22_221
; %bb.220:
	scratch_load_dwordx2 v[50:51], v21, off
	ds_read_b64 v[52:53], v1
	s_waitcnt vmcnt(0) lgkmcnt(0)
	v_mul_f64 v[50:51], v[50:51], v[52:53]
	s_cbranch_execz .LBB22_222
	s_branch .LBB22_223
.LBB22_221:
                                        ; implicit-def: $vgpr50_vgpr51
.LBB22_222:
	ds_read_b64 v[50:51], v1
.LBB22_223:
	v_mov_b32_e32 v52, 0
	ds_read_b64 v[52:53], v52 offset:8
	s_waitcnt lgkmcnt(0)
	v_mul_f64 v[50:51], v[50:51], v[52:53]
	scratch_store_dwordx2 off, v[50:51], off offset:8
.LBB22_224:
	s_or_b64 exec, exec, s[0:1]
	scratch_load_dwordx2 v[50:51], off, off offset:16
	v_cndmask_b32_e64 v52, 0, 1, s[6:7]
	v_cmp_gt_u32_e32 vcc, 2, v0
	v_cmp_ne_u32_e64 s[0:1], 1, v52
	s_waitcnt vmcnt(0)
	ds_write_b64 v1, v[50:51]
	s_waitcnt lgkmcnt(0)
	; wave barrier
	s_and_saveexec_b64 s[4:5], vcc
	s_cbranch_execz .LBB22_230
; %bb.225:
	s_and_b64 vcc, exec, s[0:1]
	s_cbranch_vccnz .LBB22_227
; %bb.226:
	scratch_load_dwordx2 v[50:51], v21, off
	ds_read_b64 v[52:53], v1
	s_waitcnt vmcnt(0) lgkmcnt(0)
	v_mul_f64 v[50:51], v[50:51], v[52:53]
	s_cbranch_execz .LBB22_228
	s_branch .LBB22_229
.LBB22_227:
                                        ; implicit-def: $vgpr50_vgpr51
.LBB22_228:
	ds_read_b64 v[50:51], v1
.LBB22_229:
	scratch_load_dwordx2 v[56:57], off, off offset:8
	v_mov_b32_e32 v52, 0
	ds_read2_b64 v[52:55], v52 offset0:2 offset1:25
	s_waitcnt vmcnt(0) lgkmcnt(0)
	v_fma_f64 v[54:55], v[56:57], v[54:55], v[50:51]
	v_cndmask_b32_e64 v51, v51, v55, s[2:3]
	v_cndmask_b32_e64 v50, v50, v54, s[2:3]
	v_mul_f64 v[50:51], v[50:51], v[52:53]
	scratch_store_dwordx2 off, v[50:51], off offset:16
.LBB22_230:
	s_or_b64 exec, exec, s[4:5]
	scratch_load_dwordx2 v[50:51], off, off offset:24
	v_cmp_gt_u32_e32 vcc, 3, v0
	s_waitcnt vmcnt(0)
	ds_write_b64 v1, v[50:51]
	s_waitcnt lgkmcnt(0)
	; wave barrier
	s_and_saveexec_b64 s[4:5], vcc
	s_cbranch_execz .LBB22_238
; %bb.231:
	s_and_b64 vcc, exec, s[0:1]
	s_cbranch_vccnz .LBB22_233
; %bb.232:
	scratch_load_dwordx2 v[50:51], v21, off
	ds_read_b64 v[52:53], v1
	s_waitcnt vmcnt(0) lgkmcnt(0)
	v_mul_f64 v[50:51], v[50:51], v[52:53]
	s_cbranch_execz .LBB22_234
	s_branch .LBB22_235
.LBB22_233:
                                        ; implicit-def: $vgpr50_vgpr51
.LBB22_234:
	ds_read_b64 v[50:51], v1
.LBB22_235:
	v_cmp_ne_u32_e32 vcc, 2, v0
	s_and_saveexec_b64 s[6:7], vcc
	s_cbranch_execz .LBB22_237
; %bb.236:
	scratch_load_dwordx2 v[52:53], v21, off offset:8
	scratch_load_dwordx2 v[54:55], off, off offset:16
	ds_read_b64 v[56:57], v1 offset:8
	v_mov_b32_e32 v58, 0
	ds_read_b64 v[58:59], v58 offset:208
	s_waitcnt vmcnt(1) lgkmcnt(1)
	v_fmac_f64_e32 v[50:51], v[52:53], v[56:57]
	s_waitcnt vmcnt(0) lgkmcnt(0)
	v_fma_f64 v[52:53], v[54:55], v[58:59], v[50:51]
	v_cndmask_b32_e64 v51, v51, v53, s[2:3]
	v_cndmask_b32_e64 v50, v50, v52, s[2:3]
.LBB22_237:
	s_or_b64 exec, exec, s[6:7]
	v_mov_b32_e32 v52, 0
	ds_read_b64 v[52:53], v52 offset:24
	s_waitcnt lgkmcnt(0)
	v_mul_f64 v[50:51], v[50:51], v[52:53]
	scratch_store_dwordx2 off, v[50:51], off offset:24
.LBB22_238:
	s_or_b64 exec, exec, s[4:5]
	scratch_load_dwordx2 v[50:51], off, off offset:32
	v_cmp_gt_u32_e32 vcc, 4, v0
	s_waitcnt vmcnt(0)
	ds_write_b64 v1, v[50:51]
	s_waitcnt lgkmcnt(0)
	; wave barrier
	s_and_saveexec_b64 s[2:3], vcc
	s_cbranch_execz .LBB22_248
; %bb.239:
	s_and_b64 vcc, exec, s[0:1]
	s_cbranch_vccnz .LBB22_241
; %bb.240:
	scratch_load_dwordx2 v[50:51], v21, off
	ds_read_b64 v[52:53], v1
	s_waitcnt vmcnt(0) lgkmcnt(0)
	v_mul_f64 v[50:51], v[50:51], v[52:53]
	s_cbranch_execz .LBB22_242
	s_branch .LBB22_243
.LBB22_241:
                                        ; implicit-def: $vgpr50_vgpr51
.LBB22_242:
	ds_read_b64 v[50:51], v1
.LBB22_243:
	v_cmp_ne_u32_e32 vcc, 3, v0
	s_and_saveexec_b64 s[4:5], vcc
	s_cbranch_execz .LBB22_247
; %bb.244:
	s_mov_b32 s6, 0
	v_add_u32_e32 v52, 0xc8, v20
	v_add3_u32 v53, v20, s6, 8
	s_mov_b64 s[6:7], 0
	v_mov_b32_e32 v54, v0
.LBB22_245:                             ; =>This Inner Loop Header: Depth=1
	scratch_load_dwordx2 v[56:57], v53, off
	ds_read_b64 v[58:59], v52
	v_add_u32_e32 v54, 1, v54
	v_cmp_lt_u32_e32 vcc, 2, v54
	v_add_u32_e32 v52, 8, v52
	v_add_u32_e32 v53, 8, v53
	s_or_b64 s[6:7], vcc, s[6:7]
	s_waitcnt vmcnt(0) lgkmcnt(0)
	v_fmac_f64_e32 v[50:51], v[56:57], v[58:59]
	s_andn2_b64 exec, exec, s[6:7]
	s_cbranch_execnz .LBB22_245
; %bb.246:
	s_or_b64 exec, exec, s[6:7]
.LBB22_247:
	s_or_b64 exec, exec, s[4:5]
	v_mov_b32_e32 v52, 0
	ds_read_b64 v[52:53], v52 offset:32
	s_waitcnt lgkmcnt(0)
	v_mul_f64 v[50:51], v[50:51], v[52:53]
	scratch_store_dwordx2 off, v[50:51], off offset:32
.LBB22_248:
	s_or_b64 exec, exec, s[2:3]
	scratch_load_dwordx2 v[50:51], off, off offset:40
	v_cmp_gt_u32_e32 vcc, 5, v0
	s_waitcnt vmcnt(0)
	ds_write_b64 v1, v[50:51]
	s_waitcnt lgkmcnt(0)
	; wave barrier
	s_and_saveexec_b64 s[2:3], vcc
	s_cbranch_execz .LBB22_258
; %bb.249:
	s_and_b64 vcc, exec, s[0:1]
	s_cbranch_vccnz .LBB22_251
; %bb.250:
	scratch_load_dwordx2 v[50:51], v21, off
	ds_read_b64 v[52:53], v1
	s_waitcnt vmcnt(0) lgkmcnt(0)
	v_mul_f64 v[50:51], v[50:51], v[52:53]
	s_cbranch_execz .LBB22_252
	s_branch .LBB22_253
.LBB22_251:
                                        ; implicit-def: $vgpr50_vgpr51
.LBB22_252:
	ds_read_b64 v[50:51], v1
.LBB22_253:
	v_cmp_ne_u32_e32 vcc, 4, v0
	s_and_saveexec_b64 s[4:5], vcc
	s_cbranch_execz .LBB22_257
; %bb.254:
	s_mov_b32 s6, 0
	v_add_u32_e32 v52, 0xc8, v20
	v_add3_u32 v53, v20, s6, 8
	s_mov_b64 s[6:7], 0
	v_mov_b32_e32 v54, v0
.LBB22_255:                             ; =>This Inner Loop Header: Depth=1
	scratch_load_dwordx2 v[56:57], v53, off
	ds_read_b64 v[58:59], v52
	v_add_u32_e32 v54, 1, v54
	v_cmp_lt_u32_e32 vcc, 3, v54
	v_add_u32_e32 v52, 8, v52
	v_add_u32_e32 v53, 8, v53
	s_or_b64 s[6:7], vcc, s[6:7]
	s_waitcnt vmcnt(0) lgkmcnt(0)
	v_fmac_f64_e32 v[50:51], v[56:57], v[58:59]
	s_andn2_b64 exec, exec, s[6:7]
	s_cbranch_execnz .LBB22_255
; %bb.256:
	s_or_b64 exec, exec, s[6:7]
.LBB22_257:
	s_or_b64 exec, exec, s[4:5]
	v_mov_b32_e32 v52, 0
	ds_read_b64 v[52:53], v52 offset:40
	s_waitcnt lgkmcnt(0)
	v_mul_f64 v[50:51], v[50:51], v[52:53]
	scratch_store_dwordx2 off, v[50:51], off offset:40
.LBB22_258:
	;; [unrolled: 55-line block ×17, first 2 shown]
	s_or_b64 exec, exec, s[2:3]
	scratch_load_dwordx2 v[50:51], off, off offset:168
	v_cmp_gt_u32_e64 s[2:3], 21, v0
	s_waitcnt vmcnt(0)
	ds_write_b64 v1, v[50:51]
	s_waitcnt lgkmcnt(0)
	; wave barrier
	s_and_saveexec_b64 s[4:5], s[2:3]
	s_cbranch_execz .LBB22_418
; %bb.409:
	s_and_b64 vcc, exec, s[0:1]
	s_cbranch_vccnz .LBB22_411
; %bb.410:
	scratch_load_dwordx2 v[50:51], v21, off
	ds_read_b64 v[52:53], v1
	s_waitcnt vmcnt(0) lgkmcnt(0)
	v_mul_f64 v[50:51], v[50:51], v[52:53]
	s_cbranch_execz .LBB22_412
	s_branch .LBB22_413
.LBB22_411:
                                        ; implicit-def: $vgpr50_vgpr51
.LBB22_412:
	ds_read_b64 v[50:51], v1
.LBB22_413:
	v_cmp_ne_u32_e32 vcc, 20, v0
	s_and_saveexec_b64 s[6:7], vcc
	s_cbranch_execz .LBB22_417
; %bb.414:
	s_mov_b32 s8, 0
	v_add_u32_e32 v52, 0xc8, v20
	v_add3_u32 v53, v20, s8, 8
	s_mov_b64 s[8:9], 0
	v_mov_b32_e32 v54, v0
.LBB22_415:                             ; =>This Inner Loop Header: Depth=1
	scratch_load_dwordx2 v[56:57], v53, off
	ds_read_b64 v[58:59], v52
	v_add_u32_e32 v54, 1, v54
	v_cmp_lt_u32_e32 vcc, 19, v54
	v_add_u32_e32 v52, 8, v52
	v_add_u32_e32 v53, 8, v53
	s_or_b64 s[8:9], vcc, s[8:9]
	s_waitcnt vmcnt(0) lgkmcnt(0)
	v_fmac_f64_e32 v[50:51], v[56:57], v[58:59]
	s_andn2_b64 exec, exec, s[8:9]
	s_cbranch_execnz .LBB22_415
; %bb.416:
	s_or_b64 exec, exec, s[8:9]
.LBB22_417:
	s_or_b64 exec, exec, s[6:7]
	v_mov_b32_e32 v52, 0
	ds_read_b64 v[52:53], v52 offset:168
	s_waitcnt lgkmcnt(0)
	v_mul_f64 v[50:51], v[50:51], v[52:53]
	scratch_store_dwordx2 off, v[50:51], off offset:168
.LBB22_418:
	s_or_b64 exec, exec, s[4:5]
	scratch_load_dwordx2 v[50:51], off, off offset:176
	v_cmp_ne_u32_e32 vcc, 22, v0
	s_waitcnt vmcnt(0)
	ds_write_b64 v1, v[50:51]
	s_waitcnt lgkmcnt(0)
	; wave barrier
	s_and_saveexec_b64 s[4:5], vcc
	s_cbranch_execz .LBB22_428
; %bb.419:
	s_and_b64 vcc, exec, s[0:1]
	s_cbranch_vccnz .LBB22_421
; %bb.420:
	scratch_load_dwordx2 v[50:51], v21, off
	ds_read_b64 v[52:53], v1
	s_waitcnt vmcnt(0) lgkmcnt(0)
	v_mul_f64 v[50:51], v[50:51], v[52:53]
	s_cbranch_execz .LBB22_422
	s_branch .LBB22_423
.LBB22_421:
                                        ; implicit-def: $vgpr50_vgpr51
.LBB22_422:
	ds_read_b64 v[50:51], v1
.LBB22_423:
	s_and_saveexec_b64 s[0:1], s[2:3]
	s_cbranch_execz .LBB22_427
; %bb.424:
	s_mov_b32 s2, 0
	v_add_u32_e32 v1, 0xc8, v20
	v_add3_u32 v20, v20, s2, 8
	s_mov_b64 s[2:3], 0
.LBB22_425:                             ; =>This Inner Loop Header: Depth=1
	scratch_load_dwordx2 v[52:53], v20, off
	ds_read_b64 v[54:55], v1
	v_add_u32_e32 v0, 1, v0
	v_cmp_lt_u32_e32 vcc, 20, v0
	v_add_u32_e32 v1, 8, v1
	v_add_u32_e32 v20, 8, v20
	s_or_b64 s[2:3], vcc, s[2:3]
	s_waitcnt vmcnt(0) lgkmcnt(0)
	v_fmac_f64_e32 v[50:51], v[52:53], v[54:55]
	s_andn2_b64 exec, exec, s[2:3]
	s_cbranch_execnz .LBB22_425
; %bb.426:
	s_or_b64 exec, exec, s[2:3]
.LBB22_427:
	s_or_b64 exec, exec, s[0:1]
	v_mov_b32_e32 v0, 0
	ds_read_b64 v[0:1], v0 offset:176
	s_waitcnt lgkmcnt(0)
	v_mul_f64 v[0:1], v[50:51], v[0:1]
	scratch_store_dwordx2 off, v[0:1], off offset:176
.LBB22_428:
	s_or_b64 exec, exec, s[4:5]
.LBB22_429:
	scratch_load_dwordx4 v[50:53], off, off
	s_waitcnt vmcnt(0)
	global_store_dwordx2 v[2:3], v[50:51], off
	global_store_dwordx2 v[4:5], v[52:53], off
	scratch_load_dwordx4 v[0:3], off, off offset:16
	s_waitcnt vmcnt(0)
	global_store_dwordx2 v[6:7], v[0:1], off
	global_store_dwordx2 v[8:9], v[2:3], off
	scratch_load_dwordx4 v[0:3], off, off offset:32
	;; [unrolled: 4-line block ×10, first 2 shown]
	s_waitcnt vmcnt(0)
	global_store_dwordx2 v[46:47], v[0:1], off
	global_store_dwordx2 v[48:49], v[2:3], off
	scratch_load_dwordx2 v[0:1], off, off offset:176
	s_waitcnt vmcnt(0)
	global_store_dwordx2 v[42:43], v[0:1], off
.LBB22_430:
	s_endpgm
	.section	.rodata,"a",@progbits
	.p2align	6, 0x0
	.amdhsa_kernel _ZN9rocsolver6v33100L18trti2_kernel_smallILi23EdPdEEv13rocblas_fill_17rocblas_diagonal_T1_iil
		.amdhsa_group_segment_fixed_size 376
		.amdhsa_private_segment_fixed_size 192
		.amdhsa_kernarg_size 32
		.amdhsa_user_sgpr_count 2
		.amdhsa_user_sgpr_dispatch_ptr 0
		.amdhsa_user_sgpr_queue_ptr 0
		.amdhsa_user_sgpr_kernarg_segment_ptr 1
		.amdhsa_user_sgpr_dispatch_id 0
		.amdhsa_user_sgpr_kernarg_preload_length 0
		.amdhsa_user_sgpr_kernarg_preload_offset 0
		.amdhsa_user_sgpr_private_segment_size 0
		.amdhsa_uses_dynamic_stack 0
		.amdhsa_enable_private_segment 1
		.amdhsa_system_sgpr_workgroup_id_x 1
		.amdhsa_system_sgpr_workgroup_id_y 0
		.amdhsa_system_sgpr_workgroup_id_z 0
		.amdhsa_system_sgpr_workgroup_info 0
		.amdhsa_system_vgpr_workitem_id 0
		.amdhsa_next_free_vgpr 60
		.amdhsa_next_free_sgpr 21
		.amdhsa_accum_offset 60
		.amdhsa_reserve_vcc 1
		.amdhsa_float_round_mode_32 0
		.amdhsa_float_round_mode_16_64 0
		.amdhsa_float_denorm_mode_32 3
		.amdhsa_float_denorm_mode_16_64 3
		.amdhsa_dx10_clamp 1
		.amdhsa_ieee_mode 1
		.amdhsa_fp16_overflow 0
		.amdhsa_tg_split 0
		.amdhsa_exception_fp_ieee_invalid_op 0
		.amdhsa_exception_fp_denorm_src 0
		.amdhsa_exception_fp_ieee_div_zero 0
		.amdhsa_exception_fp_ieee_overflow 0
		.amdhsa_exception_fp_ieee_underflow 0
		.amdhsa_exception_fp_ieee_inexact 0
		.amdhsa_exception_int_div_zero 0
	.end_amdhsa_kernel
	.section	.text._ZN9rocsolver6v33100L18trti2_kernel_smallILi23EdPdEEv13rocblas_fill_17rocblas_diagonal_T1_iil,"axG",@progbits,_ZN9rocsolver6v33100L18trti2_kernel_smallILi23EdPdEEv13rocblas_fill_17rocblas_diagonal_T1_iil,comdat
.Lfunc_end22:
	.size	_ZN9rocsolver6v33100L18trti2_kernel_smallILi23EdPdEEv13rocblas_fill_17rocblas_diagonal_T1_iil, .Lfunc_end22-_ZN9rocsolver6v33100L18trti2_kernel_smallILi23EdPdEEv13rocblas_fill_17rocblas_diagonal_T1_iil
                                        ; -- End function
	.set _ZN9rocsolver6v33100L18trti2_kernel_smallILi23EdPdEEv13rocblas_fill_17rocblas_diagonal_T1_iil.num_vgpr, 60
	.set _ZN9rocsolver6v33100L18trti2_kernel_smallILi23EdPdEEv13rocblas_fill_17rocblas_diagonal_T1_iil.num_agpr, 0
	.set _ZN9rocsolver6v33100L18trti2_kernel_smallILi23EdPdEEv13rocblas_fill_17rocblas_diagonal_T1_iil.numbered_sgpr, 21
	.set _ZN9rocsolver6v33100L18trti2_kernel_smallILi23EdPdEEv13rocblas_fill_17rocblas_diagonal_T1_iil.num_named_barrier, 0
	.set _ZN9rocsolver6v33100L18trti2_kernel_smallILi23EdPdEEv13rocblas_fill_17rocblas_diagonal_T1_iil.private_seg_size, 192
	.set _ZN9rocsolver6v33100L18trti2_kernel_smallILi23EdPdEEv13rocblas_fill_17rocblas_diagonal_T1_iil.uses_vcc, 1
	.set _ZN9rocsolver6v33100L18trti2_kernel_smallILi23EdPdEEv13rocblas_fill_17rocblas_diagonal_T1_iil.uses_flat_scratch, 0
	.set _ZN9rocsolver6v33100L18trti2_kernel_smallILi23EdPdEEv13rocblas_fill_17rocblas_diagonal_T1_iil.has_dyn_sized_stack, 0
	.set _ZN9rocsolver6v33100L18trti2_kernel_smallILi23EdPdEEv13rocblas_fill_17rocblas_diagonal_T1_iil.has_recursion, 0
	.set _ZN9rocsolver6v33100L18trti2_kernel_smallILi23EdPdEEv13rocblas_fill_17rocblas_diagonal_T1_iil.has_indirect_call, 0
	.section	.AMDGPU.csdata,"",@progbits
; Kernel info:
; codeLenInByte = 10700
; TotalNumSgprs: 27
; NumVgprs: 60
; NumAgprs: 0
; TotalNumVgprs: 60
; ScratchSize: 192
; MemoryBound: 0
; FloatMode: 240
; IeeeMode: 1
; LDSByteSize: 376 bytes/workgroup (compile time only)
; SGPRBlocks: 3
; VGPRBlocks: 7
; NumSGPRsForWavesPerEU: 27
; NumVGPRsForWavesPerEU: 60
; AccumOffset: 60
; Occupancy: 8
; WaveLimiterHint : 0
; COMPUTE_PGM_RSRC2:SCRATCH_EN: 1
; COMPUTE_PGM_RSRC2:USER_SGPR: 2
; COMPUTE_PGM_RSRC2:TRAP_HANDLER: 0
; COMPUTE_PGM_RSRC2:TGID_X_EN: 1
; COMPUTE_PGM_RSRC2:TGID_Y_EN: 0
; COMPUTE_PGM_RSRC2:TGID_Z_EN: 0
; COMPUTE_PGM_RSRC2:TIDIG_COMP_CNT: 0
; COMPUTE_PGM_RSRC3_GFX90A:ACCUM_OFFSET: 14
; COMPUTE_PGM_RSRC3_GFX90A:TG_SPLIT: 0
	.section	.text._ZN9rocsolver6v33100L18trti2_kernel_smallILi24EdPdEEv13rocblas_fill_17rocblas_diagonal_T1_iil,"axG",@progbits,_ZN9rocsolver6v33100L18trti2_kernel_smallILi24EdPdEEv13rocblas_fill_17rocblas_diagonal_T1_iil,comdat
	.globl	_ZN9rocsolver6v33100L18trti2_kernel_smallILi24EdPdEEv13rocblas_fill_17rocblas_diagonal_T1_iil ; -- Begin function _ZN9rocsolver6v33100L18trti2_kernel_smallILi24EdPdEEv13rocblas_fill_17rocblas_diagonal_T1_iil
	.p2align	8
	.type	_ZN9rocsolver6v33100L18trti2_kernel_smallILi24EdPdEEv13rocblas_fill_17rocblas_diagonal_T1_iil,@function
_ZN9rocsolver6v33100L18trti2_kernel_smallILi24EdPdEEv13rocblas_fill_17rocblas_diagonal_T1_iil: ; @_ZN9rocsolver6v33100L18trti2_kernel_smallILi24EdPdEEv13rocblas_fill_17rocblas_diagonal_T1_iil
; %bb.0:
	v_cmp_gt_u32_e32 vcc, 24, v0
	s_and_saveexec_b64 s[4:5], vcc
	s_cbranch_execz .LBB23_450
; %bb.1:
	s_load_dwordx8 s[4:11], s[0:1], 0x0
	s_ashr_i32 s3, s2, 31
	v_lshlrev_b32_e32 v20, 3, v0
	v_mov_b32_e32 v21, 0
	s_waitcnt lgkmcnt(0)
	s_ashr_i32 s1, s8, 31
	s_mov_b32 s0, s8
	s_mul_hi_u32 s8, s10, s2
	s_mul_i32 s3, s10, s3
	s_add_i32 s3, s8, s3
	s_mul_i32 s8, s11, s2
	s_add_i32 s3, s3, s8
	s_mul_i32 s2, s10, s2
	s_lshl_b64 s[2:3], s[2:3], 3
	s_add_u32 s2, s6, s2
	s_addc_u32 s3, s7, s3
	s_lshl_b64 s[0:1], s[0:1], 3
	s_add_u32 s0, s2, s0
	s_addc_u32 s1, s3, s1
	v_lshl_add_u64 v[2:3], s[0:1], 0, v[20:21]
	s_ashr_i32 s3, s9, 31
	s_mov_b32 s2, s9
	v_lshl_add_u64 v[4:5], s[2:3], 3, v[2:3]
	global_load_dwordx2 v[6:7], v20, s[0:1]
	global_load_dwordx2 v[8:9], v[4:5], off
	s_add_i32 s2, s9, s9
	s_cmpk_lg_i32 s5, 0x84
	s_cselect_b64 s[6:7], -1, 0
	s_cmpk_eq_i32 s5, 0x84
	s_waitcnt vmcnt(0)
	scratch_store_dwordx4 off, v[6:9], off
	s_nop 1
	v_add_u32_e32 v8, s2, v0
	v_add_u32_e32 v10, s9, v8
	v_ashrrev_i32_e32 v9, 31, v8
	v_ashrrev_i32_e32 v11, 31, v10
	v_lshl_add_u64 v[6:7], v[8:9], 3, s[0:1]
	v_lshl_add_u64 v[8:9], v[10:11], 3, s[0:1]
	global_load_dwordx2 v[12:13], v[6:7], off
	global_load_dwordx2 v[14:15], v[8:9], off
	s_waitcnt vmcnt(0)
	scratch_store_dwordx4 off, v[12:15], off offset:16
	s_nop 1
	v_add_u32_e32 v12, s9, v10
	v_add_u32_e32 v14, s9, v12
	v_ashrrev_i32_e32 v13, 31, v12
	v_ashrrev_i32_e32 v15, 31, v14
	v_lshl_add_u64 v[10:11], v[12:13], 3, s[0:1]
	v_lshl_add_u64 v[12:13], v[14:15], 3, s[0:1]
	global_load_dwordx2 v[16:17], v[10:11], off
	global_load_dwordx2 v[18:19], v[12:13], off
	s_waitcnt vmcnt(0)
	scratch_store_dwordx4 off, v[16:19], off offset:32
	;; [unrolled: 11-line block ×7, first 2 shown]
	s_nop 1
	v_add_u32_e32 v38, s9, v36
	v_add_u32_e32 v40, s9, v38
	v_ashrrev_i32_e32 v39, 31, v38
	v_ashrrev_i32_e32 v41, 31, v40
	v_lshl_add_u64 v[36:37], v[38:39], 3, s[0:1]
	v_lshl_add_u64 v[38:39], v[40:41], 3, s[0:1]
	global_load_dwordx2 v[42:43], v[36:37], off
	global_load_dwordx2 v[44:45], v[38:39], off
	v_add_u32_e32 v40, s9, v40
	v_ashrrev_i32_e32 v41, 31, v40
	s_waitcnt vmcnt(0)
	scratch_store_dwordx4 off, v[42:45], off offset:128
	s_nop 1
	v_lshl_add_u64 v[42:43], v[40:41], 3, s[0:1]
	v_add_u32_e32 v40, s9, v40
	v_ashrrev_i32_e32 v41, 31, v40
	v_lshl_add_u64 v[46:47], v[40:41], 3, s[0:1]
	global_load_dwordx2 v[48:49], v[42:43], off
	global_load_dwordx2 v[50:51], v[46:47], off
	v_add_u32_e32 v40, s9, v40
	v_ashrrev_i32_e32 v41, 31, v40
	s_waitcnt vmcnt(0)
	scratch_store_dwordx4 off, v[48:51], off offset:144
	s_nop 1
	v_lshl_add_u64 v[48:49], v[40:41], 3, s[0:1]
	v_add_u32_e32 v40, s9, v40
	v_ashrrev_i32_e32 v41, 31, v40
	v_lshl_add_u64 v[50:51], v[40:41], 3, s[0:1]
	global_load_dwordx2 v[52:53], v[48:49], off
	global_load_dwordx2 v[54:55], v[50:51], off
	v_add_u32_e32 v44, s9, v40
	v_ashrrev_i32_e32 v45, 31, v44
	v_lshl_add_u64 v[40:41], v[44:45], 3, s[0:1]
	v_add_u32_e32 v44, s9, v44
	v_ashrrev_i32_e32 v45, 31, v44
	v_lshl_add_u64 v[44:45], v[44:45], 3, s[0:1]
	s_waitcnt vmcnt(0)
	scratch_store_dwordx4 off, v[52:55], off offset:160
	global_load_dwordx2 v[52:53], v[40:41], off
	s_nop 0
	global_load_dwordx2 v[54:55], v[44:45], off
	s_waitcnt vmcnt(0)
	scratch_store_dwordx4 off, v[52:55], off offset:176
	s_nop 1
	v_mov_b64_e32 v[52:53], -1.0
	s_cbranch_scc1 .LBB23_3
; %bb.2:
	scratch_load_dwordx2 v[52:53], v20, off
	s_waitcnt vmcnt(0)
	v_div_scale_f64 v[54:55], s[0:1], v[52:53], v[52:53], 1.0
	v_rcp_f64_e32 v[56:57], v[54:55]
	v_div_scale_f64 v[58:59], vcc, 1.0, v[52:53], 1.0
	v_fma_f64 v[60:61], -v[54:55], v[56:57], 1.0
	v_fmac_f64_e32 v[56:57], v[56:57], v[60:61]
	v_fma_f64 v[60:61], -v[54:55], v[56:57], 1.0
	v_fmac_f64_e32 v[56:57], v[56:57], v[60:61]
	v_mul_f64 v[60:61], v[58:59], v[56:57]
	v_fma_f64 v[54:55], -v[54:55], v[60:61], v[58:59]
	v_div_fmas_f64 v[54:55], v[54:55], v[56:57], v[60:61]
	v_div_fixup_f64 v[52:53], v[54:55], v[52:53], 1.0
	scratch_store_dwordx2 v20, v[52:53], off
	v_xor_b32_e32 v53, 0x80000000, v53
.LBB23_3:
	s_cmpk_eq_i32 s4, 0x79
	v_add_u32_e32 v1, 0xc0, v20
	v_mov_b32_e32 v21, v20
	s_mov_b64 s[0:1], -1
	ds_write_b64 v20, v[52:53]
	s_cbranch_scc1 .LBB23_227
; %bb.4:
	scratch_load_dwordx2 v[52:53], off, off offset:176
	s_movk_i32 s8, 0x50
	s_movk_i32 s9, 0x60
	;; [unrolled: 1-line block ×6, first 2 shown]
	v_cmp_eq_u32_e64 s[0:1], 23, v0
	s_waitcnt vmcnt(0)
	ds_write_b64 v1, v[52:53]
	s_waitcnt lgkmcnt(0)
	; wave barrier
	s_and_saveexec_b64 s[2:3], s[0:1]
	s_cbranch_execz .LBB23_10
; %bb.5:
	s_and_b64 vcc, exec, s[6:7]
	s_cbranch_vccz .LBB23_7
; %bb.6:
	scratch_load_dwordx2 v[52:53], v21, off
	ds_read_b64 v[54:55], v1
	s_waitcnt vmcnt(0) lgkmcnt(0)
	v_mul_f64 v[52:53], v[52:53], v[54:55]
	s_cbranch_execz .LBB23_8
	s_branch .LBB23_9
.LBB23_7:
                                        ; implicit-def: $vgpr52_vgpr53
.LBB23_8:
	ds_read_b64 v[52:53], v1
.LBB23_9:
	v_mov_b32_e32 v54, 0
	ds_read_b64 v[54:55], v54 offset:176
	s_waitcnt lgkmcnt(0)
	v_mul_f64 v[52:53], v[52:53], v[54:55]
	scratch_store_dwordx2 off, v[52:53], off offset:176
.LBB23_10:
	s_or_b64 exec, exec, s[2:3]
	scratch_load_dwordx2 v[52:53], off, off offset:168
	s_mov_b32 s10, 16
	s_mov_b32 s11, 32
	;; [unrolled: 1-line block ×6, first 2 shown]
	v_cmp_lt_u32_e64 s[2:3], 21, v0
	s_waitcnt vmcnt(0)
	ds_write_b64 v1, v[52:53]
	s_waitcnt lgkmcnt(0)
	; wave barrier
	s_and_saveexec_b64 s[4:5], s[2:3]
	s_cbranch_execz .LBB23_16
; %bb.11:
	s_andn2_b64 vcc, exec, s[6:7]
	s_cbranch_vccnz .LBB23_13
; %bb.12:
	scratch_load_dwordx2 v[52:53], v21, off
	ds_read_b64 v[54:55], v1
	s_waitcnt vmcnt(0) lgkmcnt(0)
	v_mul_f64 v[52:53], v[52:53], v[54:55]
	s_cbranch_execz .LBB23_14
	s_branch .LBB23_15
.LBB23_13:
                                        ; implicit-def: $vgpr52_vgpr53
.LBB23_14:
	ds_read_b64 v[52:53], v1
.LBB23_15:
	scratch_load_dwordx2 v[58:59], off, off offset:176
	v_mov_b32_e32 v54, 0
	ds_read2_b64 v[54:57], v54 offset0:21 offset1:46
	s_waitcnt vmcnt(0) lgkmcnt(0)
	v_fma_f64 v[56:57], v[58:59], v[56:57], v[52:53]
	v_cndmask_b32_e64 v53, v53, v57, s[0:1]
	v_cndmask_b32_e64 v52, v52, v56, s[0:1]
	v_mul_f64 v[52:53], v[52:53], v[54:55]
	scratch_store_dwordx2 off, v[52:53], off offset:168
.LBB23_16:
	s_or_b64 exec, exec, s[4:5]
	scratch_load_dwordx2 v[52:53], off, off offset:160
	v_cmp_lt_u32_e64 s[0:1], 20, v0
	s_waitcnt vmcnt(0)
	ds_write_b64 v1, v[52:53]
	s_waitcnt lgkmcnt(0)
	; wave barrier
	s_and_saveexec_b64 s[4:5], s[0:1]
	s_cbranch_execz .LBB23_26
; %bb.17:
	s_andn2_b64 vcc, exec, s[6:7]
	s_cbranch_vccnz .LBB23_19
; %bb.18:
	scratch_load_dwordx2 v[52:53], v21, off
	ds_read_b64 v[54:55], v1
	s_waitcnt vmcnt(0) lgkmcnt(0)
	v_mul_f64 v[52:53], v[52:53], v[54:55]
	s_cbranch_execz .LBB23_20
	s_branch .LBB23_21
.LBB23_19:
                                        ; implicit-def: $vgpr52_vgpr53
.LBB23_20:
	ds_read_b64 v[52:53], v1
.LBB23_21:
	s_and_saveexec_b64 s[8:9], s[2:3]
	s_cbranch_execz .LBB23_25
; %bb.22:
	s_movk_i32 s20, 0xa8
	v_subrev_u32_e32 v54, 21, v0
	s_movk_i32 s21, 0x168
	s_mov_b64 s[2:3], 0
.LBB23_23:                              ; =>This Inner Loop Header: Depth=1
	scratch_load_dwordx2 v[56:57], off, s20
	v_mov_b32_e32 v55, s21
	ds_read_b64 v[58:59], v55
	v_add_u32_e32 v54, -1, v54
	s_add_i32 s21, s21, 8
	s_add_i32 s20, s20, 8
	v_cmp_eq_u32_e32 vcc, 0, v54
	s_or_b64 s[2:3], vcc, s[2:3]
	s_waitcnt vmcnt(0) lgkmcnt(0)
	v_fmac_f64_e32 v[52:53], v[56:57], v[58:59]
	s_andn2_b64 exec, exec, s[2:3]
	s_cbranch_execnz .LBB23_23
; %bb.24:
	s_or_b64 exec, exec, s[2:3]
.LBB23_25:
	s_or_b64 exec, exec, s[8:9]
	v_mov_b32_e32 v54, 0
	ds_read_b64 v[54:55], v54 offset:160
	s_waitcnt lgkmcnt(0)
	v_mul_f64 v[52:53], v[52:53], v[54:55]
	scratch_store_dwordx2 off, v[52:53], off offset:160
.LBB23_26:
	s_or_b64 exec, exec, s[4:5]
	scratch_load_dwordx2 v[52:53], off, off offset:152
	v_cmp_lt_u32_e64 s[2:3], 19, v0
	s_waitcnt vmcnt(0)
	ds_write_b64 v1, v[52:53]
	s_waitcnt lgkmcnt(0)
	; wave barrier
	s_and_saveexec_b64 s[4:5], s[2:3]
	s_cbranch_execz .LBB23_36
; %bb.27:
	s_andn2_b64 vcc, exec, s[6:7]
	s_cbranch_vccnz .LBB23_29
; %bb.28:
	scratch_load_dwordx2 v[52:53], v21, off
	ds_read_b64 v[54:55], v1
	s_waitcnt vmcnt(0) lgkmcnt(0)
	v_mul_f64 v[52:53], v[52:53], v[54:55]
	s_cbranch_execz .LBB23_30
	s_branch .LBB23_31
.LBB23_29:
                                        ; implicit-def: $vgpr52_vgpr53
.LBB23_30:
	ds_read_b64 v[52:53], v1
.LBB23_31:
	s_and_saveexec_b64 s[8:9], s[0:1]
	s_cbranch_execz .LBB23_35
; %bb.32:
	v_subrev_u32_e32 v54, 20, v0
	s_movk_i32 s20, 0x160
	s_mov_b64 s[0:1], 0
.LBB23_33:                              ; =>This Inner Loop Header: Depth=1
	scratch_load_dwordx2 v[56:57], off, s19
	v_mov_b32_e32 v55, s20
	ds_read_b64 v[58:59], v55
	v_add_u32_e32 v54, -1, v54
	s_add_i32 s20, s20, 8
	s_add_i32 s19, s19, 8
	v_cmp_eq_u32_e32 vcc, 0, v54
	s_or_b64 s[0:1], vcc, s[0:1]
	s_waitcnt vmcnt(0) lgkmcnt(0)
	v_fmac_f64_e32 v[52:53], v[56:57], v[58:59]
	s_andn2_b64 exec, exec, s[0:1]
	s_cbranch_execnz .LBB23_33
; %bb.34:
	s_or_b64 exec, exec, s[0:1]
.LBB23_35:
	s_or_b64 exec, exec, s[8:9]
	v_mov_b32_e32 v54, 0
	ds_read_b64 v[54:55], v54 offset:152
	s_waitcnt lgkmcnt(0)
	v_mul_f64 v[52:53], v[52:53], v[54:55]
	scratch_store_dwordx2 off, v[52:53], off offset:152
.LBB23_36:
	s_or_b64 exec, exec, s[4:5]
	scratch_load_dwordx2 v[52:53], off, off offset:144
	v_cmp_lt_u32_e64 s[0:1], 18, v0
	s_waitcnt vmcnt(0)
	ds_write_b64 v1, v[52:53]
	s_waitcnt lgkmcnt(0)
	; wave barrier
	s_and_saveexec_b64 s[4:5], s[0:1]
	s_cbranch_execz .LBB23_46
; %bb.37:
	s_andn2_b64 vcc, exec, s[6:7]
	s_cbranch_vccnz .LBB23_39
; %bb.38:
	scratch_load_dwordx2 v[52:53], v21, off
	ds_read_b64 v[54:55], v1
	s_waitcnt vmcnt(0) lgkmcnt(0)
	v_mul_f64 v[52:53], v[52:53], v[54:55]
	s_cbranch_execz .LBB23_40
	s_branch .LBB23_41
.LBB23_39:
                                        ; implicit-def: $vgpr52_vgpr53
.LBB23_40:
	ds_read_b64 v[52:53], v1
.LBB23_41:
	s_and_saveexec_b64 s[8:9], s[2:3]
	s_cbranch_execz .LBB23_45
; %bb.42:
	s_movk_i32 s19, 0x98
	v_subrev_u32_e32 v54, 19, v0
	s_movk_i32 s20, 0x158
	s_mov_b64 s[2:3], 0
.LBB23_43:                              ; =>This Inner Loop Header: Depth=1
	scratch_load_dwordx2 v[56:57], off, s19
	v_mov_b32_e32 v55, s20
	ds_read_b64 v[58:59], v55
	v_add_u32_e32 v54, -1, v54
	s_add_i32 s20, s20, 8
	s_add_i32 s19, s19, 8
	v_cmp_eq_u32_e32 vcc, 0, v54
	s_or_b64 s[2:3], vcc, s[2:3]
	s_waitcnt vmcnt(0) lgkmcnt(0)
	v_fmac_f64_e32 v[52:53], v[56:57], v[58:59]
	s_andn2_b64 exec, exec, s[2:3]
	s_cbranch_execnz .LBB23_43
; %bb.44:
	s_or_b64 exec, exec, s[2:3]
.LBB23_45:
	s_or_b64 exec, exec, s[8:9]
	v_mov_b32_e32 v54, 0
	ds_read_b64 v[54:55], v54 offset:144
	s_waitcnt lgkmcnt(0)
	v_mul_f64 v[52:53], v[52:53], v[54:55]
	scratch_store_dwordx2 off, v[52:53], off offset:144
.LBB23_46:
	s_or_b64 exec, exec, s[4:5]
	scratch_load_dwordx2 v[52:53], off, off offset:136
	v_cmp_lt_u32_e64 s[2:3], 17, v0
	s_waitcnt vmcnt(0)
	ds_write_b64 v1, v[52:53]
	s_waitcnt lgkmcnt(0)
	; wave barrier
	s_and_saveexec_b64 s[4:5], s[2:3]
	s_cbranch_execz .LBB23_56
; %bb.47:
	s_andn2_b64 vcc, exec, s[6:7]
	s_cbranch_vccnz .LBB23_49
; %bb.48:
	scratch_load_dwordx2 v[52:53], v21, off
	ds_read_b64 v[54:55], v1
	s_waitcnt vmcnt(0) lgkmcnt(0)
	v_mul_f64 v[52:53], v[52:53], v[54:55]
	s_cbranch_execz .LBB23_50
	s_branch .LBB23_51
.LBB23_49:
                                        ; implicit-def: $vgpr52_vgpr53
.LBB23_50:
	ds_read_b64 v[52:53], v1
.LBB23_51:
	s_and_saveexec_b64 s[8:9], s[0:1]
	s_cbranch_execz .LBB23_55
; %bb.52:
	v_subrev_u32_e32 v54, 18, v0
	s_movk_i32 s19, 0x150
	s_mov_b64 s[0:1], 0
.LBB23_53:                              ; =>This Inner Loop Header: Depth=1
	scratch_load_dwordx2 v[56:57], off, s18
	v_mov_b32_e32 v55, s19
	ds_read_b64 v[58:59], v55
	v_add_u32_e32 v54, -1, v54
	s_add_i32 s19, s19, 8
	s_add_i32 s18, s18, 8
	v_cmp_eq_u32_e32 vcc, 0, v54
	s_or_b64 s[0:1], vcc, s[0:1]
	s_waitcnt vmcnt(0) lgkmcnt(0)
	v_fmac_f64_e32 v[52:53], v[56:57], v[58:59]
	s_andn2_b64 exec, exec, s[0:1]
	s_cbranch_execnz .LBB23_53
; %bb.54:
	s_or_b64 exec, exec, s[0:1]
.LBB23_55:
	s_or_b64 exec, exec, s[8:9]
	v_mov_b32_e32 v54, 0
	ds_read_b64 v[54:55], v54 offset:136
	s_waitcnt lgkmcnt(0)
	v_mul_f64 v[52:53], v[52:53], v[54:55]
	scratch_store_dwordx2 off, v[52:53], off offset:136
.LBB23_56:
	s_or_b64 exec, exec, s[4:5]
	scratch_load_dwordx2 v[52:53], off, off offset:128
	v_cmp_lt_u32_e64 s[0:1], 16, v0
	s_waitcnt vmcnt(0)
	ds_write_b64 v1, v[52:53]
	s_waitcnt lgkmcnt(0)
	; wave barrier
	s_and_saveexec_b64 s[4:5], s[0:1]
	s_cbranch_execz .LBB23_66
; %bb.57:
	s_andn2_b64 vcc, exec, s[6:7]
	s_cbranch_vccnz .LBB23_59
; %bb.58:
	scratch_load_dwordx2 v[52:53], v21, off
	ds_read_b64 v[54:55], v1
	s_waitcnt vmcnt(0) lgkmcnt(0)
	v_mul_f64 v[52:53], v[52:53], v[54:55]
	s_cbranch_execz .LBB23_60
	s_branch .LBB23_61
.LBB23_59:
                                        ; implicit-def: $vgpr52_vgpr53
.LBB23_60:
	ds_read_b64 v[52:53], v1
.LBB23_61:
	s_and_saveexec_b64 s[8:9], s[2:3]
	s_cbranch_execz .LBB23_65
; %bb.62:
	s_movk_i32 s18, 0x88
	v_subrev_u32_e32 v54, 17, v0
	s_movk_i32 s19, 0x148
	s_mov_b64 s[2:3], 0
.LBB23_63:                              ; =>This Inner Loop Header: Depth=1
	scratch_load_dwordx2 v[56:57], off, s18
	v_mov_b32_e32 v55, s19
	ds_read_b64 v[58:59], v55
	v_add_u32_e32 v54, -1, v54
	s_add_i32 s19, s19, 8
	s_add_i32 s18, s18, 8
	v_cmp_eq_u32_e32 vcc, 0, v54
	s_or_b64 s[2:3], vcc, s[2:3]
	s_waitcnt vmcnt(0) lgkmcnt(0)
	v_fmac_f64_e32 v[52:53], v[56:57], v[58:59]
	s_andn2_b64 exec, exec, s[2:3]
	s_cbranch_execnz .LBB23_63
; %bb.64:
	s_or_b64 exec, exec, s[2:3]
.LBB23_65:
	s_or_b64 exec, exec, s[8:9]
	v_mov_b32_e32 v54, 0
	ds_read_b64 v[54:55], v54 offset:128
	s_waitcnt lgkmcnt(0)
	v_mul_f64 v[52:53], v[52:53], v[54:55]
	scratch_store_dwordx2 off, v[52:53], off offset:128
.LBB23_66:
	s_or_b64 exec, exec, s[4:5]
	scratch_load_dwordx2 v[52:53], off, off offset:120
	v_cmp_lt_u32_e64 s[2:3], 15, v0
	s_waitcnt vmcnt(0)
	ds_write_b64 v1, v[52:53]
	s_waitcnt lgkmcnt(0)
	; wave barrier
	s_and_saveexec_b64 s[4:5], s[2:3]
	s_cbranch_execz .LBB23_76
; %bb.67:
	s_andn2_b64 vcc, exec, s[6:7]
	s_cbranch_vccnz .LBB23_69
; %bb.68:
	scratch_load_dwordx2 v[52:53], v21, off
	ds_read_b64 v[54:55], v1
	s_waitcnt vmcnt(0) lgkmcnt(0)
	v_mul_f64 v[52:53], v[52:53], v[54:55]
	s_cbranch_execz .LBB23_70
	s_branch .LBB23_71
.LBB23_69:
                                        ; implicit-def: $vgpr52_vgpr53
.LBB23_70:
	ds_read_b64 v[52:53], v1
.LBB23_71:
	s_and_saveexec_b64 s[8:9], s[0:1]
	s_cbranch_execz .LBB23_75
; %bb.72:
	v_add_u32_e32 v54, -16, v0
	s_movk_i32 s18, 0x140
	s_mov_b64 s[0:1], 0
.LBB23_73:                              ; =>This Inner Loop Header: Depth=1
	scratch_load_dwordx2 v[56:57], off, s17
	v_mov_b32_e32 v55, s18
	ds_read_b64 v[58:59], v55
	v_add_u32_e32 v54, -1, v54
	s_add_i32 s18, s18, 8
	s_add_i32 s17, s17, 8
	v_cmp_eq_u32_e32 vcc, 0, v54
	s_or_b64 s[0:1], vcc, s[0:1]
	s_waitcnt vmcnt(0) lgkmcnt(0)
	v_fmac_f64_e32 v[52:53], v[56:57], v[58:59]
	s_andn2_b64 exec, exec, s[0:1]
	s_cbranch_execnz .LBB23_73
; %bb.74:
	s_or_b64 exec, exec, s[0:1]
.LBB23_75:
	s_or_b64 exec, exec, s[8:9]
	v_mov_b32_e32 v54, 0
	ds_read_b64 v[54:55], v54 offset:120
	s_waitcnt lgkmcnt(0)
	v_mul_f64 v[52:53], v[52:53], v[54:55]
	scratch_store_dwordx2 off, v[52:53], off offset:120
.LBB23_76:
	s_or_b64 exec, exec, s[4:5]
	scratch_load_dwordx2 v[52:53], off, off offset:112
	v_cmp_lt_u32_e64 s[0:1], 14, v0
	s_waitcnt vmcnt(0)
	ds_write_b64 v1, v[52:53]
	s_waitcnt lgkmcnt(0)
	; wave barrier
	s_and_saveexec_b64 s[4:5], s[0:1]
	s_cbranch_execz .LBB23_86
; %bb.77:
	s_andn2_b64 vcc, exec, s[6:7]
	s_cbranch_vccnz .LBB23_79
; %bb.78:
	scratch_load_dwordx2 v[52:53], v21, off
	ds_read_b64 v[54:55], v1
	s_waitcnt vmcnt(0) lgkmcnt(0)
	v_mul_f64 v[52:53], v[52:53], v[54:55]
	s_cbranch_execz .LBB23_80
	s_branch .LBB23_81
.LBB23_79:
                                        ; implicit-def: $vgpr52_vgpr53
.LBB23_80:
	ds_read_b64 v[52:53], v1
.LBB23_81:
	s_and_saveexec_b64 s[8:9], s[2:3]
	s_cbranch_execz .LBB23_85
; %bb.82:
	s_movk_i32 s17, 0x78
	v_add_u32_e32 v54, -15, v0
	s_movk_i32 s18, 0x138
	s_mov_b64 s[2:3], 0
.LBB23_83:                              ; =>This Inner Loop Header: Depth=1
	scratch_load_dwordx2 v[56:57], off, s17
	v_mov_b32_e32 v55, s18
	ds_read_b64 v[58:59], v55
	v_add_u32_e32 v54, -1, v54
	s_add_i32 s18, s18, 8
	s_add_i32 s17, s17, 8
	v_cmp_eq_u32_e32 vcc, 0, v54
	s_or_b64 s[2:3], vcc, s[2:3]
	s_waitcnt vmcnt(0) lgkmcnt(0)
	v_fmac_f64_e32 v[52:53], v[56:57], v[58:59]
	s_andn2_b64 exec, exec, s[2:3]
	s_cbranch_execnz .LBB23_83
; %bb.84:
	s_or_b64 exec, exec, s[2:3]
.LBB23_85:
	s_or_b64 exec, exec, s[8:9]
	v_mov_b32_e32 v54, 0
	ds_read_b64 v[54:55], v54 offset:112
	s_waitcnt lgkmcnt(0)
	v_mul_f64 v[52:53], v[52:53], v[54:55]
	scratch_store_dwordx2 off, v[52:53], off offset:112
.LBB23_86:
	s_or_b64 exec, exec, s[4:5]
	scratch_load_dwordx2 v[52:53], off, off offset:104
	v_cmp_lt_u32_e64 s[2:3], 13, v0
	s_waitcnt vmcnt(0)
	ds_write_b64 v1, v[52:53]
	s_waitcnt lgkmcnt(0)
	; wave barrier
	s_and_saveexec_b64 s[4:5], s[2:3]
	s_cbranch_execz .LBB23_96
; %bb.87:
	s_andn2_b64 vcc, exec, s[6:7]
	s_cbranch_vccnz .LBB23_89
; %bb.88:
	scratch_load_dwordx2 v[52:53], v21, off
	ds_read_b64 v[54:55], v1
	s_waitcnt vmcnt(0) lgkmcnt(0)
	v_mul_f64 v[52:53], v[52:53], v[54:55]
	s_cbranch_execz .LBB23_90
	s_branch .LBB23_91
.LBB23_89:
                                        ; implicit-def: $vgpr52_vgpr53
.LBB23_90:
	ds_read_b64 v[52:53], v1
.LBB23_91:
	s_and_saveexec_b64 s[8:9], s[0:1]
	s_cbranch_execz .LBB23_95
; %bb.92:
	v_add_u32_e32 v54, -14, v0
	s_movk_i32 s17, 0x130
	s_mov_b64 s[0:1], 0
.LBB23_93:                              ; =>This Inner Loop Header: Depth=1
	scratch_load_dwordx2 v[56:57], off, s16
	v_mov_b32_e32 v55, s17
	ds_read_b64 v[58:59], v55
	v_add_u32_e32 v54, -1, v54
	s_add_i32 s17, s17, 8
	s_add_i32 s16, s16, 8
	v_cmp_eq_u32_e32 vcc, 0, v54
	s_or_b64 s[0:1], vcc, s[0:1]
	s_waitcnt vmcnt(0) lgkmcnt(0)
	v_fmac_f64_e32 v[52:53], v[56:57], v[58:59]
	s_andn2_b64 exec, exec, s[0:1]
	s_cbranch_execnz .LBB23_93
; %bb.94:
	s_or_b64 exec, exec, s[0:1]
.LBB23_95:
	s_or_b64 exec, exec, s[8:9]
	v_mov_b32_e32 v54, 0
	ds_read_b64 v[54:55], v54 offset:104
	s_waitcnt lgkmcnt(0)
	v_mul_f64 v[52:53], v[52:53], v[54:55]
	scratch_store_dwordx2 off, v[52:53], off offset:104
.LBB23_96:
	s_or_b64 exec, exec, s[4:5]
	scratch_load_dwordx2 v[52:53], off, off offset:96
	v_cmp_lt_u32_e64 s[0:1], 12, v0
	s_waitcnt vmcnt(0)
	ds_write_b64 v1, v[52:53]
	s_waitcnt lgkmcnt(0)
	; wave barrier
	s_and_saveexec_b64 s[4:5], s[0:1]
	s_cbranch_execz .LBB23_106
; %bb.97:
	s_andn2_b64 vcc, exec, s[6:7]
	s_cbranch_vccnz .LBB23_99
; %bb.98:
	scratch_load_dwordx2 v[52:53], v21, off
	ds_read_b64 v[54:55], v1
	s_waitcnt vmcnt(0) lgkmcnt(0)
	v_mul_f64 v[52:53], v[52:53], v[54:55]
	s_cbranch_execz .LBB23_100
	s_branch .LBB23_101
.LBB23_99:
                                        ; implicit-def: $vgpr52_vgpr53
.LBB23_100:
	ds_read_b64 v[52:53], v1
.LBB23_101:
	s_and_saveexec_b64 s[8:9], s[2:3]
	s_cbranch_execz .LBB23_105
; %bb.102:
	s_movk_i32 s16, 0x68
	v_add_u32_e32 v54, -13, v0
	s_movk_i32 s17, 0x128
	s_mov_b64 s[2:3], 0
.LBB23_103:                             ; =>This Inner Loop Header: Depth=1
	scratch_load_dwordx2 v[56:57], off, s16
	v_mov_b32_e32 v55, s17
	ds_read_b64 v[58:59], v55
	v_add_u32_e32 v54, -1, v54
	s_add_i32 s17, s17, 8
	s_add_i32 s16, s16, 8
	v_cmp_eq_u32_e32 vcc, 0, v54
	s_or_b64 s[2:3], vcc, s[2:3]
	s_waitcnt vmcnt(0) lgkmcnt(0)
	v_fmac_f64_e32 v[52:53], v[56:57], v[58:59]
	s_andn2_b64 exec, exec, s[2:3]
	s_cbranch_execnz .LBB23_103
; %bb.104:
	s_or_b64 exec, exec, s[2:3]
.LBB23_105:
	s_or_b64 exec, exec, s[8:9]
	v_mov_b32_e32 v54, 0
	ds_read_b64 v[54:55], v54 offset:96
	s_waitcnt lgkmcnt(0)
	v_mul_f64 v[52:53], v[52:53], v[54:55]
	scratch_store_dwordx2 off, v[52:53], off offset:96
.LBB23_106:
	s_or_b64 exec, exec, s[4:5]
	scratch_load_dwordx2 v[52:53], off, off offset:88
	v_cmp_lt_u32_e64 s[2:3], 11, v0
	s_waitcnt vmcnt(0)
	ds_write_b64 v1, v[52:53]
	s_waitcnt lgkmcnt(0)
	; wave barrier
	s_and_saveexec_b64 s[4:5], s[2:3]
	s_cbranch_execz .LBB23_116
; %bb.107:
	s_andn2_b64 vcc, exec, s[6:7]
	s_cbranch_vccnz .LBB23_109
; %bb.108:
	scratch_load_dwordx2 v[52:53], v21, off
	ds_read_b64 v[54:55], v1
	s_waitcnt vmcnt(0) lgkmcnt(0)
	v_mul_f64 v[52:53], v[52:53], v[54:55]
	s_cbranch_execz .LBB23_110
	s_branch .LBB23_111
.LBB23_109:
                                        ; implicit-def: $vgpr52_vgpr53
.LBB23_110:
	ds_read_b64 v[52:53], v1
.LBB23_111:
	s_and_saveexec_b64 s[8:9], s[0:1]
	s_cbranch_execz .LBB23_115
; %bb.112:
	v_add_u32_e32 v54, -12, v0
	s_movk_i32 s16, 0x120
	s_mov_b64 s[0:1], 0
.LBB23_113:                             ; =>This Inner Loop Header: Depth=1
	scratch_load_dwordx2 v[56:57], off, s15
	v_mov_b32_e32 v55, s16
	ds_read_b64 v[58:59], v55
	v_add_u32_e32 v54, -1, v54
	s_add_i32 s16, s16, 8
	s_add_i32 s15, s15, 8
	v_cmp_eq_u32_e32 vcc, 0, v54
	s_or_b64 s[0:1], vcc, s[0:1]
	s_waitcnt vmcnt(0) lgkmcnt(0)
	v_fmac_f64_e32 v[52:53], v[56:57], v[58:59]
	s_andn2_b64 exec, exec, s[0:1]
	s_cbranch_execnz .LBB23_113
; %bb.114:
	s_or_b64 exec, exec, s[0:1]
.LBB23_115:
	s_or_b64 exec, exec, s[8:9]
	v_mov_b32_e32 v54, 0
	ds_read_b64 v[54:55], v54 offset:88
	s_waitcnt lgkmcnt(0)
	v_mul_f64 v[52:53], v[52:53], v[54:55]
	scratch_store_dwordx2 off, v[52:53], off offset:88
.LBB23_116:
	s_or_b64 exec, exec, s[4:5]
	scratch_load_dwordx2 v[52:53], off, off offset:80
	v_cmp_lt_u32_e64 s[0:1], 10, v0
	s_waitcnt vmcnt(0)
	ds_write_b64 v1, v[52:53]
	s_waitcnt lgkmcnt(0)
	; wave barrier
	s_and_saveexec_b64 s[4:5], s[0:1]
	s_cbranch_execz .LBB23_126
; %bb.117:
	s_andn2_b64 vcc, exec, s[6:7]
	s_cbranch_vccnz .LBB23_119
; %bb.118:
	scratch_load_dwordx2 v[52:53], v21, off
	ds_read_b64 v[54:55], v1
	s_waitcnt vmcnt(0) lgkmcnt(0)
	v_mul_f64 v[52:53], v[52:53], v[54:55]
	s_cbranch_execz .LBB23_120
	s_branch .LBB23_121
.LBB23_119:
                                        ; implicit-def: $vgpr52_vgpr53
.LBB23_120:
	ds_read_b64 v[52:53], v1
.LBB23_121:
	s_and_saveexec_b64 s[8:9], s[2:3]
	s_cbranch_execz .LBB23_125
; %bb.122:
	s_movk_i32 s15, 0x58
	v_add_u32_e32 v54, -11, v0
	s_movk_i32 s16, 0x118
	s_mov_b64 s[2:3], 0
.LBB23_123:                             ; =>This Inner Loop Header: Depth=1
	scratch_load_dwordx2 v[56:57], off, s15
	v_mov_b32_e32 v55, s16
	ds_read_b64 v[58:59], v55
	v_add_u32_e32 v54, -1, v54
	s_add_i32 s16, s16, 8
	s_add_i32 s15, s15, 8
	v_cmp_eq_u32_e32 vcc, 0, v54
	s_or_b64 s[2:3], vcc, s[2:3]
	s_waitcnt vmcnt(0) lgkmcnt(0)
	v_fmac_f64_e32 v[52:53], v[56:57], v[58:59]
	s_andn2_b64 exec, exec, s[2:3]
	s_cbranch_execnz .LBB23_123
; %bb.124:
	s_or_b64 exec, exec, s[2:3]
.LBB23_125:
	s_or_b64 exec, exec, s[8:9]
	v_mov_b32_e32 v54, 0
	ds_read_b64 v[54:55], v54 offset:80
	s_waitcnt lgkmcnt(0)
	v_mul_f64 v[52:53], v[52:53], v[54:55]
	scratch_store_dwordx2 off, v[52:53], off offset:80
.LBB23_126:
	s_or_b64 exec, exec, s[4:5]
	scratch_load_dwordx2 v[52:53], off, off offset:72
	v_cmp_lt_u32_e64 s[2:3], 9, v0
	s_waitcnt vmcnt(0)
	ds_write_b64 v1, v[52:53]
	s_waitcnt lgkmcnt(0)
	; wave barrier
	s_and_saveexec_b64 s[4:5], s[2:3]
	s_cbranch_execz .LBB23_136
; %bb.127:
	s_andn2_b64 vcc, exec, s[6:7]
	s_cbranch_vccnz .LBB23_129
; %bb.128:
	scratch_load_dwordx2 v[52:53], v21, off
	ds_read_b64 v[54:55], v1
	s_waitcnt vmcnt(0) lgkmcnt(0)
	v_mul_f64 v[52:53], v[52:53], v[54:55]
	s_cbranch_execz .LBB23_130
	s_branch .LBB23_131
.LBB23_129:
                                        ; implicit-def: $vgpr52_vgpr53
.LBB23_130:
	ds_read_b64 v[52:53], v1
.LBB23_131:
	s_and_saveexec_b64 s[8:9], s[0:1]
	s_cbranch_execz .LBB23_135
; %bb.132:
	v_add_u32_e32 v54, -10, v0
	s_movk_i32 s15, 0x110
	s_mov_b64 s[0:1], 0
.LBB23_133:                             ; =>This Inner Loop Header: Depth=1
	scratch_load_dwordx2 v[56:57], off, s14
	v_mov_b32_e32 v55, s15
	ds_read_b64 v[58:59], v55
	v_add_u32_e32 v54, -1, v54
	s_add_i32 s15, s15, 8
	s_add_i32 s14, s14, 8
	v_cmp_eq_u32_e32 vcc, 0, v54
	s_or_b64 s[0:1], vcc, s[0:1]
	s_waitcnt vmcnt(0) lgkmcnt(0)
	v_fmac_f64_e32 v[52:53], v[56:57], v[58:59]
	s_andn2_b64 exec, exec, s[0:1]
	s_cbranch_execnz .LBB23_133
; %bb.134:
	s_or_b64 exec, exec, s[0:1]
.LBB23_135:
	s_or_b64 exec, exec, s[8:9]
	v_mov_b32_e32 v54, 0
	ds_read_b64 v[54:55], v54 offset:72
	s_waitcnt lgkmcnt(0)
	v_mul_f64 v[52:53], v[52:53], v[54:55]
	scratch_store_dwordx2 off, v[52:53], off offset:72
.LBB23_136:
	s_or_b64 exec, exec, s[4:5]
	scratch_load_dwordx2 v[52:53], off, off offset:64
	v_cmp_lt_u32_e64 s[0:1], 8, v0
	s_waitcnt vmcnt(0)
	ds_write_b64 v1, v[52:53]
	s_waitcnt lgkmcnt(0)
	; wave barrier
	s_and_saveexec_b64 s[4:5], s[0:1]
	s_cbranch_execz .LBB23_146
; %bb.137:
	s_andn2_b64 vcc, exec, s[6:7]
	s_cbranch_vccnz .LBB23_139
; %bb.138:
	scratch_load_dwordx2 v[52:53], v21, off
	ds_read_b64 v[54:55], v1
	s_waitcnt vmcnt(0) lgkmcnt(0)
	v_mul_f64 v[52:53], v[52:53], v[54:55]
	s_cbranch_execz .LBB23_140
	s_branch .LBB23_141
.LBB23_139:
                                        ; implicit-def: $vgpr52_vgpr53
.LBB23_140:
	ds_read_b64 v[52:53], v1
.LBB23_141:
	s_and_saveexec_b64 s[8:9], s[2:3]
	s_cbranch_execz .LBB23_145
; %bb.142:
	s_movk_i32 s14, 0x48
	v_add_u32_e32 v54, -9, v0
	s_movk_i32 s15, 0x108
	s_mov_b64 s[2:3], 0
.LBB23_143:                             ; =>This Inner Loop Header: Depth=1
	scratch_load_dwordx2 v[56:57], off, s14
	v_mov_b32_e32 v55, s15
	ds_read_b64 v[58:59], v55
	v_add_u32_e32 v54, -1, v54
	s_add_i32 s15, s15, 8
	s_add_i32 s14, s14, 8
	v_cmp_eq_u32_e32 vcc, 0, v54
	s_or_b64 s[2:3], vcc, s[2:3]
	s_waitcnt vmcnt(0) lgkmcnt(0)
	v_fmac_f64_e32 v[52:53], v[56:57], v[58:59]
	s_andn2_b64 exec, exec, s[2:3]
	s_cbranch_execnz .LBB23_143
; %bb.144:
	s_or_b64 exec, exec, s[2:3]
.LBB23_145:
	s_or_b64 exec, exec, s[8:9]
	v_mov_b32_e32 v54, 0
	ds_read_b64 v[54:55], v54 offset:64
	s_waitcnt lgkmcnt(0)
	v_mul_f64 v[52:53], v[52:53], v[54:55]
	scratch_store_dwordx2 off, v[52:53], off offset:64
.LBB23_146:
	s_or_b64 exec, exec, s[4:5]
	scratch_load_dwordx2 v[52:53], off, off offset:56
	v_cmp_lt_u32_e64 s[2:3], 7, v0
	s_waitcnt vmcnt(0)
	ds_write_b64 v1, v[52:53]
	s_waitcnt lgkmcnt(0)
	; wave barrier
	s_and_saveexec_b64 s[4:5], s[2:3]
	s_cbranch_execz .LBB23_156
; %bb.147:
	s_andn2_b64 vcc, exec, s[6:7]
	s_cbranch_vccnz .LBB23_149
; %bb.148:
	scratch_load_dwordx2 v[52:53], v21, off
	ds_read_b64 v[54:55], v1
	s_waitcnt vmcnt(0) lgkmcnt(0)
	v_mul_f64 v[52:53], v[52:53], v[54:55]
	s_cbranch_execz .LBB23_150
	s_branch .LBB23_151
.LBB23_149:
                                        ; implicit-def: $vgpr52_vgpr53
.LBB23_150:
	ds_read_b64 v[52:53], v1
.LBB23_151:
	s_and_saveexec_b64 s[8:9], s[0:1]
	s_cbranch_execz .LBB23_155
; %bb.152:
	v_add_u32_e32 v54, -8, v0
	s_movk_i32 s14, 0x100
	s_mov_b64 s[0:1], 0
.LBB23_153:                             ; =>This Inner Loop Header: Depth=1
	scratch_load_dwordx2 v[56:57], off, s13
	v_mov_b32_e32 v55, s14
	ds_read_b64 v[58:59], v55
	v_add_u32_e32 v54, -1, v54
	s_add_i32 s14, s14, 8
	s_add_i32 s13, s13, 8
	v_cmp_eq_u32_e32 vcc, 0, v54
	s_or_b64 s[0:1], vcc, s[0:1]
	s_waitcnt vmcnt(0) lgkmcnt(0)
	v_fmac_f64_e32 v[52:53], v[56:57], v[58:59]
	s_andn2_b64 exec, exec, s[0:1]
	s_cbranch_execnz .LBB23_153
; %bb.154:
	s_or_b64 exec, exec, s[0:1]
.LBB23_155:
	s_or_b64 exec, exec, s[8:9]
	v_mov_b32_e32 v54, 0
	ds_read_b64 v[54:55], v54 offset:56
	s_waitcnt lgkmcnt(0)
	v_mul_f64 v[52:53], v[52:53], v[54:55]
	scratch_store_dwordx2 off, v[52:53], off offset:56
.LBB23_156:
	s_or_b64 exec, exec, s[4:5]
	scratch_load_dwordx2 v[52:53], off, off offset:48
	v_cmp_lt_u32_e64 s[0:1], 6, v0
	s_waitcnt vmcnt(0)
	ds_write_b64 v1, v[52:53]
	s_waitcnt lgkmcnt(0)
	; wave barrier
	s_and_saveexec_b64 s[4:5], s[0:1]
	s_cbranch_execz .LBB23_166
; %bb.157:
	s_andn2_b64 vcc, exec, s[6:7]
	s_cbranch_vccnz .LBB23_159
; %bb.158:
	scratch_load_dwordx2 v[52:53], v21, off
	ds_read_b64 v[54:55], v1
	s_waitcnt vmcnt(0) lgkmcnt(0)
	v_mul_f64 v[52:53], v[52:53], v[54:55]
	s_cbranch_execz .LBB23_160
	s_branch .LBB23_161
.LBB23_159:
                                        ; implicit-def: $vgpr52_vgpr53
.LBB23_160:
	ds_read_b64 v[52:53], v1
.LBB23_161:
	s_and_saveexec_b64 s[8:9], s[2:3]
	s_cbranch_execz .LBB23_165
; %bb.162:
	s_mov_b32 s13, 56
	v_add_u32_e32 v54, -7, v0
	s_movk_i32 s14, 0xf8
	s_mov_b64 s[2:3], 0
.LBB23_163:                             ; =>This Inner Loop Header: Depth=1
	scratch_load_dwordx2 v[56:57], off, s13
	v_mov_b32_e32 v55, s14
	ds_read_b64 v[58:59], v55
	v_add_u32_e32 v54, -1, v54
	s_add_i32 s14, s14, 8
	s_add_i32 s13, s13, 8
	v_cmp_eq_u32_e32 vcc, 0, v54
	s_or_b64 s[2:3], vcc, s[2:3]
	s_waitcnt vmcnt(0) lgkmcnt(0)
	v_fmac_f64_e32 v[52:53], v[56:57], v[58:59]
	s_andn2_b64 exec, exec, s[2:3]
	s_cbranch_execnz .LBB23_163
; %bb.164:
	s_or_b64 exec, exec, s[2:3]
.LBB23_165:
	s_or_b64 exec, exec, s[8:9]
	v_mov_b32_e32 v54, 0
	ds_read_b64 v[54:55], v54 offset:48
	s_waitcnt lgkmcnt(0)
	v_mul_f64 v[52:53], v[52:53], v[54:55]
	scratch_store_dwordx2 off, v[52:53], off offset:48
.LBB23_166:
	s_or_b64 exec, exec, s[4:5]
	scratch_load_dwordx2 v[52:53], off, off offset:40
	v_cmp_lt_u32_e64 s[2:3], 5, v0
	s_waitcnt vmcnt(0)
	ds_write_b64 v1, v[52:53]
	s_waitcnt lgkmcnt(0)
	; wave barrier
	s_and_saveexec_b64 s[4:5], s[2:3]
	s_cbranch_execz .LBB23_176
; %bb.167:
	s_andn2_b64 vcc, exec, s[6:7]
	s_cbranch_vccnz .LBB23_169
; %bb.168:
	scratch_load_dwordx2 v[52:53], v21, off
	ds_read_b64 v[54:55], v1
	s_waitcnt vmcnt(0) lgkmcnt(0)
	v_mul_f64 v[52:53], v[52:53], v[54:55]
	s_cbranch_execz .LBB23_170
	s_branch .LBB23_171
.LBB23_169:
                                        ; implicit-def: $vgpr52_vgpr53
.LBB23_170:
	ds_read_b64 v[52:53], v1
.LBB23_171:
	s_and_saveexec_b64 s[8:9], s[0:1]
	s_cbranch_execz .LBB23_175
; %bb.172:
	v_add_u32_e32 v54, -6, v0
	s_movk_i32 s13, 0xf0
	s_mov_b64 s[0:1], 0
.LBB23_173:                             ; =>This Inner Loop Header: Depth=1
	scratch_load_dwordx2 v[56:57], off, s12
	v_mov_b32_e32 v55, s13
	ds_read_b64 v[58:59], v55
	v_add_u32_e32 v54, -1, v54
	s_add_i32 s13, s13, 8
	s_add_i32 s12, s12, 8
	v_cmp_eq_u32_e32 vcc, 0, v54
	s_or_b64 s[0:1], vcc, s[0:1]
	s_waitcnt vmcnt(0) lgkmcnt(0)
	v_fmac_f64_e32 v[52:53], v[56:57], v[58:59]
	s_andn2_b64 exec, exec, s[0:1]
	s_cbranch_execnz .LBB23_173
; %bb.174:
	s_or_b64 exec, exec, s[0:1]
.LBB23_175:
	s_or_b64 exec, exec, s[8:9]
	v_mov_b32_e32 v54, 0
	ds_read_b64 v[54:55], v54 offset:40
	s_waitcnt lgkmcnt(0)
	v_mul_f64 v[52:53], v[52:53], v[54:55]
	scratch_store_dwordx2 off, v[52:53], off offset:40
.LBB23_176:
	s_or_b64 exec, exec, s[4:5]
	scratch_load_dwordx2 v[52:53], off, off offset:32
	v_cmp_lt_u32_e64 s[0:1], 4, v0
	s_waitcnt vmcnt(0)
	ds_write_b64 v1, v[52:53]
	s_waitcnt lgkmcnt(0)
	; wave barrier
	s_and_saveexec_b64 s[4:5], s[0:1]
	s_cbranch_execz .LBB23_186
; %bb.177:
	s_andn2_b64 vcc, exec, s[6:7]
	s_cbranch_vccnz .LBB23_179
; %bb.178:
	scratch_load_dwordx2 v[52:53], v21, off
	ds_read_b64 v[54:55], v1
	s_waitcnt vmcnt(0) lgkmcnt(0)
	v_mul_f64 v[52:53], v[52:53], v[54:55]
	s_cbranch_execz .LBB23_180
	s_branch .LBB23_181
.LBB23_179:
                                        ; implicit-def: $vgpr52_vgpr53
.LBB23_180:
	ds_read_b64 v[52:53], v1
.LBB23_181:
	s_and_saveexec_b64 s[8:9], s[2:3]
	s_cbranch_execz .LBB23_185
; %bb.182:
	s_mov_b32 s12, 40
	v_add_u32_e32 v54, -5, v0
	s_movk_i32 s13, 0xe8
	s_mov_b64 s[2:3], 0
.LBB23_183:                             ; =>This Inner Loop Header: Depth=1
	scratch_load_dwordx2 v[56:57], off, s12
	v_mov_b32_e32 v55, s13
	ds_read_b64 v[58:59], v55
	v_add_u32_e32 v54, -1, v54
	s_add_i32 s13, s13, 8
	s_add_i32 s12, s12, 8
	v_cmp_eq_u32_e32 vcc, 0, v54
	s_or_b64 s[2:3], vcc, s[2:3]
	s_waitcnt vmcnt(0) lgkmcnt(0)
	v_fmac_f64_e32 v[52:53], v[56:57], v[58:59]
	s_andn2_b64 exec, exec, s[2:3]
	s_cbranch_execnz .LBB23_183
; %bb.184:
	s_or_b64 exec, exec, s[2:3]
.LBB23_185:
	s_or_b64 exec, exec, s[8:9]
	v_mov_b32_e32 v54, 0
	ds_read_b64 v[54:55], v54 offset:32
	s_waitcnt lgkmcnt(0)
	v_mul_f64 v[52:53], v[52:53], v[54:55]
	scratch_store_dwordx2 off, v[52:53], off offset:32
.LBB23_186:
	s_or_b64 exec, exec, s[4:5]
	scratch_load_dwordx2 v[52:53], off, off offset:24
	v_cmp_lt_u32_e64 s[2:3], 3, v0
	s_waitcnt vmcnt(0)
	ds_write_b64 v1, v[52:53]
	s_waitcnt lgkmcnt(0)
	; wave barrier
	s_and_saveexec_b64 s[4:5], s[2:3]
	s_cbranch_execz .LBB23_196
; %bb.187:
	s_andn2_b64 vcc, exec, s[6:7]
	s_cbranch_vccnz .LBB23_189
; %bb.188:
	scratch_load_dwordx2 v[52:53], v21, off
	ds_read_b64 v[54:55], v1
	s_waitcnt vmcnt(0) lgkmcnt(0)
	v_mul_f64 v[52:53], v[52:53], v[54:55]
	s_cbranch_execz .LBB23_190
	s_branch .LBB23_191
.LBB23_189:
                                        ; implicit-def: $vgpr52_vgpr53
.LBB23_190:
	ds_read_b64 v[52:53], v1
.LBB23_191:
	s_and_saveexec_b64 s[8:9], s[0:1]
	s_cbranch_execz .LBB23_195
; %bb.192:
	v_add_u32_e32 v54, -4, v0
	s_movk_i32 s12, 0xe0
	s_mov_b64 s[0:1], 0
.LBB23_193:                             ; =>This Inner Loop Header: Depth=1
	scratch_load_dwordx2 v[56:57], off, s11
	v_mov_b32_e32 v55, s12
	ds_read_b64 v[58:59], v55
	v_add_u32_e32 v54, -1, v54
	s_add_i32 s12, s12, 8
	s_add_i32 s11, s11, 8
	v_cmp_eq_u32_e32 vcc, 0, v54
	s_or_b64 s[0:1], vcc, s[0:1]
	s_waitcnt vmcnt(0) lgkmcnt(0)
	v_fmac_f64_e32 v[52:53], v[56:57], v[58:59]
	s_andn2_b64 exec, exec, s[0:1]
	s_cbranch_execnz .LBB23_193
; %bb.194:
	s_or_b64 exec, exec, s[0:1]
.LBB23_195:
	s_or_b64 exec, exec, s[8:9]
	v_mov_b32_e32 v54, 0
	ds_read_b64 v[54:55], v54 offset:24
	s_waitcnt lgkmcnt(0)
	v_mul_f64 v[52:53], v[52:53], v[54:55]
	scratch_store_dwordx2 off, v[52:53], off offset:24
.LBB23_196:
	s_or_b64 exec, exec, s[4:5]
	scratch_load_dwordx2 v[52:53], off, off offset:16
	v_cmp_lt_u32_e64 s[0:1], 2, v0
	s_waitcnt vmcnt(0)
	ds_write_b64 v1, v[52:53]
	s_waitcnt lgkmcnt(0)
	; wave barrier
	s_and_saveexec_b64 s[4:5], s[0:1]
	s_cbranch_execz .LBB23_206
; %bb.197:
	s_andn2_b64 vcc, exec, s[6:7]
	s_cbranch_vccnz .LBB23_199
; %bb.198:
	scratch_load_dwordx2 v[52:53], v21, off
	ds_read_b64 v[54:55], v1
	s_waitcnt vmcnt(0) lgkmcnt(0)
	v_mul_f64 v[52:53], v[52:53], v[54:55]
	s_cbranch_execz .LBB23_200
	s_branch .LBB23_201
.LBB23_199:
                                        ; implicit-def: $vgpr52_vgpr53
.LBB23_200:
	ds_read_b64 v[52:53], v1
.LBB23_201:
	s_and_saveexec_b64 s[8:9], s[2:3]
	s_cbranch_execz .LBB23_205
; %bb.202:
	s_mov_b32 s11, 24
	v_add_u32_e32 v54, -3, v0
	s_movk_i32 s12, 0xd8
	s_mov_b64 s[2:3], 0
.LBB23_203:                             ; =>This Inner Loop Header: Depth=1
	scratch_load_dwordx2 v[56:57], off, s11
	v_mov_b32_e32 v55, s12
	ds_read_b64 v[58:59], v55
	v_add_u32_e32 v54, -1, v54
	s_add_i32 s12, s12, 8
	s_add_i32 s11, s11, 8
	v_cmp_eq_u32_e32 vcc, 0, v54
	s_or_b64 s[2:3], vcc, s[2:3]
	s_waitcnt vmcnt(0) lgkmcnt(0)
	v_fmac_f64_e32 v[52:53], v[56:57], v[58:59]
	s_andn2_b64 exec, exec, s[2:3]
	s_cbranch_execnz .LBB23_203
; %bb.204:
	s_or_b64 exec, exec, s[2:3]
.LBB23_205:
	s_or_b64 exec, exec, s[8:9]
	v_mov_b32_e32 v54, 0
	ds_read_b64 v[54:55], v54 offset:16
	s_waitcnt lgkmcnt(0)
	v_mul_f64 v[52:53], v[52:53], v[54:55]
	scratch_store_dwordx2 off, v[52:53], off offset:16
.LBB23_206:
	s_or_b64 exec, exec, s[4:5]
	scratch_load_dwordx2 v[52:53], off, off offset:8
	v_cmp_lt_u32_e64 s[2:3], 1, v0
	s_waitcnt vmcnt(0)
	ds_write_b64 v1, v[52:53]
	s_waitcnt lgkmcnt(0)
	; wave barrier
	s_and_saveexec_b64 s[4:5], s[2:3]
	s_cbranch_execz .LBB23_216
; %bb.207:
	s_andn2_b64 vcc, exec, s[6:7]
	s_cbranch_vccnz .LBB23_209
; %bb.208:
	scratch_load_dwordx2 v[52:53], v21, off
	ds_read_b64 v[54:55], v1
	s_waitcnt vmcnt(0) lgkmcnt(0)
	v_mul_f64 v[52:53], v[52:53], v[54:55]
	s_cbranch_execz .LBB23_210
	s_branch .LBB23_211
.LBB23_209:
                                        ; implicit-def: $vgpr52_vgpr53
.LBB23_210:
	ds_read_b64 v[52:53], v1
.LBB23_211:
	s_and_saveexec_b64 s[8:9], s[0:1]
	s_cbranch_execz .LBB23_215
; %bb.212:
	v_add_u32_e32 v54, -2, v0
	s_movk_i32 s11, 0xd0
	s_mov_b64 s[0:1], 0
.LBB23_213:                             ; =>This Inner Loop Header: Depth=1
	scratch_load_dwordx2 v[56:57], off, s10
	v_mov_b32_e32 v55, s11
	ds_read_b64 v[58:59], v55
	v_add_u32_e32 v54, -1, v54
	s_add_i32 s11, s11, 8
	s_add_i32 s10, s10, 8
	v_cmp_eq_u32_e32 vcc, 0, v54
	s_or_b64 s[0:1], vcc, s[0:1]
	s_waitcnt vmcnt(0) lgkmcnt(0)
	v_fmac_f64_e32 v[52:53], v[56:57], v[58:59]
	s_andn2_b64 exec, exec, s[0:1]
	s_cbranch_execnz .LBB23_213
; %bb.214:
	s_or_b64 exec, exec, s[0:1]
.LBB23_215:
	s_or_b64 exec, exec, s[8:9]
	v_mov_b32_e32 v54, 0
	ds_read_b64 v[54:55], v54 offset:8
	s_waitcnt lgkmcnt(0)
	v_mul_f64 v[52:53], v[52:53], v[54:55]
	scratch_store_dwordx2 off, v[52:53], off offset:8
.LBB23_216:
	s_or_b64 exec, exec, s[4:5]
	scratch_load_dwordx2 v[52:53], off, off
	v_cmp_ne_u32_e32 vcc, 0, v0
	s_waitcnt vmcnt(0)
	ds_write_b64 v1, v[52:53]
	s_waitcnt lgkmcnt(0)
	; wave barrier
	s_and_saveexec_b64 s[0:1], vcc
	s_cbranch_execz .LBB23_226
; %bb.217:
	s_andn2_b64 vcc, exec, s[6:7]
	s_cbranch_vccnz .LBB23_219
; %bb.218:
	scratch_load_dwordx2 v[52:53], v21, off
	ds_read_b64 v[54:55], v1
	s_waitcnt vmcnt(0) lgkmcnt(0)
	v_mul_f64 v[52:53], v[52:53], v[54:55]
	s_cbranch_execz .LBB23_220
	s_branch .LBB23_221
.LBB23_219:
                                        ; implicit-def: $vgpr52_vgpr53
.LBB23_220:
	ds_read_b64 v[52:53], v1
.LBB23_221:
	s_and_saveexec_b64 s[4:5], s[2:3]
	s_cbranch_execz .LBB23_225
; %bb.222:
	s_or_b32 s8, 0, 8
	v_add_u32_e32 v54, -1, v0
	s_movk_i32 s9, 0xc8
	s_mov_b64 s[2:3], 0
.LBB23_223:                             ; =>This Inner Loop Header: Depth=1
	scratch_load_dwordx2 v[56:57], off, s8
	v_mov_b32_e32 v55, s9
	ds_read_b64 v[58:59], v55
	v_add_u32_e32 v54, -1, v54
	s_add_i32 s9, s9, 8
	s_add_i32 s8, s8, 8
	v_cmp_eq_u32_e32 vcc, 0, v54
	s_or_b64 s[2:3], vcc, s[2:3]
	s_waitcnt vmcnt(0) lgkmcnt(0)
	v_fmac_f64_e32 v[52:53], v[56:57], v[58:59]
	s_andn2_b64 exec, exec, s[2:3]
	s_cbranch_execnz .LBB23_223
; %bb.224:
	s_or_b64 exec, exec, s[2:3]
.LBB23_225:
	s_or_b64 exec, exec, s[4:5]
	v_mov_b32_e32 v54, 0
	ds_read_b64 v[54:55], v54
	s_waitcnt lgkmcnt(0)
	v_mul_f64 v[52:53], v[52:53], v[54:55]
	scratch_store_dwordx2 off, v[52:53], off
.LBB23_226:
	s_or_b64 exec, exec, s[0:1]
	s_mov_b64 s[0:1], 0
.LBB23_227:
	s_and_b64 vcc, exec, s[0:1]
	s_cbranch_vccz .LBB23_449
; %bb.228:
	scratch_load_dwordx2 v[52:53], off, off offset:8
	v_cmp_eq_u32_e64 s[2:3], 0, v0
	s_waitcnt vmcnt(0)
	ds_write_b64 v1, v[52:53]
	s_waitcnt lgkmcnt(0)
	; wave barrier
	s_and_saveexec_b64 s[0:1], s[2:3]
	s_cbranch_execz .LBB23_234
; %bb.229:
	s_and_b64 vcc, exec, s[6:7]
	s_cbranch_vccz .LBB23_231
; %bb.230:
	scratch_load_dwordx2 v[52:53], v21, off
	ds_read_b64 v[54:55], v1
	s_waitcnt vmcnt(0) lgkmcnt(0)
	v_mul_f64 v[52:53], v[52:53], v[54:55]
	s_cbranch_execz .LBB23_232
	s_branch .LBB23_233
.LBB23_231:
                                        ; implicit-def: $vgpr52_vgpr53
.LBB23_232:
	ds_read_b64 v[52:53], v1
.LBB23_233:
	v_mov_b32_e32 v54, 0
	ds_read_b64 v[54:55], v54 offset:8
	s_waitcnt lgkmcnt(0)
	v_mul_f64 v[52:53], v[52:53], v[54:55]
	scratch_store_dwordx2 off, v[52:53], off offset:8
.LBB23_234:
	s_or_b64 exec, exec, s[0:1]
	scratch_load_dwordx2 v[52:53], off, off offset:16
	v_cndmask_b32_e64 v54, 0, 1, s[6:7]
	v_cmp_gt_u32_e32 vcc, 2, v0
	v_cmp_ne_u32_e64 s[0:1], 1, v54
	s_waitcnt vmcnt(0)
	ds_write_b64 v1, v[52:53]
	s_waitcnt lgkmcnt(0)
	; wave barrier
	s_and_saveexec_b64 s[4:5], vcc
	s_cbranch_execz .LBB23_240
; %bb.235:
	s_and_b64 vcc, exec, s[0:1]
	s_cbranch_vccnz .LBB23_237
; %bb.236:
	scratch_load_dwordx2 v[52:53], v21, off
	ds_read_b64 v[54:55], v1
	s_waitcnt vmcnt(0) lgkmcnt(0)
	v_mul_f64 v[52:53], v[52:53], v[54:55]
	s_cbranch_execz .LBB23_238
	s_branch .LBB23_239
.LBB23_237:
                                        ; implicit-def: $vgpr52_vgpr53
.LBB23_238:
	ds_read_b64 v[52:53], v1
.LBB23_239:
	scratch_load_dwordx2 v[58:59], off, off offset:8
	v_mov_b32_e32 v54, 0
	ds_read2_b64 v[54:57], v54 offset0:2 offset1:25
	s_waitcnt vmcnt(0) lgkmcnt(0)
	v_fma_f64 v[56:57], v[58:59], v[56:57], v[52:53]
	v_cndmask_b32_e64 v53, v53, v57, s[2:3]
	v_cndmask_b32_e64 v52, v52, v56, s[2:3]
	v_mul_f64 v[52:53], v[52:53], v[54:55]
	scratch_store_dwordx2 off, v[52:53], off offset:16
.LBB23_240:
	s_or_b64 exec, exec, s[4:5]
	scratch_load_dwordx2 v[52:53], off, off offset:24
	v_cmp_gt_u32_e32 vcc, 3, v0
	s_waitcnt vmcnt(0)
	ds_write_b64 v1, v[52:53]
	s_waitcnt lgkmcnt(0)
	; wave barrier
	s_and_saveexec_b64 s[4:5], vcc
	s_cbranch_execz .LBB23_248
; %bb.241:
	s_and_b64 vcc, exec, s[0:1]
	s_cbranch_vccnz .LBB23_243
; %bb.242:
	scratch_load_dwordx2 v[52:53], v21, off
	ds_read_b64 v[54:55], v1
	s_waitcnt vmcnt(0) lgkmcnt(0)
	v_mul_f64 v[52:53], v[52:53], v[54:55]
	s_cbranch_execz .LBB23_244
	s_branch .LBB23_245
.LBB23_243:
                                        ; implicit-def: $vgpr52_vgpr53
.LBB23_244:
	ds_read_b64 v[52:53], v1
.LBB23_245:
	v_cmp_ne_u32_e32 vcc, 2, v0
	s_and_saveexec_b64 s[6:7], vcc
	s_cbranch_execz .LBB23_247
; %bb.246:
	scratch_load_dwordx2 v[54:55], v21, off offset:8
	scratch_load_dwordx2 v[56:57], off, off offset:16
	ds_read_b64 v[58:59], v1 offset:8
	v_mov_b32_e32 v60, 0
	ds_read_b64 v[60:61], v60 offset:208
	s_waitcnt vmcnt(1) lgkmcnt(1)
	v_fmac_f64_e32 v[52:53], v[54:55], v[58:59]
	s_waitcnt vmcnt(0) lgkmcnt(0)
	v_fma_f64 v[54:55], v[56:57], v[60:61], v[52:53]
	v_cndmask_b32_e64 v53, v53, v55, s[2:3]
	v_cndmask_b32_e64 v52, v52, v54, s[2:3]
.LBB23_247:
	s_or_b64 exec, exec, s[6:7]
	v_mov_b32_e32 v54, 0
	ds_read_b64 v[54:55], v54 offset:24
	s_waitcnt lgkmcnt(0)
	v_mul_f64 v[52:53], v[52:53], v[54:55]
	scratch_store_dwordx2 off, v[52:53], off offset:24
.LBB23_248:
	s_or_b64 exec, exec, s[4:5]
	scratch_load_dwordx2 v[52:53], off, off offset:32
	v_cmp_gt_u32_e32 vcc, 4, v0
	s_waitcnt vmcnt(0)
	ds_write_b64 v1, v[52:53]
	s_waitcnt lgkmcnt(0)
	; wave barrier
	s_and_saveexec_b64 s[2:3], vcc
	s_cbranch_execz .LBB23_258
; %bb.249:
	s_and_b64 vcc, exec, s[0:1]
	s_cbranch_vccnz .LBB23_251
; %bb.250:
	scratch_load_dwordx2 v[52:53], v21, off
	ds_read_b64 v[54:55], v1
	s_waitcnt vmcnt(0) lgkmcnt(0)
	v_mul_f64 v[52:53], v[52:53], v[54:55]
	s_cbranch_execz .LBB23_252
	s_branch .LBB23_253
.LBB23_251:
                                        ; implicit-def: $vgpr52_vgpr53
.LBB23_252:
	ds_read_b64 v[52:53], v1
.LBB23_253:
	v_cmp_ne_u32_e32 vcc, 3, v0
	s_and_saveexec_b64 s[4:5], vcc
	s_cbranch_execz .LBB23_257
; %bb.254:
	s_mov_b32 s6, 0
	v_add_u32_e32 v54, 0xc8, v20
	v_add3_u32 v55, v20, s6, 8
	s_mov_b64 s[6:7], 0
	v_mov_b32_e32 v56, v0
.LBB23_255:                             ; =>This Inner Loop Header: Depth=1
	scratch_load_dwordx2 v[58:59], v55, off
	ds_read_b64 v[60:61], v54
	v_add_u32_e32 v56, 1, v56
	v_cmp_lt_u32_e32 vcc, 2, v56
	v_add_u32_e32 v54, 8, v54
	v_add_u32_e32 v55, 8, v55
	s_or_b64 s[6:7], vcc, s[6:7]
	s_waitcnt vmcnt(0) lgkmcnt(0)
	v_fmac_f64_e32 v[52:53], v[58:59], v[60:61]
	s_andn2_b64 exec, exec, s[6:7]
	s_cbranch_execnz .LBB23_255
; %bb.256:
	s_or_b64 exec, exec, s[6:7]
.LBB23_257:
	s_or_b64 exec, exec, s[4:5]
	v_mov_b32_e32 v54, 0
	ds_read_b64 v[54:55], v54 offset:32
	s_waitcnt lgkmcnt(0)
	v_mul_f64 v[52:53], v[52:53], v[54:55]
	scratch_store_dwordx2 off, v[52:53], off offset:32
.LBB23_258:
	s_or_b64 exec, exec, s[2:3]
	scratch_load_dwordx2 v[52:53], off, off offset:40
	v_cmp_gt_u32_e32 vcc, 5, v0
	s_waitcnt vmcnt(0)
	ds_write_b64 v1, v[52:53]
	s_waitcnt lgkmcnt(0)
	; wave barrier
	s_and_saveexec_b64 s[2:3], vcc
	s_cbranch_execz .LBB23_268
; %bb.259:
	s_and_b64 vcc, exec, s[0:1]
	s_cbranch_vccnz .LBB23_261
; %bb.260:
	scratch_load_dwordx2 v[52:53], v21, off
	ds_read_b64 v[54:55], v1
	s_waitcnt vmcnt(0) lgkmcnt(0)
	v_mul_f64 v[52:53], v[52:53], v[54:55]
	s_cbranch_execz .LBB23_262
	s_branch .LBB23_263
.LBB23_261:
                                        ; implicit-def: $vgpr52_vgpr53
.LBB23_262:
	ds_read_b64 v[52:53], v1
.LBB23_263:
	v_cmp_ne_u32_e32 vcc, 4, v0
	s_and_saveexec_b64 s[4:5], vcc
	s_cbranch_execz .LBB23_267
; %bb.264:
	s_mov_b32 s6, 0
	v_add_u32_e32 v54, 0xc8, v20
	v_add3_u32 v55, v20, s6, 8
	s_mov_b64 s[6:7], 0
	v_mov_b32_e32 v56, v0
.LBB23_265:                             ; =>This Inner Loop Header: Depth=1
	scratch_load_dwordx2 v[58:59], v55, off
	ds_read_b64 v[60:61], v54
	v_add_u32_e32 v56, 1, v56
	v_cmp_lt_u32_e32 vcc, 3, v56
	v_add_u32_e32 v54, 8, v54
	v_add_u32_e32 v55, 8, v55
	s_or_b64 s[6:7], vcc, s[6:7]
	s_waitcnt vmcnt(0) lgkmcnt(0)
	v_fmac_f64_e32 v[52:53], v[58:59], v[60:61]
	s_andn2_b64 exec, exec, s[6:7]
	s_cbranch_execnz .LBB23_265
; %bb.266:
	s_or_b64 exec, exec, s[6:7]
.LBB23_267:
	s_or_b64 exec, exec, s[4:5]
	v_mov_b32_e32 v54, 0
	ds_read_b64 v[54:55], v54 offset:40
	s_waitcnt lgkmcnt(0)
	v_mul_f64 v[52:53], v[52:53], v[54:55]
	scratch_store_dwordx2 off, v[52:53], off offset:40
.LBB23_268:
	;; [unrolled: 55-line block ×18, first 2 shown]
	s_or_b64 exec, exec, s[2:3]
	scratch_load_dwordx2 v[52:53], off, off offset:176
	v_cmp_gt_u32_e64 s[2:3], 22, v0
	s_waitcnt vmcnt(0)
	ds_write_b64 v1, v[52:53]
	s_waitcnt lgkmcnt(0)
	; wave barrier
	s_and_saveexec_b64 s[4:5], s[2:3]
	s_cbranch_execz .LBB23_438
; %bb.429:
	s_and_b64 vcc, exec, s[0:1]
	s_cbranch_vccnz .LBB23_431
; %bb.430:
	scratch_load_dwordx2 v[52:53], v21, off
	ds_read_b64 v[54:55], v1
	s_waitcnt vmcnt(0) lgkmcnt(0)
	v_mul_f64 v[52:53], v[52:53], v[54:55]
	s_cbranch_execz .LBB23_432
	s_branch .LBB23_433
.LBB23_431:
                                        ; implicit-def: $vgpr52_vgpr53
.LBB23_432:
	ds_read_b64 v[52:53], v1
.LBB23_433:
	v_cmp_ne_u32_e32 vcc, 21, v0
	s_and_saveexec_b64 s[6:7], vcc
	s_cbranch_execz .LBB23_437
; %bb.434:
	s_mov_b32 s8, 0
	v_add_u32_e32 v54, 0xc8, v20
	v_add3_u32 v55, v20, s8, 8
	s_mov_b64 s[8:9], 0
	v_mov_b32_e32 v56, v0
.LBB23_435:                             ; =>This Inner Loop Header: Depth=1
	scratch_load_dwordx2 v[58:59], v55, off
	ds_read_b64 v[60:61], v54
	v_add_u32_e32 v56, 1, v56
	v_cmp_lt_u32_e32 vcc, 20, v56
	v_add_u32_e32 v54, 8, v54
	v_add_u32_e32 v55, 8, v55
	s_or_b64 s[8:9], vcc, s[8:9]
	s_waitcnt vmcnt(0) lgkmcnt(0)
	v_fmac_f64_e32 v[52:53], v[58:59], v[60:61]
	s_andn2_b64 exec, exec, s[8:9]
	s_cbranch_execnz .LBB23_435
; %bb.436:
	s_or_b64 exec, exec, s[8:9]
.LBB23_437:
	s_or_b64 exec, exec, s[6:7]
	v_mov_b32_e32 v54, 0
	ds_read_b64 v[54:55], v54 offset:176
	s_waitcnt lgkmcnt(0)
	v_mul_f64 v[52:53], v[52:53], v[54:55]
	scratch_store_dwordx2 off, v[52:53], off offset:176
.LBB23_438:
	s_or_b64 exec, exec, s[4:5]
	scratch_load_dwordx2 v[52:53], off, off offset:184
	v_cmp_ne_u32_e32 vcc, 23, v0
	s_waitcnt vmcnt(0)
	ds_write_b64 v1, v[52:53]
	s_waitcnt lgkmcnt(0)
	; wave barrier
	s_and_saveexec_b64 s[4:5], vcc
	s_cbranch_execz .LBB23_448
; %bb.439:
	s_and_b64 vcc, exec, s[0:1]
	s_cbranch_vccnz .LBB23_441
; %bb.440:
	scratch_load_dwordx2 v[52:53], v21, off
	ds_read_b64 v[54:55], v1
	s_waitcnt vmcnt(0) lgkmcnt(0)
	v_mul_f64 v[52:53], v[52:53], v[54:55]
	s_cbranch_execz .LBB23_442
	s_branch .LBB23_443
.LBB23_441:
                                        ; implicit-def: $vgpr52_vgpr53
.LBB23_442:
	ds_read_b64 v[52:53], v1
.LBB23_443:
	s_and_saveexec_b64 s[0:1], s[2:3]
	s_cbranch_execz .LBB23_447
; %bb.444:
	s_mov_b32 s2, 0
	v_add_u32_e32 v1, 0xc8, v20
	v_add3_u32 v20, v20, s2, 8
	s_mov_b64 s[2:3], 0
.LBB23_445:                             ; =>This Inner Loop Header: Depth=1
	scratch_load_dwordx2 v[54:55], v20, off
	ds_read_b64 v[56:57], v1
	v_add_u32_e32 v0, 1, v0
	v_cmp_lt_u32_e32 vcc, 21, v0
	v_add_u32_e32 v1, 8, v1
	v_add_u32_e32 v20, 8, v20
	s_or_b64 s[2:3], vcc, s[2:3]
	s_waitcnt vmcnt(0) lgkmcnt(0)
	v_fmac_f64_e32 v[52:53], v[54:55], v[56:57]
	s_andn2_b64 exec, exec, s[2:3]
	s_cbranch_execnz .LBB23_445
; %bb.446:
	s_or_b64 exec, exec, s[2:3]
.LBB23_447:
	s_or_b64 exec, exec, s[0:1]
	v_mov_b32_e32 v0, 0
	ds_read_b64 v[0:1], v0 offset:184
	s_waitcnt lgkmcnt(0)
	v_mul_f64 v[0:1], v[52:53], v[0:1]
	scratch_store_dwordx2 off, v[0:1], off offset:184
.LBB23_448:
	s_or_b64 exec, exec, s[4:5]
.LBB23_449:
	scratch_load_dwordx4 v[52:55], off, off
	s_waitcnt vmcnt(0)
	global_store_dwordx2 v[2:3], v[52:53], off
	global_store_dwordx2 v[4:5], v[54:55], off
	scratch_load_dwordx4 v[0:3], off, off offset:16
	s_waitcnt vmcnt(0)
	global_store_dwordx2 v[6:7], v[0:1], off
	global_store_dwordx2 v[8:9], v[2:3], off
	scratch_load_dwordx4 v[0:3], off, off offset:32
	;; [unrolled: 4-line block ×11, first 2 shown]
	s_waitcnt vmcnt(0)
	global_store_dwordx2 v[40:41], v[0:1], off
	global_store_dwordx2 v[44:45], v[2:3], off
.LBB23_450:
	s_endpgm
	.section	.rodata,"a",@progbits
	.p2align	6, 0x0
	.amdhsa_kernel _ZN9rocsolver6v33100L18trti2_kernel_smallILi24EdPdEEv13rocblas_fill_17rocblas_diagonal_T1_iil
		.amdhsa_group_segment_fixed_size 384
		.amdhsa_private_segment_fixed_size 208
		.amdhsa_kernarg_size 32
		.amdhsa_user_sgpr_count 2
		.amdhsa_user_sgpr_dispatch_ptr 0
		.amdhsa_user_sgpr_queue_ptr 0
		.amdhsa_user_sgpr_kernarg_segment_ptr 1
		.amdhsa_user_sgpr_dispatch_id 0
		.amdhsa_user_sgpr_kernarg_preload_length 0
		.amdhsa_user_sgpr_kernarg_preload_offset 0
		.amdhsa_user_sgpr_private_segment_size 0
		.amdhsa_uses_dynamic_stack 0
		.amdhsa_enable_private_segment 1
		.amdhsa_system_sgpr_workgroup_id_x 1
		.amdhsa_system_sgpr_workgroup_id_y 0
		.amdhsa_system_sgpr_workgroup_id_z 0
		.amdhsa_system_sgpr_workgroup_info 0
		.amdhsa_system_vgpr_workitem_id 0
		.amdhsa_next_free_vgpr 62
		.amdhsa_next_free_sgpr 22
		.amdhsa_accum_offset 64
		.amdhsa_reserve_vcc 1
		.amdhsa_float_round_mode_32 0
		.amdhsa_float_round_mode_16_64 0
		.amdhsa_float_denorm_mode_32 3
		.amdhsa_float_denorm_mode_16_64 3
		.amdhsa_dx10_clamp 1
		.amdhsa_ieee_mode 1
		.amdhsa_fp16_overflow 0
		.amdhsa_tg_split 0
		.amdhsa_exception_fp_ieee_invalid_op 0
		.amdhsa_exception_fp_denorm_src 0
		.amdhsa_exception_fp_ieee_div_zero 0
		.amdhsa_exception_fp_ieee_overflow 0
		.amdhsa_exception_fp_ieee_underflow 0
		.amdhsa_exception_fp_ieee_inexact 0
		.amdhsa_exception_int_div_zero 0
	.end_amdhsa_kernel
	.section	.text._ZN9rocsolver6v33100L18trti2_kernel_smallILi24EdPdEEv13rocblas_fill_17rocblas_diagonal_T1_iil,"axG",@progbits,_ZN9rocsolver6v33100L18trti2_kernel_smallILi24EdPdEEv13rocblas_fill_17rocblas_diagonal_T1_iil,comdat
.Lfunc_end23:
	.size	_ZN9rocsolver6v33100L18trti2_kernel_smallILi24EdPdEEv13rocblas_fill_17rocblas_diagonal_T1_iil, .Lfunc_end23-_ZN9rocsolver6v33100L18trti2_kernel_smallILi24EdPdEEv13rocblas_fill_17rocblas_diagonal_T1_iil
                                        ; -- End function
	.set _ZN9rocsolver6v33100L18trti2_kernel_smallILi24EdPdEEv13rocblas_fill_17rocblas_diagonal_T1_iil.num_vgpr, 62
	.set _ZN9rocsolver6v33100L18trti2_kernel_smallILi24EdPdEEv13rocblas_fill_17rocblas_diagonal_T1_iil.num_agpr, 0
	.set _ZN9rocsolver6v33100L18trti2_kernel_smallILi24EdPdEEv13rocblas_fill_17rocblas_diagonal_T1_iil.numbered_sgpr, 22
	.set _ZN9rocsolver6v33100L18trti2_kernel_smallILi24EdPdEEv13rocblas_fill_17rocblas_diagonal_T1_iil.num_named_barrier, 0
	.set _ZN9rocsolver6v33100L18trti2_kernel_smallILi24EdPdEEv13rocblas_fill_17rocblas_diagonal_T1_iil.private_seg_size, 208
	.set _ZN9rocsolver6v33100L18trti2_kernel_smallILi24EdPdEEv13rocblas_fill_17rocblas_diagonal_T1_iil.uses_vcc, 1
	.set _ZN9rocsolver6v33100L18trti2_kernel_smallILi24EdPdEEv13rocblas_fill_17rocblas_diagonal_T1_iil.uses_flat_scratch, 0
	.set _ZN9rocsolver6v33100L18trti2_kernel_smallILi24EdPdEEv13rocblas_fill_17rocblas_diagonal_T1_iil.has_dyn_sized_stack, 0
	.set _ZN9rocsolver6v33100L18trti2_kernel_smallILi24EdPdEEv13rocblas_fill_17rocblas_diagonal_T1_iil.has_recursion, 0
	.set _ZN9rocsolver6v33100L18trti2_kernel_smallILi24EdPdEEv13rocblas_fill_17rocblas_diagonal_T1_iil.has_indirect_call, 0
	.section	.AMDGPU.csdata,"",@progbits
; Kernel info:
; codeLenInByte = 11180
; TotalNumSgprs: 28
; NumVgprs: 62
; NumAgprs: 0
; TotalNumVgprs: 62
; ScratchSize: 208
; MemoryBound: 0
; FloatMode: 240
; IeeeMode: 1
; LDSByteSize: 384 bytes/workgroup (compile time only)
; SGPRBlocks: 3
; VGPRBlocks: 7
; NumSGPRsForWavesPerEU: 28
; NumVGPRsForWavesPerEU: 62
; AccumOffset: 64
; Occupancy: 8
; WaveLimiterHint : 0
; COMPUTE_PGM_RSRC2:SCRATCH_EN: 1
; COMPUTE_PGM_RSRC2:USER_SGPR: 2
; COMPUTE_PGM_RSRC2:TRAP_HANDLER: 0
; COMPUTE_PGM_RSRC2:TGID_X_EN: 1
; COMPUTE_PGM_RSRC2:TGID_Y_EN: 0
; COMPUTE_PGM_RSRC2:TGID_Z_EN: 0
; COMPUTE_PGM_RSRC2:TIDIG_COMP_CNT: 0
; COMPUTE_PGM_RSRC3_GFX90A:ACCUM_OFFSET: 15
; COMPUTE_PGM_RSRC3_GFX90A:TG_SPLIT: 0
	.section	.text._ZN9rocsolver6v33100L18trti2_kernel_smallILi25EdPdEEv13rocblas_fill_17rocblas_diagonal_T1_iil,"axG",@progbits,_ZN9rocsolver6v33100L18trti2_kernel_smallILi25EdPdEEv13rocblas_fill_17rocblas_diagonal_T1_iil,comdat
	.globl	_ZN9rocsolver6v33100L18trti2_kernel_smallILi25EdPdEEv13rocblas_fill_17rocblas_diagonal_T1_iil ; -- Begin function _ZN9rocsolver6v33100L18trti2_kernel_smallILi25EdPdEEv13rocblas_fill_17rocblas_diagonal_T1_iil
	.p2align	8
	.type	_ZN9rocsolver6v33100L18trti2_kernel_smallILi25EdPdEEv13rocblas_fill_17rocblas_diagonal_T1_iil,@function
_ZN9rocsolver6v33100L18trti2_kernel_smallILi25EdPdEEv13rocblas_fill_17rocblas_diagonal_T1_iil: ; @_ZN9rocsolver6v33100L18trti2_kernel_smallILi25EdPdEEv13rocblas_fill_17rocblas_diagonal_T1_iil
; %bb.0:
	v_cmp_gt_u32_e32 vcc, 25, v0
	s_and_saveexec_b64 s[4:5], vcc
	s_cbranch_execz .LBB24_470
; %bb.1:
	s_load_dwordx8 s[4:11], s[0:1], 0x0
	s_ashr_i32 s3, s2, 31
	v_lshlrev_b32_e32 v20, 3, v0
	v_mov_b32_e32 v21, 0
	s_waitcnt lgkmcnt(0)
	s_ashr_i32 s1, s8, 31
	s_mov_b32 s0, s8
	s_mul_hi_u32 s8, s10, s2
	s_mul_i32 s3, s10, s3
	s_add_i32 s3, s8, s3
	s_mul_i32 s8, s11, s2
	s_add_i32 s3, s3, s8
	s_mul_i32 s2, s10, s2
	s_lshl_b64 s[2:3], s[2:3], 3
	s_add_u32 s2, s6, s2
	s_addc_u32 s3, s7, s3
	s_lshl_b64 s[0:1], s[0:1], 3
	s_add_u32 s0, s2, s0
	s_addc_u32 s1, s3, s1
	v_lshl_add_u64 v[2:3], s[0:1], 0, v[20:21]
	s_ashr_i32 s3, s9, 31
	s_mov_b32 s2, s9
	v_lshl_add_u64 v[4:5], s[2:3], 3, v[2:3]
	global_load_dwordx2 v[6:7], v20, s[0:1]
	global_load_dwordx2 v[8:9], v[4:5], off
	s_add_i32 s2, s9, s9
	s_cmpk_lg_i32 s5, 0x84
	s_cselect_b64 s[6:7], -1, 0
	s_cmpk_eq_i32 s5, 0x84
	s_waitcnt vmcnt(0)
	scratch_store_dwordx4 off, v[6:9], off
	s_nop 1
	v_add_u32_e32 v8, s2, v0
	v_add_u32_e32 v10, s9, v8
	v_ashrrev_i32_e32 v9, 31, v8
	v_ashrrev_i32_e32 v11, 31, v10
	v_lshl_add_u64 v[6:7], v[8:9], 3, s[0:1]
	v_lshl_add_u64 v[8:9], v[10:11], 3, s[0:1]
	global_load_dwordx2 v[12:13], v[6:7], off
	global_load_dwordx2 v[14:15], v[8:9], off
	s_waitcnt vmcnt(0)
	scratch_store_dwordx4 off, v[12:15], off offset:16
	s_nop 1
	v_add_u32_e32 v12, s9, v10
	v_add_u32_e32 v14, s9, v12
	v_ashrrev_i32_e32 v13, 31, v12
	v_ashrrev_i32_e32 v15, 31, v14
	v_lshl_add_u64 v[10:11], v[12:13], 3, s[0:1]
	v_lshl_add_u64 v[12:13], v[14:15], 3, s[0:1]
	global_load_dwordx2 v[16:17], v[10:11], off
	global_load_dwordx2 v[18:19], v[12:13], off
	s_waitcnt vmcnt(0)
	scratch_store_dwordx4 off, v[16:19], off offset:32
	s_nop 1
	v_add_u32_e32 v16, s9, v14
	v_add_u32_e32 v18, s9, v16
	v_ashrrev_i32_e32 v17, 31, v16
	v_ashrrev_i32_e32 v19, 31, v18
	v_lshl_add_u64 v[14:15], v[16:17], 3, s[0:1]
	v_lshl_add_u64 v[16:17], v[18:19], 3, s[0:1]
	global_load_dwordx2 v[22:23], v[14:15], off
	global_load_dwordx2 v[24:25], v[16:17], off
	s_waitcnt vmcnt(0)
	scratch_store_dwordx4 off, v[22:25], off offset:48
	s_nop 1
	v_add_u32_e32 v22, s9, v18
	v_add_u32_e32 v24, s9, v22
	v_ashrrev_i32_e32 v23, 31, v22
	v_ashrrev_i32_e32 v25, 31, v24
	v_lshl_add_u64 v[18:19], v[22:23], 3, s[0:1]
	v_lshl_add_u64 v[22:23], v[24:25], 3, s[0:1]
	global_load_dwordx2 v[26:27], v[18:19], off
	global_load_dwordx2 v[28:29], v[22:23], off
	s_waitcnt vmcnt(0)
	scratch_store_dwordx4 off, v[26:29], off offset:64
	s_nop 1
	v_add_u32_e32 v26, s9, v24
	v_add_u32_e32 v28, s9, v26
	v_ashrrev_i32_e32 v27, 31, v26
	v_ashrrev_i32_e32 v29, 31, v28
	v_lshl_add_u64 v[24:25], v[26:27], 3, s[0:1]
	v_lshl_add_u64 v[26:27], v[28:29], 3, s[0:1]
	global_load_dwordx2 v[30:31], v[24:25], off
	global_load_dwordx2 v[32:33], v[26:27], off
	s_waitcnt vmcnt(0)
	scratch_store_dwordx4 off, v[30:33], off offset:80
	s_nop 1
	v_add_u32_e32 v30, s9, v28
	v_add_u32_e32 v32, s9, v30
	v_ashrrev_i32_e32 v31, 31, v30
	v_ashrrev_i32_e32 v33, 31, v32
	v_lshl_add_u64 v[28:29], v[30:31], 3, s[0:1]
	v_lshl_add_u64 v[30:31], v[32:33], 3, s[0:1]
	global_load_dwordx2 v[34:35], v[28:29], off
	global_load_dwordx2 v[36:37], v[30:31], off
	s_waitcnt vmcnt(0)
	scratch_store_dwordx4 off, v[34:37], off offset:96
	s_nop 1
	v_add_u32_e32 v34, s9, v32
	v_add_u32_e32 v36, s9, v34
	v_ashrrev_i32_e32 v35, 31, v34
	v_ashrrev_i32_e32 v37, 31, v36
	v_lshl_add_u64 v[32:33], v[34:35], 3, s[0:1]
	v_lshl_add_u64 v[34:35], v[36:37], 3, s[0:1]
	global_load_dwordx2 v[38:39], v[32:33], off
	global_load_dwordx2 v[40:41], v[34:35], off
	s_waitcnt vmcnt(0)
	scratch_store_dwordx4 off, v[38:41], off offset:112
	s_nop 1
	v_add_u32_e32 v38, s9, v36
	v_add_u32_e32 v40, s9, v38
	v_ashrrev_i32_e32 v39, 31, v38
	v_ashrrev_i32_e32 v41, 31, v40
	v_lshl_add_u64 v[36:37], v[38:39], 3, s[0:1]
	v_lshl_add_u64 v[38:39], v[40:41], 3, s[0:1]
	global_load_dwordx2 v[42:43], v[36:37], off
	global_load_dwordx2 v[44:45], v[38:39], off
	s_waitcnt vmcnt(0)
	scratch_store_dwordx4 off, v[42:45], off offset:128
	s_nop 1
	v_add_u32_e32 v42, s9, v40
	v_add_u32_e32 v44, s9, v42
	v_ashrrev_i32_e32 v43, 31, v42
	v_ashrrev_i32_e32 v45, 31, v44
	v_lshl_add_u64 v[40:41], v[42:43], 3, s[0:1]
	v_lshl_add_u64 v[42:43], v[44:45], 3, s[0:1]
	global_load_dwordx2 v[46:47], v[40:41], off
	global_load_dwordx2 v[48:49], v[42:43], off
	s_waitcnt vmcnt(0)
	scratch_store_dwordx4 off, v[46:49], off offset:144
	s_nop 1
	v_add_u32_e32 v46, s9, v44
	v_ashrrev_i32_e32 v47, 31, v46
	v_lshl_add_u64 v[44:45], v[46:47], 3, s[0:1]
	v_add_u32_e32 v46, s9, v46
	v_ashrrev_i32_e32 v47, 31, v46
	v_lshl_add_u64 v[48:49], v[46:47], 3, s[0:1]
	global_load_dwordx2 v[50:51], v[44:45], off
	global_load_dwordx2 v[52:53], v[48:49], off
	v_add_u32_e32 v46, s9, v46
	v_ashrrev_i32_e32 v47, 31, v46
	s_waitcnt vmcnt(0)
	scratch_store_dwordx4 off, v[50:53], off offset:160
	s_nop 1
	v_lshl_add_u64 v[50:51], v[46:47], 3, s[0:1]
	v_add_u32_e32 v46, s9, v46
	v_ashrrev_i32_e32 v47, 31, v46
	v_lshl_add_u64 v[52:53], v[46:47], 3, s[0:1]
	global_load_dwordx2 v[54:55], v[50:51], off
	global_load_dwordx2 v[56:57], v[52:53], off
	v_add_u32_e32 v46, s9, v46
	v_ashrrev_i32_e32 v47, 31, v46
	v_lshl_add_u64 v[46:47], v[46:47], 3, s[0:1]
	s_waitcnt vmcnt(0)
	scratch_store_dwordx4 off, v[54:57], off offset:176
	global_load_dwordx2 v[54:55], v[46:47], off
	s_waitcnt vmcnt(0)
	scratch_store_dwordx2 off, v[54:55], off offset:192
	v_mov_b64_e32 v[54:55], -1.0
	s_cbranch_scc1 .LBB24_3
; %bb.2:
	scratch_load_dwordx2 v[54:55], v20, off
	s_waitcnt vmcnt(0)
	v_div_scale_f64 v[56:57], s[0:1], v[54:55], v[54:55], 1.0
	v_rcp_f64_e32 v[58:59], v[56:57]
	v_div_scale_f64 v[60:61], vcc, 1.0, v[54:55], 1.0
	v_fma_f64 v[62:63], -v[56:57], v[58:59], 1.0
	v_fmac_f64_e32 v[58:59], v[58:59], v[62:63]
	v_fma_f64 v[62:63], -v[56:57], v[58:59], 1.0
	v_fmac_f64_e32 v[58:59], v[58:59], v[62:63]
	v_mul_f64 v[62:63], v[60:61], v[58:59]
	v_fma_f64 v[56:57], -v[56:57], v[62:63], v[60:61]
	v_div_fmas_f64 v[56:57], v[56:57], v[58:59], v[62:63]
	v_div_fixup_f64 v[54:55], v[56:57], v[54:55], 1.0
	scratch_store_dwordx2 v20, v[54:55], off
	v_xor_b32_e32 v55, 0x80000000, v55
.LBB24_3:
	s_cmpk_eq_i32 s4, 0x79
	v_add_u32_e32 v1, 0xd0, v20
	v_mov_b32_e32 v21, v20
	s_mov_b64 s[0:1], -1
	ds_write_b64 v20, v[54:55]
	s_cbranch_scc1 .LBB24_237
; %bb.4:
	scratch_load_dwordx2 v[54:55], off, off offset:184
	s_movk_i32 s8, 0x50
	s_movk_i32 s9, 0x60
	;; [unrolled: 1-line block ×7, first 2 shown]
	v_cmp_eq_u32_e64 s[0:1], 24, v0
	s_waitcnt vmcnt(0)
	ds_write_b64 v1, v[54:55]
	s_waitcnt lgkmcnt(0)
	; wave barrier
	s_and_saveexec_b64 s[2:3], s[0:1]
	s_cbranch_execz .LBB24_10
; %bb.5:
	s_and_b64 vcc, exec, s[6:7]
	s_cbranch_vccz .LBB24_7
; %bb.6:
	scratch_load_dwordx2 v[54:55], v21, off
	ds_read_b64 v[56:57], v1
	s_waitcnt vmcnt(0) lgkmcnt(0)
	v_mul_f64 v[54:55], v[54:55], v[56:57]
	s_cbranch_execz .LBB24_8
	s_branch .LBB24_9
.LBB24_7:
                                        ; implicit-def: $vgpr54_vgpr55
.LBB24_8:
	ds_read_b64 v[54:55], v1
.LBB24_9:
	v_mov_b32_e32 v56, 0
	ds_read_b64 v[56:57], v56 offset:184
	s_waitcnt lgkmcnt(0)
	v_mul_f64 v[54:55], v[54:55], v[56:57]
	scratch_store_dwordx2 off, v[54:55], off offset:184
.LBB24_10:
	s_or_b64 exec, exec, s[2:3]
	scratch_load_dwordx2 v[54:55], off, off offset:176
	s_mov_b32 s10, 16
	s_mov_b32 s11, 32
	;; [unrolled: 1-line block ×6, first 2 shown]
	v_cmp_lt_u32_e64 s[4:5], 22, v0
	s_waitcnt vmcnt(0)
	ds_write_b64 v1, v[54:55]
	s_waitcnt lgkmcnt(0)
	; wave barrier
	s_and_saveexec_b64 s[2:3], s[4:5]
	s_cbranch_execz .LBB24_16
; %bb.11:
	s_andn2_b64 vcc, exec, s[6:7]
	s_cbranch_vccnz .LBB24_13
; %bb.12:
	scratch_load_dwordx2 v[54:55], v21, off
	ds_read_b64 v[56:57], v1
	s_waitcnt vmcnt(0) lgkmcnt(0)
	v_mul_f64 v[54:55], v[54:55], v[56:57]
	s_cbranch_execz .LBB24_14
	s_branch .LBB24_15
.LBB24_13:
                                        ; implicit-def: $vgpr54_vgpr55
.LBB24_14:
	ds_read_b64 v[54:55], v1
.LBB24_15:
	scratch_load_dwordx2 v[60:61], off, off offset:184
	v_mov_b32_e32 v56, 0
	ds_read2_b64 v[56:59], v56 offset0:22 offset1:49
	s_waitcnt vmcnt(0) lgkmcnt(0)
	v_fma_f64 v[58:59], v[60:61], v[58:59], v[54:55]
	v_cndmask_b32_e64 v55, v55, v59, s[0:1]
	v_cndmask_b32_e64 v54, v54, v58, s[0:1]
	v_mul_f64 v[54:55], v[54:55], v[56:57]
	scratch_store_dwordx2 off, v[54:55], off offset:176
.LBB24_16:
	s_or_b64 exec, exec, s[2:3]
	scratch_load_dwordx2 v[54:55], off, off offset:168
	v_cmp_lt_u32_e64 s[2:3], 21, v0
	s_waitcnt vmcnt(0)
	ds_write_b64 v1, v[54:55]
	s_waitcnt lgkmcnt(0)
	; wave barrier
	s_and_saveexec_b64 s[0:1], s[2:3]
	s_cbranch_execz .LBB24_26
; %bb.17:
	s_andn2_b64 vcc, exec, s[6:7]
	s_cbranch_vccnz .LBB24_19
; %bb.18:
	scratch_load_dwordx2 v[54:55], v21, off
	ds_read_b64 v[56:57], v1
	s_waitcnt vmcnt(0) lgkmcnt(0)
	v_mul_f64 v[54:55], v[54:55], v[56:57]
	s_cbranch_execz .LBB24_20
	s_branch .LBB24_21
.LBB24_19:
                                        ; implicit-def: $vgpr54_vgpr55
.LBB24_20:
	ds_read_b64 v[54:55], v1
.LBB24_21:
	s_and_saveexec_b64 s[8:9], s[4:5]
	s_cbranch_execz .LBB24_25
; %bb.22:
	v_subrev_u32_e32 v56, 22, v0
	s_movk_i32 s21, 0x180
	s_mov_b64 s[4:5], 0
.LBB24_23:                              ; =>This Inner Loop Header: Depth=1
	scratch_load_dwordx2 v[58:59], off, s20
	v_mov_b32_e32 v57, s21
	ds_read_b64 v[60:61], v57
	v_add_u32_e32 v56, -1, v56
	s_add_i32 s21, s21, 8
	s_add_i32 s20, s20, 8
	v_cmp_eq_u32_e32 vcc, 0, v56
	s_or_b64 s[4:5], vcc, s[4:5]
	s_waitcnt vmcnt(0) lgkmcnt(0)
	v_fmac_f64_e32 v[54:55], v[58:59], v[60:61]
	s_andn2_b64 exec, exec, s[4:5]
	s_cbranch_execnz .LBB24_23
; %bb.24:
	s_or_b64 exec, exec, s[4:5]
.LBB24_25:
	s_or_b64 exec, exec, s[8:9]
	v_mov_b32_e32 v56, 0
	ds_read_b64 v[56:57], v56 offset:168
	s_waitcnt lgkmcnt(0)
	v_mul_f64 v[54:55], v[54:55], v[56:57]
	scratch_store_dwordx2 off, v[54:55], off offset:168
.LBB24_26:
	s_or_b64 exec, exec, s[0:1]
	scratch_load_dwordx2 v[54:55], off, off offset:160
	v_cmp_lt_u32_e64 s[0:1], 20, v0
	s_waitcnt vmcnt(0)
	ds_write_b64 v1, v[54:55]
	s_waitcnt lgkmcnt(0)
	; wave barrier
	s_and_saveexec_b64 s[4:5], s[0:1]
	s_cbranch_execz .LBB24_36
; %bb.27:
	s_andn2_b64 vcc, exec, s[6:7]
	s_cbranch_vccnz .LBB24_29
; %bb.28:
	scratch_load_dwordx2 v[54:55], v21, off
	ds_read_b64 v[56:57], v1
	s_waitcnt vmcnt(0) lgkmcnt(0)
	v_mul_f64 v[54:55], v[54:55], v[56:57]
	s_cbranch_execz .LBB24_30
	s_branch .LBB24_31
.LBB24_29:
                                        ; implicit-def: $vgpr54_vgpr55
.LBB24_30:
	ds_read_b64 v[54:55], v1
.LBB24_31:
	s_and_saveexec_b64 s[8:9], s[2:3]
	s_cbranch_execz .LBB24_35
; %bb.32:
	s_movk_i32 s20, 0xa8
	v_subrev_u32_e32 v56, 21, v0
	s_movk_i32 s21, 0x178
	s_mov_b64 s[2:3], 0
.LBB24_33:                              ; =>This Inner Loop Header: Depth=1
	scratch_load_dwordx2 v[58:59], off, s20
	v_mov_b32_e32 v57, s21
	ds_read_b64 v[60:61], v57
	v_add_u32_e32 v56, -1, v56
	s_add_i32 s21, s21, 8
	s_add_i32 s20, s20, 8
	v_cmp_eq_u32_e32 vcc, 0, v56
	s_or_b64 s[2:3], vcc, s[2:3]
	s_waitcnt vmcnt(0) lgkmcnt(0)
	v_fmac_f64_e32 v[54:55], v[58:59], v[60:61]
	s_andn2_b64 exec, exec, s[2:3]
	s_cbranch_execnz .LBB24_33
; %bb.34:
	s_or_b64 exec, exec, s[2:3]
.LBB24_35:
	s_or_b64 exec, exec, s[8:9]
	v_mov_b32_e32 v56, 0
	ds_read_b64 v[56:57], v56 offset:160
	s_waitcnt lgkmcnt(0)
	v_mul_f64 v[54:55], v[54:55], v[56:57]
	scratch_store_dwordx2 off, v[54:55], off offset:160
.LBB24_36:
	s_or_b64 exec, exec, s[4:5]
	scratch_load_dwordx2 v[54:55], off, off offset:152
	v_cmp_lt_u32_e64 s[2:3], 19, v0
	s_waitcnt vmcnt(0)
	ds_write_b64 v1, v[54:55]
	s_waitcnt lgkmcnt(0)
	; wave barrier
	s_and_saveexec_b64 s[4:5], s[2:3]
	s_cbranch_execz .LBB24_46
; %bb.37:
	s_andn2_b64 vcc, exec, s[6:7]
	s_cbranch_vccnz .LBB24_39
; %bb.38:
	scratch_load_dwordx2 v[54:55], v21, off
	ds_read_b64 v[56:57], v1
	s_waitcnt vmcnt(0) lgkmcnt(0)
	v_mul_f64 v[54:55], v[54:55], v[56:57]
	s_cbranch_execz .LBB24_40
	s_branch .LBB24_41
.LBB24_39:
                                        ; implicit-def: $vgpr54_vgpr55
.LBB24_40:
	ds_read_b64 v[54:55], v1
.LBB24_41:
	s_and_saveexec_b64 s[8:9], s[0:1]
	s_cbranch_execz .LBB24_45
; %bb.42:
	v_subrev_u32_e32 v56, 20, v0
	s_movk_i32 s20, 0x170
	s_mov_b64 s[0:1], 0
.LBB24_43:                              ; =>This Inner Loop Header: Depth=1
	scratch_load_dwordx2 v[58:59], off, s19
	v_mov_b32_e32 v57, s20
	ds_read_b64 v[60:61], v57
	v_add_u32_e32 v56, -1, v56
	s_add_i32 s20, s20, 8
	s_add_i32 s19, s19, 8
	v_cmp_eq_u32_e32 vcc, 0, v56
	s_or_b64 s[0:1], vcc, s[0:1]
	s_waitcnt vmcnt(0) lgkmcnt(0)
	v_fmac_f64_e32 v[54:55], v[58:59], v[60:61]
	s_andn2_b64 exec, exec, s[0:1]
	s_cbranch_execnz .LBB24_43
; %bb.44:
	s_or_b64 exec, exec, s[0:1]
.LBB24_45:
	s_or_b64 exec, exec, s[8:9]
	v_mov_b32_e32 v56, 0
	ds_read_b64 v[56:57], v56 offset:152
	s_waitcnt lgkmcnt(0)
	v_mul_f64 v[54:55], v[54:55], v[56:57]
	scratch_store_dwordx2 off, v[54:55], off offset:152
.LBB24_46:
	s_or_b64 exec, exec, s[4:5]
	scratch_load_dwordx2 v[54:55], off, off offset:144
	v_cmp_lt_u32_e64 s[0:1], 18, v0
	s_waitcnt vmcnt(0)
	ds_write_b64 v1, v[54:55]
	s_waitcnt lgkmcnt(0)
	; wave barrier
	s_and_saveexec_b64 s[4:5], s[0:1]
	s_cbranch_execz .LBB24_56
; %bb.47:
	s_andn2_b64 vcc, exec, s[6:7]
	s_cbranch_vccnz .LBB24_49
; %bb.48:
	scratch_load_dwordx2 v[54:55], v21, off
	ds_read_b64 v[56:57], v1
	s_waitcnt vmcnt(0) lgkmcnt(0)
	v_mul_f64 v[54:55], v[54:55], v[56:57]
	s_cbranch_execz .LBB24_50
	s_branch .LBB24_51
.LBB24_49:
                                        ; implicit-def: $vgpr54_vgpr55
.LBB24_50:
	ds_read_b64 v[54:55], v1
.LBB24_51:
	s_and_saveexec_b64 s[8:9], s[2:3]
	s_cbranch_execz .LBB24_55
; %bb.52:
	s_movk_i32 s19, 0x98
	v_subrev_u32_e32 v56, 19, v0
	s_movk_i32 s20, 0x168
	s_mov_b64 s[2:3], 0
.LBB24_53:                              ; =>This Inner Loop Header: Depth=1
	scratch_load_dwordx2 v[58:59], off, s19
	v_mov_b32_e32 v57, s20
	ds_read_b64 v[60:61], v57
	v_add_u32_e32 v56, -1, v56
	s_add_i32 s20, s20, 8
	s_add_i32 s19, s19, 8
	v_cmp_eq_u32_e32 vcc, 0, v56
	s_or_b64 s[2:3], vcc, s[2:3]
	s_waitcnt vmcnt(0) lgkmcnt(0)
	v_fmac_f64_e32 v[54:55], v[58:59], v[60:61]
	s_andn2_b64 exec, exec, s[2:3]
	s_cbranch_execnz .LBB24_53
; %bb.54:
	s_or_b64 exec, exec, s[2:3]
.LBB24_55:
	s_or_b64 exec, exec, s[8:9]
	v_mov_b32_e32 v56, 0
	ds_read_b64 v[56:57], v56 offset:144
	s_waitcnt lgkmcnt(0)
	v_mul_f64 v[54:55], v[54:55], v[56:57]
	scratch_store_dwordx2 off, v[54:55], off offset:144
.LBB24_56:
	s_or_b64 exec, exec, s[4:5]
	scratch_load_dwordx2 v[54:55], off, off offset:136
	v_cmp_lt_u32_e64 s[2:3], 17, v0
	s_waitcnt vmcnt(0)
	ds_write_b64 v1, v[54:55]
	s_waitcnt lgkmcnt(0)
	; wave barrier
	s_and_saveexec_b64 s[4:5], s[2:3]
	s_cbranch_execz .LBB24_66
; %bb.57:
	s_andn2_b64 vcc, exec, s[6:7]
	s_cbranch_vccnz .LBB24_59
; %bb.58:
	scratch_load_dwordx2 v[54:55], v21, off
	ds_read_b64 v[56:57], v1
	s_waitcnt vmcnt(0) lgkmcnt(0)
	v_mul_f64 v[54:55], v[54:55], v[56:57]
	s_cbranch_execz .LBB24_60
	s_branch .LBB24_61
.LBB24_59:
                                        ; implicit-def: $vgpr54_vgpr55
.LBB24_60:
	ds_read_b64 v[54:55], v1
.LBB24_61:
	s_and_saveexec_b64 s[8:9], s[0:1]
	s_cbranch_execz .LBB24_65
; %bb.62:
	v_subrev_u32_e32 v56, 18, v0
	s_movk_i32 s19, 0x160
	s_mov_b64 s[0:1], 0
.LBB24_63:                              ; =>This Inner Loop Header: Depth=1
	scratch_load_dwordx2 v[58:59], off, s18
	v_mov_b32_e32 v57, s19
	ds_read_b64 v[60:61], v57
	v_add_u32_e32 v56, -1, v56
	s_add_i32 s19, s19, 8
	s_add_i32 s18, s18, 8
	v_cmp_eq_u32_e32 vcc, 0, v56
	s_or_b64 s[0:1], vcc, s[0:1]
	s_waitcnt vmcnt(0) lgkmcnt(0)
	v_fmac_f64_e32 v[54:55], v[58:59], v[60:61]
	s_andn2_b64 exec, exec, s[0:1]
	s_cbranch_execnz .LBB24_63
; %bb.64:
	s_or_b64 exec, exec, s[0:1]
.LBB24_65:
	s_or_b64 exec, exec, s[8:9]
	v_mov_b32_e32 v56, 0
	ds_read_b64 v[56:57], v56 offset:136
	s_waitcnt lgkmcnt(0)
	v_mul_f64 v[54:55], v[54:55], v[56:57]
	scratch_store_dwordx2 off, v[54:55], off offset:136
.LBB24_66:
	s_or_b64 exec, exec, s[4:5]
	scratch_load_dwordx2 v[54:55], off, off offset:128
	v_cmp_lt_u32_e64 s[0:1], 16, v0
	s_waitcnt vmcnt(0)
	ds_write_b64 v1, v[54:55]
	s_waitcnt lgkmcnt(0)
	; wave barrier
	s_and_saveexec_b64 s[4:5], s[0:1]
	s_cbranch_execz .LBB24_76
; %bb.67:
	s_andn2_b64 vcc, exec, s[6:7]
	s_cbranch_vccnz .LBB24_69
; %bb.68:
	scratch_load_dwordx2 v[54:55], v21, off
	ds_read_b64 v[56:57], v1
	s_waitcnt vmcnt(0) lgkmcnt(0)
	v_mul_f64 v[54:55], v[54:55], v[56:57]
	s_cbranch_execz .LBB24_70
	s_branch .LBB24_71
.LBB24_69:
                                        ; implicit-def: $vgpr54_vgpr55
.LBB24_70:
	ds_read_b64 v[54:55], v1
.LBB24_71:
	s_and_saveexec_b64 s[8:9], s[2:3]
	s_cbranch_execz .LBB24_75
; %bb.72:
	s_movk_i32 s18, 0x88
	v_subrev_u32_e32 v56, 17, v0
	s_movk_i32 s19, 0x158
	s_mov_b64 s[2:3], 0
.LBB24_73:                              ; =>This Inner Loop Header: Depth=1
	scratch_load_dwordx2 v[58:59], off, s18
	v_mov_b32_e32 v57, s19
	ds_read_b64 v[60:61], v57
	v_add_u32_e32 v56, -1, v56
	s_add_i32 s19, s19, 8
	s_add_i32 s18, s18, 8
	v_cmp_eq_u32_e32 vcc, 0, v56
	s_or_b64 s[2:3], vcc, s[2:3]
	s_waitcnt vmcnt(0) lgkmcnt(0)
	v_fmac_f64_e32 v[54:55], v[58:59], v[60:61]
	s_andn2_b64 exec, exec, s[2:3]
	s_cbranch_execnz .LBB24_73
; %bb.74:
	s_or_b64 exec, exec, s[2:3]
.LBB24_75:
	s_or_b64 exec, exec, s[8:9]
	v_mov_b32_e32 v56, 0
	ds_read_b64 v[56:57], v56 offset:128
	s_waitcnt lgkmcnt(0)
	v_mul_f64 v[54:55], v[54:55], v[56:57]
	scratch_store_dwordx2 off, v[54:55], off offset:128
.LBB24_76:
	s_or_b64 exec, exec, s[4:5]
	scratch_load_dwordx2 v[54:55], off, off offset:120
	v_cmp_lt_u32_e64 s[2:3], 15, v0
	s_waitcnt vmcnt(0)
	ds_write_b64 v1, v[54:55]
	s_waitcnt lgkmcnt(0)
	; wave barrier
	s_and_saveexec_b64 s[4:5], s[2:3]
	s_cbranch_execz .LBB24_86
; %bb.77:
	s_andn2_b64 vcc, exec, s[6:7]
	s_cbranch_vccnz .LBB24_79
; %bb.78:
	scratch_load_dwordx2 v[54:55], v21, off
	ds_read_b64 v[56:57], v1
	s_waitcnt vmcnt(0) lgkmcnt(0)
	v_mul_f64 v[54:55], v[54:55], v[56:57]
	s_cbranch_execz .LBB24_80
	s_branch .LBB24_81
.LBB24_79:
                                        ; implicit-def: $vgpr54_vgpr55
.LBB24_80:
	ds_read_b64 v[54:55], v1
.LBB24_81:
	s_and_saveexec_b64 s[8:9], s[0:1]
	s_cbranch_execz .LBB24_85
; %bb.82:
	v_add_u32_e32 v56, -16, v0
	s_movk_i32 s18, 0x150
	s_mov_b64 s[0:1], 0
.LBB24_83:                              ; =>This Inner Loop Header: Depth=1
	scratch_load_dwordx2 v[58:59], off, s17
	v_mov_b32_e32 v57, s18
	ds_read_b64 v[60:61], v57
	v_add_u32_e32 v56, -1, v56
	s_add_i32 s18, s18, 8
	s_add_i32 s17, s17, 8
	v_cmp_eq_u32_e32 vcc, 0, v56
	s_or_b64 s[0:1], vcc, s[0:1]
	s_waitcnt vmcnt(0) lgkmcnt(0)
	v_fmac_f64_e32 v[54:55], v[58:59], v[60:61]
	s_andn2_b64 exec, exec, s[0:1]
	s_cbranch_execnz .LBB24_83
; %bb.84:
	s_or_b64 exec, exec, s[0:1]
.LBB24_85:
	s_or_b64 exec, exec, s[8:9]
	v_mov_b32_e32 v56, 0
	ds_read_b64 v[56:57], v56 offset:120
	s_waitcnt lgkmcnt(0)
	v_mul_f64 v[54:55], v[54:55], v[56:57]
	scratch_store_dwordx2 off, v[54:55], off offset:120
.LBB24_86:
	s_or_b64 exec, exec, s[4:5]
	scratch_load_dwordx2 v[54:55], off, off offset:112
	v_cmp_lt_u32_e64 s[0:1], 14, v0
	s_waitcnt vmcnt(0)
	ds_write_b64 v1, v[54:55]
	s_waitcnt lgkmcnt(0)
	; wave barrier
	s_and_saveexec_b64 s[4:5], s[0:1]
	s_cbranch_execz .LBB24_96
; %bb.87:
	s_andn2_b64 vcc, exec, s[6:7]
	s_cbranch_vccnz .LBB24_89
; %bb.88:
	scratch_load_dwordx2 v[54:55], v21, off
	ds_read_b64 v[56:57], v1
	s_waitcnt vmcnt(0) lgkmcnt(0)
	v_mul_f64 v[54:55], v[54:55], v[56:57]
	s_cbranch_execz .LBB24_90
	s_branch .LBB24_91
.LBB24_89:
                                        ; implicit-def: $vgpr54_vgpr55
.LBB24_90:
	ds_read_b64 v[54:55], v1
.LBB24_91:
	s_and_saveexec_b64 s[8:9], s[2:3]
	s_cbranch_execz .LBB24_95
; %bb.92:
	s_movk_i32 s17, 0x78
	v_add_u32_e32 v56, -15, v0
	s_movk_i32 s18, 0x148
	s_mov_b64 s[2:3], 0
.LBB24_93:                              ; =>This Inner Loop Header: Depth=1
	scratch_load_dwordx2 v[58:59], off, s17
	v_mov_b32_e32 v57, s18
	ds_read_b64 v[60:61], v57
	v_add_u32_e32 v56, -1, v56
	s_add_i32 s18, s18, 8
	s_add_i32 s17, s17, 8
	v_cmp_eq_u32_e32 vcc, 0, v56
	s_or_b64 s[2:3], vcc, s[2:3]
	s_waitcnt vmcnt(0) lgkmcnt(0)
	v_fmac_f64_e32 v[54:55], v[58:59], v[60:61]
	s_andn2_b64 exec, exec, s[2:3]
	s_cbranch_execnz .LBB24_93
; %bb.94:
	s_or_b64 exec, exec, s[2:3]
.LBB24_95:
	s_or_b64 exec, exec, s[8:9]
	v_mov_b32_e32 v56, 0
	ds_read_b64 v[56:57], v56 offset:112
	s_waitcnt lgkmcnt(0)
	v_mul_f64 v[54:55], v[54:55], v[56:57]
	scratch_store_dwordx2 off, v[54:55], off offset:112
.LBB24_96:
	s_or_b64 exec, exec, s[4:5]
	scratch_load_dwordx2 v[54:55], off, off offset:104
	v_cmp_lt_u32_e64 s[2:3], 13, v0
	s_waitcnt vmcnt(0)
	ds_write_b64 v1, v[54:55]
	s_waitcnt lgkmcnt(0)
	; wave barrier
	s_and_saveexec_b64 s[4:5], s[2:3]
	s_cbranch_execz .LBB24_106
; %bb.97:
	s_andn2_b64 vcc, exec, s[6:7]
	s_cbranch_vccnz .LBB24_99
; %bb.98:
	scratch_load_dwordx2 v[54:55], v21, off
	ds_read_b64 v[56:57], v1
	s_waitcnt vmcnt(0) lgkmcnt(0)
	v_mul_f64 v[54:55], v[54:55], v[56:57]
	s_cbranch_execz .LBB24_100
	s_branch .LBB24_101
.LBB24_99:
                                        ; implicit-def: $vgpr54_vgpr55
.LBB24_100:
	ds_read_b64 v[54:55], v1
.LBB24_101:
	s_and_saveexec_b64 s[8:9], s[0:1]
	s_cbranch_execz .LBB24_105
; %bb.102:
	v_add_u32_e32 v56, -14, v0
	s_movk_i32 s17, 0x140
	s_mov_b64 s[0:1], 0
.LBB24_103:                             ; =>This Inner Loop Header: Depth=1
	scratch_load_dwordx2 v[58:59], off, s16
	v_mov_b32_e32 v57, s17
	ds_read_b64 v[60:61], v57
	v_add_u32_e32 v56, -1, v56
	s_add_i32 s17, s17, 8
	s_add_i32 s16, s16, 8
	v_cmp_eq_u32_e32 vcc, 0, v56
	s_or_b64 s[0:1], vcc, s[0:1]
	s_waitcnt vmcnt(0) lgkmcnt(0)
	v_fmac_f64_e32 v[54:55], v[58:59], v[60:61]
	s_andn2_b64 exec, exec, s[0:1]
	s_cbranch_execnz .LBB24_103
; %bb.104:
	s_or_b64 exec, exec, s[0:1]
.LBB24_105:
	s_or_b64 exec, exec, s[8:9]
	v_mov_b32_e32 v56, 0
	ds_read_b64 v[56:57], v56 offset:104
	s_waitcnt lgkmcnt(0)
	v_mul_f64 v[54:55], v[54:55], v[56:57]
	scratch_store_dwordx2 off, v[54:55], off offset:104
.LBB24_106:
	s_or_b64 exec, exec, s[4:5]
	scratch_load_dwordx2 v[54:55], off, off offset:96
	v_cmp_lt_u32_e64 s[0:1], 12, v0
	s_waitcnt vmcnt(0)
	ds_write_b64 v1, v[54:55]
	s_waitcnt lgkmcnt(0)
	; wave barrier
	s_and_saveexec_b64 s[4:5], s[0:1]
	s_cbranch_execz .LBB24_116
; %bb.107:
	s_andn2_b64 vcc, exec, s[6:7]
	s_cbranch_vccnz .LBB24_109
; %bb.108:
	scratch_load_dwordx2 v[54:55], v21, off
	ds_read_b64 v[56:57], v1
	s_waitcnt vmcnt(0) lgkmcnt(0)
	v_mul_f64 v[54:55], v[54:55], v[56:57]
	s_cbranch_execz .LBB24_110
	s_branch .LBB24_111
.LBB24_109:
                                        ; implicit-def: $vgpr54_vgpr55
.LBB24_110:
	ds_read_b64 v[54:55], v1
.LBB24_111:
	s_and_saveexec_b64 s[8:9], s[2:3]
	s_cbranch_execz .LBB24_115
; %bb.112:
	s_movk_i32 s16, 0x68
	v_add_u32_e32 v56, -13, v0
	s_movk_i32 s17, 0x138
	s_mov_b64 s[2:3], 0
.LBB24_113:                             ; =>This Inner Loop Header: Depth=1
	scratch_load_dwordx2 v[58:59], off, s16
	v_mov_b32_e32 v57, s17
	ds_read_b64 v[60:61], v57
	v_add_u32_e32 v56, -1, v56
	s_add_i32 s17, s17, 8
	s_add_i32 s16, s16, 8
	v_cmp_eq_u32_e32 vcc, 0, v56
	s_or_b64 s[2:3], vcc, s[2:3]
	s_waitcnt vmcnt(0) lgkmcnt(0)
	v_fmac_f64_e32 v[54:55], v[58:59], v[60:61]
	s_andn2_b64 exec, exec, s[2:3]
	s_cbranch_execnz .LBB24_113
; %bb.114:
	s_or_b64 exec, exec, s[2:3]
.LBB24_115:
	s_or_b64 exec, exec, s[8:9]
	v_mov_b32_e32 v56, 0
	ds_read_b64 v[56:57], v56 offset:96
	s_waitcnt lgkmcnt(0)
	v_mul_f64 v[54:55], v[54:55], v[56:57]
	scratch_store_dwordx2 off, v[54:55], off offset:96
.LBB24_116:
	s_or_b64 exec, exec, s[4:5]
	scratch_load_dwordx2 v[54:55], off, off offset:88
	v_cmp_lt_u32_e64 s[2:3], 11, v0
	s_waitcnt vmcnt(0)
	ds_write_b64 v1, v[54:55]
	s_waitcnt lgkmcnt(0)
	; wave barrier
	s_and_saveexec_b64 s[4:5], s[2:3]
	s_cbranch_execz .LBB24_126
; %bb.117:
	s_andn2_b64 vcc, exec, s[6:7]
	s_cbranch_vccnz .LBB24_119
; %bb.118:
	scratch_load_dwordx2 v[54:55], v21, off
	ds_read_b64 v[56:57], v1
	s_waitcnt vmcnt(0) lgkmcnt(0)
	v_mul_f64 v[54:55], v[54:55], v[56:57]
	s_cbranch_execz .LBB24_120
	s_branch .LBB24_121
.LBB24_119:
                                        ; implicit-def: $vgpr54_vgpr55
.LBB24_120:
	ds_read_b64 v[54:55], v1
.LBB24_121:
	s_and_saveexec_b64 s[8:9], s[0:1]
	s_cbranch_execz .LBB24_125
; %bb.122:
	v_add_u32_e32 v56, -12, v0
	s_movk_i32 s16, 0x130
	s_mov_b64 s[0:1], 0
.LBB24_123:                             ; =>This Inner Loop Header: Depth=1
	scratch_load_dwordx2 v[58:59], off, s15
	v_mov_b32_e32 v57, s16
	ds_read_b64 v[60:61], v57
	v_add_u32_e32 v56, -1, v56
	s_add_i32 s16, s16, 8
	s_add_i32 s15, s15, 8
	v_cmp_eq_u32_e32 vcc, 0, v56
	s_or_b64 s[0:1], vcc, s[0:1]
	s_waitcnt vmcnt(0) lgkmcnt(0)
	v_fmac_f64_e32 v[54:55], v[58:59], v[60:61]
	s_andn2_b64 exec, exec, s[0:1]
	s_cbranch_execnz .LBB24_123
; %bb.124:
	s_or_b64 exec, exec, s[0:1]
.LBB24_125:
	s_or_b64 exec, exec, s[8:9]
	v_mov_b32_e32 v56, 0
	ds_read_b64 v[56:57], v56 offset:88
	s_waitcnt lgkmcnt(0)
	v_mul_f64 v[54:55], v[54:55], v[56:57]
	scratch_store_dwordx2 off, v[54:55], off offset:88
.LBB24_126:
	s_or_b64 exec, exec, s[4:5]
	scratch_load_dwordx2 v[54:55], off, off offset:80
	v_cmp_lt_u32_e64 s[0:1], 10, v0
	s_waitcnt vmcnt(0)
	ds_write_b64 v1, v[54:55]
	s_waitcnt lgkmcnt(0)
	; wave barrier
	s_and_saveexec_b64 s[4:5], s[0:1]
	s_cbranch_execz .LBB24_136
; %bb.127:
	s_andn2_b64 vcc, exec, s[6:7]
	s_cbranch_vccnz .LBB24_129
; %bb.128:
	scratch_load_dwordx2 v[54:55], v21, off
	ds_read_b64 v[56:57], v1
	s_waitcnt vmcnt(0) lgkmcnt(0)
	v_mul_f64 v[54:55], v[54:55], v[56:57]
	s_cbranch_execz .LBB24_130
	s_branch .LBB24_131
.LBB24_129:
                                        ; implicit-def: $vgpr54_vgpr55
.LBB24_130:
	ds_read_b64 v[54:55], v1
.LBB24_131:
	s_and_saveexec_b64 s[8:9], s[2:3]
	s_cbranch_execz .LBB24_135
; %bb.132:
	s_movk_i32 s15, 0x58
	v_add_u32_e32 v56, -11, v0
	s_movk_i32 s16, 0x128
	s_mov_b64 s[2:3], 0
.LBB24_133:                             ; =>This Inner Loop Header: Depth=1
	scratch_load_dwordx2 v[58:59], off, s15
	v_mov_b32_e32 v57, s16
	ds_read_b64 v[60:61], v57
	v_add_u32_e32 v56, -1, v56
	s_add_i32 s16, s16, 8
	s_add_i32 s15, s15, 8
	v_cmp_eq_u32_e32 vcc, 0, v56
	s_or_b64 s[2:3], vcc, s[2:3]
	s_waitcnt vmcnt(0) lgkmcnt(0)
	v_fmac_f64_e32 v[54:55], v[58:59], v[60:61]
	s_andn2_b64 exec, exec, s[2:3]
	s_cbranch_execnz .LBB24_133
; %bb.134:
	s_or_b64 exec, exec, s[2:3]
.LBB24_135:
	s_or_b64 exec, exec, s[8:9]
	v_mov_b32_e32 v56, 0
	ds_read_b64 v[56:57], v56 offset:80
	s_waitcnt lgkmcnt(0)
	v_mul_f64 v[54:55], v[54:55], v[56:57]
	scratch_store_dwordx2 off, v[54:55], off offset:80
.LBB24_136:
	s_or_b64 exec, exec, s[4:5]
	scratch_load_dwordx2 v[54:55], off, off offset:72
	v_cmp_lt_u32_e64 s[2:3], 9, v0
	s_waitcnt vmcnt(0)
	ds_write_b64 v1, v[54:55]
	s_waitcnt lgkmcnt(0)
	; wave barrier
	s_and_saveexec_b64 s[4:5], s[2:3]
	s_cbranch_execz .LBB24_146
; %bb.137:
	s_andn2_b64 vcc, exec, s[6:7]
	s_cbranch_vccnz .LBB24_139
; %bb.138:
	scratch_load_dwordx2 v[54:55], v21, off
	ds_read_b64 v[56:57], v1
	s_waitcnt vmcnt(0) lgkmcnt(0)
	v_mul_f64 v[54:55], v[54:55], v[56:57]
	s_cbranch_execz .LBB24_140
	s_branch .LBB24_141
.LBB24_139:
                                        ; implicit-def: $vgpr54_vgpr55
.LBB24_140:
	ds_read_b64 v[54:55], v1
.LBB24_141:
	s_and_saveexec_b64 s[8:9], s[0:1]
	s_cbranch_execz .LBB24_145
; %bb.142:
	v_add_u32_e32 v56, -10, v0
	s_movk_i32 s15, 0x120
	s_mov_b64 s[0:1], 0
.LBB24_143:                             ; =>This Inner Loop Header: Depth=1
	scratch_load_dwordx2 v[58:59], off, s14
	v_mov_b32_e32 v57, s15
	ds_read_b64 v[60:61], v57
	v_add_u32_e32 v56, -1, v56
	s_add_i32 s15, s15, 8
	s_add_i32 s14, s14, 8
	v_cmp_eq_u32_e32 vcc, 0, v56
	s_or_b64 s[0:1], vcc, s[0:1]
	s_waitcnt vmcnt(0) lgkmcnt(0)
	v_fmac_f64_e32 v[54:55], v[58:59], v[60:61]
	s_andn2_b64 exec, exec, s[0:1]
	s_cbranch_execnz .LBB24_143
; %bb.144:
	s_or_b64 exec, exec, s[0:1]
.LBB24_145:
	s_or_b64 exec, exec, s[8:9]
	v_mov_b32_e32 v56, 0
	ds_read_b64 v[56:57], v56 offset:72
	s_waitcnt lgkmcnt(0)
	v_mul_f64 v[54:55], v[54:55], v[56:57]
	scratch_store_dwordx2 off, v[54:55], off offset:72
.LBB24_146:
	s_or_b64 exec, exec, s[4:5]
	scratch_load_dwordx2 v[54:55], off, off offset:64
	v_cmp_lt_u32_e64 s[0:1], 8, v0
	s_waitcnt vmcnt(0)
	ds_write_b64 v1, v[54:55]
	s_waitcnt lgkmcnt(0)
	; wave barrier
	s_and_saveexec_b64 s[4:5], s[0:1]
	s_cbranch_execz .LBB24_156
; %bb.147:
	s_andn2_b64 vcc, exec, s[6:7]
	s_cbranch_vccnz .LBB24_149
; %bb.148:
	scratch_load_dwordx2 v[54:55], v21, off
	ds_read_b64 v[56:57], v1
	s_waitcnt vmcnt(0) lgkmcnt(0)
	v_mul_f64 v[54:55], v[54:55], v[56:57]
	s_cbranch_execz .LBB24_150
	s_branch .LBB24_151
.LBB24_149:
                                        ; implicit-def: $vgpr54_vgpr55
.LBB24_150:
	ds_read_b64 v[54:55], v1
.LBB24_151:
	s_and_saveexec_b64 s[8:9], s[2:3]
	s_cbranch_execz .LBB24_155
; %bb.152:
	s_movk_i32 s14, 0x48
	v_add_u32_e32 v56, -9, v0
	s_movk_i32 s15, 0x118
	s_mov_b64 s[2:3], 0
.LBB24_153:                             ; =>This Inner Loop Header: Depth=1
	scratch_load_dwordx2 v[58:59], off, s14
	v_mov_b32_e32 v57, s15
	ds_read_b64 v[60:61], v57
	v_add_u32_e32 v56, -1, v56
	s_add_i32 s15, s15, 8
	s_add_i32 s14, s14, 8
	v_cmp_eq_u32_e32 vcc, 0, v56
	s_or_b64 s[2:3], vcc, s[2:3]
	s_waitcnt vmcnt(0) lgkmcnt(0)
	v_fmac_f64_e32 v[54:55], v[58:59], v[60:61]
	s_andn2_b64 exec, exec, s[2:3]
	s_cbranch_execnz .LBB24_153
; %bb.154:
	s_or_b64 exec, exec, s[2:3]
.LBB24_155:
	s_or_b64 exec, exec, s[8:9]
	v_mov_b32_e32 v56, 0
	ds_read_b64 v[56:57], v56 offset:64
	s_waitcnt lgkmcnt(0)
	v_mul_f64 v[54:55], v[54:55], v[56:57]
	scratch_store_dwordx2 off, v[54:55], off offset:64
.LBB24_156:
	s_or_b64 exec, exec, s[4:5]
	scratch_load_dwordx2 v[54:55], off, off offset:56
	v_cmp_lt_u32_e64 s[2:3], 7, v0
	s_waitcnt vmcnt(0)
	ds_write_b64 v1, v[54:55]
	s_waitcnt lgkmcnt(0)
	; wave barrier
	s_and_saveexec_b64 s[4:5], s[2:3]
	s_cbranch_execz .LBB24_166
; %bb.157:
	s_andn2_b64 vcc, exec, s[6:7]
	s_cbranch_vccnz .LBB24_159
; %bb.158:
	scratch_load_dwordx2 v[54:55], v21, off
	ds_read_b64 v[56:57], v1
	s_waitcnt vmcnt(0) lgkmcnt(0)
	v_mul_f64 v[54:55], v[54:55], v[56:57]
	s_cbranch_execz .LBB24_160
	s_branch .LBB24_161
.LBB24_159:
                                        ; implicit-def: $vgpr54_vgpr55
.LBB24_160:
	ds_read_b64 v[54:55], v1
.LBB24_161:
	s_and_saveexec_b64 s[8:9], s[0:1]
	s_cbranch_execz .LBB24_165
; %bb.162:
	v_add_u32_e32 v56, -8, v0
	s_movk_i32 s14, 0x110
	s_mov_b64 s[0:1], 0
.LBB24_163:                             ; =>This Inner Loop Header: Depth=1
	scratch_load_dwordx2 v[58:59], off, s13
	v_mov_b32_e32 v57, s14
	ds_read_b64 v[60:61], v57
	v_add_u32_e32 v56, -1, v56
	s_add_i32 s14, s14, 8
	s_add_i32 s13, s13, 8
	v_cmp_eq_u32_e32 vcc, 0, v56
	s_or_b64 s[0:1], vcc, s[0:1]
	s_waitcnt vmcnt(0) lgkmcnt(0)
	v_fmac_f64_e32 v[54:55], v[58:59], v[60:61]
	s_andn2_b64 exec, exec, s[0:1]
	s_cbranch_execnz .LBB24_163
; %bb.164:
	s_or_b64 exec, exec, s[0:1]
.LBB24_165:
	s_or_b64 exec, exec, s[8:9]
	v_mov_b32_e32 v56, 0
	ds_read_b64 v[56:57], v56 offset:56
	s_waitcnt lgkmcnt(0)
	v_mul_f64 v[54:55], v[54:55], v[56:57]
	scratch_store_dwordx2 off, v[54:55], off offset:56
.LBB24_166:
	s_or_b64 exec, exec, s[4:5]
	scratch_load_dwordx2 v[54:55], off, off offset:48
	v_cmp_lt_u32_e64 s[0:1], 6, v0
	s_waitcnt vmcnt(0)
	ds_write_b64 v1, v[54:55]
	s_waitcnt lgkmcnt(0)
	; wave barrier
	s_and_saveexec_b64 s[4:5], s[0:1]
	s_cbranch_execz .LBB24_176
; %bb.167:
	s_andn2_b64 vcc, exec, s[6:7]
	s_cbranch_vccnz .LBB24_169
; %bb.168:
	scratch_load_dwordx2 v[54:55], v21, off
	ds_read_b64 v[56:57], v1
	s_waitcnt vmcnt(0) lgkmcnt(0)
	v_mul_f64 v[54:55], v[54:55], v[56:57]
	s_cbranch_execz .LBB24_170
	s_branch .LBB24_171
.LBB24_169:
                                        ; implicit-def: $vgpr54_vgpr55
.LBB24_170:
	ds_read_b64 v[54:55], v1
.LBB24_171:
	s_and_saveexec_b64 s[8:9], s[2:3]
	s_cbranch_execz .LBB24_175
; %bb.172:
	s_mov_b32 s13, 56
	v_add_u32_e32 v56, -7, v0
	s_movk_i32 s14, 0x108
	s_mov_b64 s[2:3], 0
.LBB24_173:                             ; =>This Inner Loop Header: Depth=1
	scratch_load_dwordx2 v[58:59], off, s13
	v_mov_b32_e32 v57, s14
	ds_read_b64 v[60:61], v57
	v_add_u32_e32 v56, -1, v56
	s_add_i32 s14, s14, 8
	s_add_i32 s13, s13, 8
	v_cmp_eq_u32_e32 vcc, 0, v56
	s_or_b64 s[2:3], vcc, s[2:3]
	s_waitcnt vmcnt(0) lgkmcnt(0)
	v_fmac_f64_e32 v[54:55], v[58:59], v[60:61]
	s_andn2_b64 exec, exec, s[2:3]
	s_cbranch_execnz .LBB24_173
; %bb.174:
	s_or_b64 exec, exec, s[2:3]
.LBB24_175:
	s_or_b64 exec, exec, s[8:9]
	v_mov_b32_e32 v56, 0
	ds_read_b64 v[56:57], v56 offset:48
	s_waitcnt lgkmcnt(0)
	v_mul_f64 v[54:55], v[54:55], v[56:57]
	scratch_store_dwordx2 off, v[54:55], off offset:48
.LBB24_176:
	s_or_b64 exec, exec, s[4:5]
	scratch_load_dwordx2 v[54:55], off, off offset:40
	v_cmp_lt_u32_e64 s[2:3], 5, v0
	s_waitcnt vmcnt(0)
	ds_write_b64 v1, v[54:55]
	s_waitcnt lgkmcnt(0)
	; wave barrier
	s_and_saveexec_b64 s[4:5], s[2:3]
	s_cbranch_execz .LBB24_186
; %bb.177:
	s_andn2_b64 vcc, exec, s[6:7]
	s_cbranch_vccnz .LBB24_179
; %bb.178:
	scratch_load_dwordx2 v[54:55], v21, off
	ds_read_b64 v[56:57], v1
	s_waitcnt vmcnt(0) lgkmcnt(0)
	v_mul_f64 v[54:55], v[54:55], v[56:57]
	s_cbranch_execz .LBB24_180
	s_branch .LBB24_181
.LBB24_179:
                                        ; implicit-def: $vgpr54_vgpr55
.LBB24_180:
	ds_read_b64 v[54:55], v1
.LBB24_181:
	s_and_saveexec_b64 s[8:9], s[0:1]
	s_cbranch_execz .LBB24_185
; %bb.182:
	v_add_u32_e32 v56, -6, v0
	s_movk_i32 s13, 0x100
	s_mov_b64 s[0:1], 0
.LBB24_183:                             ; =>This Inner Loop Header: Depth=1
	scratch_load_dwordx2 v[58:59], off, s12
	v_mov_b32_e32 v57, s13
	ds_read_b64 v[60:61], v57
	v_add_u32_e32 v56, -1, v56
	s_add_i32 s13, s13, 8
	s_add_i32 s12, s12, 8
	v_cmp_eq_u32_e32 vcc, 0, v56
	s_or_b64 s[0:1], vcc, s[0:1]
	s_waitcnt vmcnt(0) lgkmcnt(0)
	v_fmac_f64_e32 v[54:55], v[58:59], v[60:61]
	s_andn2_b64 exec, exec, s[0:1]
	s_cbranch_execnz .LBB24_183
; %bb.184:
	s_or_b64 exec, exec, s[0:1]
.LBB24_185:
	s_or_b64 exec, exec, s[8:9]
	v_mov_b32_e32 v56, 0
	ds_read_b64 v[56:57], v56 offset:40
	s_waitcnt lgkmcnt(0)
	v_mul_f64 v[54:55], v[54:55], v[56:57]
	scratch_store_dwordx2 off, v[54:55], off offset:40
.LBB24_186:
	s_or_b64 exec, exec, s[4:5]
	scratch_load_dwordx2 v[54:55], off, off offset:32
	v_cmp_lt_u32_e64 s[0:1], 4, v0
	s_waitcnt vmcnt(0)
	ds_write_b64 v1, v[54:55]
	s_waitcnt lgkmcnt(0)
	; wave barrier
	s_and_saveexec_b64 s[4:5], s[0:1]
	s_cbranch_execz .LBB24_196
; %bb.187:
	s_andn2_b64 vcc, exec, s[6:7]
	s_cbranch_vccnz .LBB24_189
; %bb.188:
	scratch_load_dwordx2 v[54:55], v21, off
	ds_read_b64 v[56:57], v1
	s_waitcnt vmcnt(0) lgkmcnt(0)
	v_mul_f64 v[54:55], v[54:55], v[56:57]
	s_cbranch_execz .LBB24_190
	s_branch .LBB24_191
.LBB24_189:
                                        ; implicit-def: $vgpr54_vgpr55
.LBB24_190:
	ds_read_b64 v[54:55], v1
.LBB24_191:
	s_and_saveexec_b64 s[8:9], s[2:3]
	s_cbranch_execz .LBB24_195
; %bb.192:
	s_mov_b32 s12, 40
	v_add_u32_e32 v56, -5, v0
	s_movk_i32 s13, 0xf8
	s_mov_b64 s[2:3], 0
.LBB24_193:                             ; =>This Inner Loop Header: Depth=1
	scratch_load_dwordx2 v[58:59], off, s12
	v_mov_b32_e32 v57, s13
	ds_read_b64 v[60:61], v57
	v_add_u32_e32 v56, -1, v56
	s_add_i32 s13, s13, 8
	s_add_i32 s12, s12, 8
	v_cmp_eq_u32_e32 vcc, 0, v56
	s_or_b64 s[2:3], vcc, s[2:3]
	s_waitcnt vmcnt(0) lgkmcnt(0)
	v_fmac_f64_e32 v[54:55], v[58:59], v[60:61]
	s_andn2_b64 exec, exec, s[2:3]
	s_cbranch_execnz .LBB24_193
; %bb.194:
	s_or_b64 exec, exec, s[2:3]
.LBB24_195:
	s_or_b64 exec, exec, s[8:9]
	v_mov_b32_e32 v56, 0
	ds_read_b64 v[56:57], v56 offset:32
	s_waitcnt lgkmcnt(0)
	v_mul_f64 v[54:55], v[54:55], v[56:57]
	scratch_store_dwordx2 off, v[54:55], off offset:32
.LBB24_196:
	s_or_b64 exec, exec, s[4:5]
	scratch_load_dwordx2 v[54:55], off, off offset:24
	v_cmp_lt_u32_e64 s[2:3], 3, v0
	s_waitcnt vmcnt(0)
	ds_write_b64 v1, v[54:55]
	s_waitcnt lgkmcnt(0)
	; wave barrier
	s_and_saveexec_b64 s[4:5], s[2:3]
	s_cbranch_execz .LBB24_206
; %bb.197:
	s_andn2_b64 vcc, exec, s[6:7]
	s_cbranch_vccnz .LBB24_199
; %bb.198:
	scratch_load_dwordx2 v[54:55], v21, off
	ds_read_b64 v[56:57], v1
	s_waitcnt vmcnt(0) lgkmcnt(0)
	v_mul_f64 v[54:55], v[54:55], v[56:57]
	s_cbranch_execz .LBB24_200
	s_branch .LBB24_201
.LBB24_199:
                                        ; implicit-def: $vgpr54_vgpr55
.LBB24_200:
	ds_read_b64 v[54:55], v1
.LBB24_201:
	s_and_saveexec_b64 s[8:9], s[0:1]
	s_cbranch_execz .LBB24_205
; %bb.202:
	v_add_u32_e32 v56, -4, v0
	s_movk_i32 s12, 0xf0
	s_mov_b64 s[0:1], 0
.LBB24_203:                             ; =>This Inner Loop Header: Depth=1
	scratch_load_dwordx2 v[58:59], off, s11
	v_mov_b32_e32 v57, s12
	ds_read_b64 v[60:61], v57
	v_add_u32_e32 v56, -1, v56
	s_add_i32 s12, s12, 8
	s_add_i32 s11, s11, 8
	v_cmp_eq_u32_e32 vcc, 0, v56
	s_or_b64 s[0:1], vcc, s[0:1]
	s_waitcnt vmcnt(0) lgkmcnt(0)
	v_fmac_f64_e32 v[54:55], v[58:59], v[60:61]
	s_andn2_b64 exec, exec, s[0:1]
	s_cbranch_execnz .LBB24_203
; %bb.204:
	s_or_b64 exec, exec, s[0:1]
.LBB24_205:
	s_or_b64 exec, exec, s[8:9]
	v_mov_b32_e32 v56, 0
	ds_read_b64 v[56:57], v56 offset:24
	s_waitcnt lgkmcnt(0)
	v_mul_f64 v[54:55], v[54:55], v[56:57]
	scratch_store_dwordx2 off, v[54:55], off offset:24
.LBB24_206:
	s_or_b64 exec, exec, s[4:5]
	scratch_load_dwordx2 v[54:55], off, off offset:16
	v_cmp_lt_u32_e64 s[0:1], 2, v0
	s_waitcnt vmcnt(0)
	ds_write_b64 v1, v[54:55]
	s_waitcnt lgkmcnt(0)
	; wave barrier
	s_and_saveexec_b64 s[4:5], s[0:1]
	s_cbranch_execz .LBB24_216
; %bb.207:
	s_andn2_b64 vcc, exec, s[6:7]
	s_cbranch_vccnz .LBB24_209
; %bb.208:
	scratch_load_dwordx2 v[54:55], v21, off
	ds_read_b64 v[56:57], v1
	s_waitcnt vmcnt(0) lgkmcnt(0)
	v_mul_f64 v[54:55], v[54:55], v[56:57]
	s_cbranch_execz .LBB24_210
	s_branch .LBB24_211
.LBB24_209:
                                        ; implicit-def: $vgpr54_vgpr55
.LBB24_210:
	ds_read_b64 v[54:55], v1
.LBB24_211:
	s_and_saveexec_b64 s[8:9], s[2:3]
	s_cbranch_execz .LBB24_215
; %bb.212:
	s_mov_b32 s11, 24
	v_add_u32_e32 v56, -3, v0
	s_movk_i32 s12, 0xe8
	s_mov_b64 s[2:3], 0
.LBB24_213:                             ; =>This Inner Loop Header: Depth=1
	scratch_load_dwordx2 v[58:59], off, s11
	v_mov_b32_e32 v57, s12
	ds_read_b64 v[60:61], v57
	v_add_u32_e32 v56, -1, v56
	s_add_i32 s12, s12, 8
	s_add_i32 s11, s11, 8
	v_cmp_eq_u32_e32 vcc, 0, v56
	s_or_b64 s[2:3], vcc, s[2:3]
	s_waitcnt vmcnt(0) lgkmcnt(0)
	v_fmac_f64_e32 v[54:55], v[58:59], v[60:61]
	s_andn2_b64 exec, exec, s[2:3]
	s_cbranch_execnz .LBB24_213
; %bb.214:
	s_or_b64 exec, exec, s[2:3]
.LBB24_215:
	s_or_b64 exec, exec, s[8:9]
	v_mov_b32_e32 v56, 0
	ds_read_b64 v[56:57], v56 offset:16
	s_waitcnt lgkmcnt(0)
	v_mul_f64 v[54:55], v[54:55], v[56:57]
	scratch_store_dwordx2 off, v[54:55], off offset:16
.LBB24_216:
	s_or_b64 exec, exec, s[4:5]
	scratch_load_dwordx2 v[54:55], off, off offset:8
	v_cmp_lt_u32_e64 s[2:3], 1, v0
	s_waitcnt vmcnt(0)
	ds_write_b64 v1, v[54:55]
	s_waitcnt lgkmcnt(0)
	; wave barrier
	s_and_saveexec_b64 s[4:5], s[2:3]
	s_cbranch_execz .LBB24_226
; %bb.217:
	s_andn2_b64 vcc, exec, s[6:7]
	s_cbranch_vccnz .LBB24_219
; %bb.218:
	scratch_load_dwordx2 v[54:55], v21, off
	ds_read_b64 v[56:57], v1
	s_waitcnt vmcnt(0) lgkmcnt(0)
	v_mul_f64 v[54:55], v[54:55], v[56:57]
	s_cbranch_execz .LBB24_220
	s_branch .LBB24_221
.LBB24_219:
                                        ; implicit-def: $vgpr54_vgpr55
.LBB24_220:
	ds_read_b64 v[54:55], v1
.LBB24_221:
	s_and_saveexec_b64 s[8:9], s[0:1]
	s_cbranch_execz .LBB24_225
; %bb.222:
	v_add_u32_e32 v56, -2, v0
	s_movk_i32 s11, 0xe0
	s_mov_b64 s[0:1], 0
.LBB24_223:                             ; =>This Inner Loop Header: Depth=1
	scratch_load_dwordx2 v[58:59], off, s10
	v_mov_b32_e32 v57, s11
	ds_read_b64 v[60:61], v57
	v_add_u32_e32 v56, -1, v56
	s_add_i32 s11, s11, 8
	s_add_i32 s10, s10, 8
	v_cmp_eq_u32_e32 vcc, 0, v56
	s_or_b64 s[0:1], vcc, s[0:1]
	s_waitcnt vmcnt(0) lgkmcnt(0)
	v_fmac_f64_e32 v[54:55], v[58:59], v[60:61]
	s_andn2_b64 exec, exec, s[0:1]
	s_cbranch_execnz .LBB24_223
; %bb.224:
	s_or_b64 exec, exec, s[0:1]
.LBB24_225:
	s_or_b64 exec, exec, s[8:9]
	v_mov_b32_e32 v56, 0
	ds_read_b64 v[56:57], v56 offset:8
	s_waitcnt lgkmcnt(0)
	v_mul_f64 v[54:55], v[54:55], v[56:57]
	scratch_store_dwordx2 off, v[54:55], off offset:8
.LBB24_226:
	s_or_b64 exec, exec, s[4:5]
	scratch_load_dwordx2 v[54:55], off, off
	v_cmp_ne_u32_e32 vcc, 0, v0
	s_waitcnt vmcnt(0)
	ds_write_b64 v1, v[54:55]
	s_waitcnt lgkmcnt(0)
	; wave barrier
	s_and_saveexec_b64 s[0:1], vcc
	s_cbranch_execz .LBB24_236
; %bb.227:
	s_andn2_b64 vcc, exec, s[6:7]
	s_cbranch_vccnz .LBB24_229
; %bb.228:
	scratch_load_dwordx2 v[54:55], v21, off
	ds_read_b64 v[56:57], v1
	s_waitcnt vmcnt(0) lgkmcnt(0)
	v_mul_f64 v[54:55], v[54:55], v[56:57]
	s_cbranch_execz .LBB24_230
	s_branch .LBB24_231
.LBB24_229:
                                        ; implicit-def: $vgpr54_vgpr55
.LBB24_230:
	ds_read_b64 v[54:55], v1
.LBB24_231:
	s_and_saveexec_b64 s[4:5], s[2:3]
	s_cbranch_execz .LBB24_235
; %bb.232:
	s_or_b32 s8, 0, 8
	v_add_u32_e32 v56, -1, v0
	s_movk_i32 s9, 0xd8
	s_mov_b64 s[2:3], 0
.LBB24_233:                             ; =>This Inner Loop Header: Depth=1
	scratch_load_dwordx2 v[58:59], off, s8
	v_mov_b32_e32 v57, s9
	ds_read_b64 v[60:61], v57
	v_add_u32_e32 v56, -1, v56
	s_add_i32 s9, s9, 8
	s_add_i32 s8, s8, 8
	v_cmp_eq_u32_e32 vcc, 0, v56
	s_or_b64 s[2:3], vcc, s[2:3]
	s_waitcnt vmcnt(0) lgkmcnt(0)
	v_fmac_f64_e32 v[54:55], v[58:59], v[60:61]
	s_andn2_b64 exec, exec, s[2:3]
	s_cbranch_execnz .LBB24_233
; %bb.234:
	s_or_b64 exec, exec, s[2:3]
.LBB24_235:
	s_or_b64 exec, exec, s[4:5]
	v_mov_b32_e32 v56, 0
	ds_read_b64 v[56:57], v56
	s_waitcnt lgkmcnt(0)
	v_mul_f64 v[54:55], v[54:55], v[56:57]
	scratch_store_dwordx2 off, v[54:55], off
.LBB24_236:
	s_or_b64 exec, exec, s[0:1]
	s_mov_b64 s[0:1], 0
.LBB24_237:
	s_and_b64 vcc, exec, s[0:1]
	s_cbranch_vccz .LBB24_469
; %bb.238:
	scratch_load_dwordx2 v[54:55], off, off offset:8
	v_cmp_eq_u32_e64 s[2:3], 0, v0
	s_waitcnt vmcnt(0)
	ds_write_b64 v1, v[54:55]
	s_waitcnt lgkmcnt(0)
	; wave barrier
	s_and_saveexec_b64 s[0:1], s[2:3]
	s_cbranch_execz .LBB24_244
; %bb.239:
	s_and_b64 vcc, exec, s[6:7]
	s_cbranch_vccz .LBB24_241
; %bb.240:
	scratch_load_dwordx2 v[54:55], v21, off
	ds_read_b64 v[56:57], v1
	s_waitcnt vmcnt(0) lgkmcnt(0)
	v_mul_f64 v[54:55], v[54:55], v[56:57]
	s_cbranch_execz .LBB24_242
	s_branch .LBB24_243
.LBB24_241:
                                        ; implicit-def: $vgpr54_vgpr55
.LBB24_242:
	ds_read_b64 v[54:55], v1
.LBB24_243:
	v_mov_b32_e32 v56, 0
	ds_read_b64 v[56:57], v56 offset:8
	s_waitcnt lgkmcnt(0)
	v_mul_f64 v[54:55], v[54:55], v[56:57]
	scratch_store_dwordx2 off, v[54:55], off offset:8
.LBB24_244:
	s_or_b64 exec, exec, s[0:1]
	scratch_load_dwordx2 v[54:55], off, off offset:16
	v_cndmask_b32_e64 v56, 0, 1, s[6:7]
	v_cmp_gt_u32_e32 vcc, 2, v0
	v_cmp_ne_u32_e64 s[0:1], 1, v56
	s_waitcnt vmcnt(0)
	ds_write_b64 v1, v[54:55]
	s_waitcnt lgkmcnt(0)
	; wave barrier
	s_and_saveexec_b64 s[4:5], vcc
	s_cbranch_execz .LBB24_250
; %bb.245:
	s_and_b64 vcc, exec, s[0:1]
	s_cbranch_vccnz .LBB24_247
; %bb.246:
	scratch_load_dwordx2 v[54:55], v21, off
	ds_read_b64 v[56:57], v1
	s_waitcnt vmcnt(0) lgkmcnt(0)
	v_mul_f64 v[54:55], v[54:55], v[56:57]
	s_cbranch_execz .LBB24_248
	s_branch .LBB24_249
.LBB24_247:
                                        ; implicit-def: $vgpr54_vgpr55
.LBB24_248:
	ds_read_b64 v[54:55], v1
.LBB24_249:
	scratch_load_dwordx2 v[60:61], off, off offset:8
	v_mov_b32_e32 v56, 0
	ds_read2_b64 v[56:59], v56 offset0:2 offset1:27
	s_waitcnt vmcnt(0) lgkmcnt(0)
	v_fma_f64 v[58:59], v[60:61], v[58:59], v[54:55]
	v_cndmask_b32_e64 v55, v55, v59, s[2:3]
	v_cndmask_b32_e64 v54, v54, v58, s[2:3]
	v_mul_f64 v[54:55], v[54:55], v[56:57]
	scratch_store_dwordx2 off, v[54:55], off offset:16
.LBB24_250:
	s_or_b64 exec, exec, s[4:5]
	scratch_load_dwordx2 v[54:55], off, off offset:24
	v_cmp_gt_u32_e32 vcc, 3, v0
	s_waitcnt vmcnt(0)
	ds_write_b64 v1, v[54:55]
	s_waitcnt lgkmcnt(0)
	; wave barrier
	s_and_saveexec_b64 s[4:5], vcc
	s_cbranch_execz .LBB24_258
; %bb.251:
	s_and_b64 vcc, exec, s[0:1]
	s_cbranch_vccnz .LBB24_253
; %bb.252:
	scratch_load_dwordx2 v[54:55], v21, off
	ds_read_b64 v[56:57], v1
	s_waitcnt vmcnt(0) lgkmcnt(0)
	v_mul_f64 v[54:55], v[54:55], v[56:57]
	s_cbranch_execz .LBB24_254
	s_branch .LBB24_255
.LBB24_253:
                                        ; implicit-def: $vgpr54_vgpr55
.LBB24_254:
	ds_read_b64 v[54:55], v1
.LBB24_255:
	v_cmp_ne_u32_e32 vcc, 2, v0
	s_and_saveexec_b64 s[6:7], vcc
	s_cbranch_execz .LBB24_257
; %bb.256:
	scratch_load_dwordx2 v[56:57], v21, off offset:8
	ds_read_b64 v[58:59], v1 offset:8
	s_waitcnt vmcnt(0) lgkmcnt(0)
	v_fmac_f64_e32 v[54:55], v[56:57], v[58:59]
	scratch_load_dwordx2 v[56:57], off, off offset:16
	v_mov_b32_e32 v58, 0
	ds_read_b64 v[58:59], v58 offset:224
	s_waitcnt vmcnt(0) lgkmcnt(0)
	v_fma_f64 v[56:57], v[56:57], v[58:59], v[54:55]
	v_cndmask_b32_e64 v55, v55, v57, s[2:3]
	v_cndmask_b32_e64 v54, v54, v56, s[2:3]
.LBB24_257:
	s_or_b64 exec, exec, s[6:7]
	v_mov_b32_e32 v56, 0
	ds_read_b64 v[56:57], v56 offset:24
	s_waitcnt lgkmcnt(0)
	v_mul_f64 v[54:55], v[54:55], v[56:57]
	scratch_store_dwordx2 off, v[54:55], off offset:24
.LBB24_258:
	s_or_b64 exec, exec, s[4:5]
	scratch_load_dwordx2 v[54:55], off, off offset:32
	v_cmp_gt_u32_e32 vcc, 4, v0
	s_waitcnt vmcnt(0)
	ds_write_b64 v1, v[54:55]
	s_waitcnt lgkmcnt(0)
	; wave barrier
	s_and_saveexec_b64 s[2:3], vcc
	s_cbranch_execz .LBB24_268
; %bb.259:
	s_and_b64 vcc, exec, s[0:1]
	s_cbranch_vccnz .LBB24_261
; %bb.260:
	scratch_load_dwordx2 v[54:55], v21, off
	ds_read_b64 v[56:57], v1
	s_waitcnt vmcnt(0) lgkmcnt(0)
	v_mul_f64 v[54:55], v[54:55], v[56:57]
	s_cbranch_execz .LBB24_262
	s_branch .LBB24_263
.LBB24_261:
                                        ; implicit-def: $vgpr54_vgpr55
.LBB24_262:
	ds_read_b64 v[54:55], v1
.LBB24_263:
	v_cmp_ne_u32_e32 vcc, 3, v0
	s_and_saveexec_b64 s[4:5], vcc
	s_cbranch_execz .LBB24_267
; %bb.264:
	s_mov_b32 s6, 0
	v_add_u32_e32 v56, 0xd8, v20
	v_add3_u32 v57, v20, s6, 8
	s_mov_b64 s[6:7], 0
	v_mov_b32_e32 v58, v0
.LBB24_265:                             ; =>This Inner Loop Header: Depth=1
	scratch_load_dwordx2 v[60:61], v57, off
	ds_read_b64 v[62:63], v56
	v_add_u32_e32 v58, 1, v58
	v_cmp_lt_u32_e32 vcc, 2, v58
	v_add_u32_e32 v56, 8, v56
	v_add_u32_e32 v57, 8, v57
	s_or_b64 s[6:7], vcc, s[6:7]
	s_waitcnt vmcnt(0) lgkmcnt(0)
	v_fmac_f64_e32 v[54:55], v[60:61], v[62:63]
	s_andn2_b64 exec, exec, s[6:7]
	s_cbranch_execnz .LBB24_265
; %bb.266:
	s_or_b64 exec, exec, s[6:7]
.LBB24_267:
	s_or_b64 exec, exec, s[4:5]
	v_mov_b32_e32 v56, 0
	ds_read_b64 v[56:57], v56 offset:32
	s_waitcnt lgkmcnt(0)
	v_mul_f64 v[54:55], v[54:55], v[56:57]
	scratch_store_dwordx2 off, v[54:55], off offset:32
.LBB24_268:
	s_or_b64 exec, exec, s[2:3]
	scratch_load_dwordx2 v[54:55], off, off offset:40
	v_cmp_gt_u32_e32 vcc, 5, v0
	s_waitcnt vmcnt(0)
	ds_write_b64 v1, v[54:55]
	s_waitcnt lgkmcnt(0)
	; wave barrier
	s_and_saveexec_b64 s[2:3], vcc
	s_cbranch_execz .LBB24_278
; %bb.269:
	s_and_b64 vcc, exec, s[0:1]
	s_cbranch_vccnz .LBB24_271
; %bb.270:
	scratch_load_dwordx2 v[54:55], v21, off
	ds_read_b64 v[56:57], v1
	s_waitcnt vmcnt(0) lgkmcnt(0)
	v_mul_f64 v[54:55], v[54:55], v[56:57]
	s_cbranch_execz .LBB24_272
	s_branch .LBB24_273
.LBB24_271:
                                        ; implicit-def: $vgpr54_vgpr55
.LBB24_272:
	ds_read_b64 v[54:55], v1
.LBB24_273:
	v_cmp_ne_u32_e32 vcc, 4, v0
	s_and_saveexec_b64 s[4:5], vcc
	s_cbranch_execz .LBB24_277
; %bb.274:
	s_mov_b32 s6, 0
	v_add_u32_e32 v56, 0xd8, v20
	v_add3_u32 v57, v20, s6, 8
	s_mov_b64 s[6:7], 0
	v_mov_b32_e32 v58, v0
.LBB24_275:                             ; =>This Inner Loop Header: Depth=1
	scratch_load_dwordx2 v[60:61], v57, off
	ds_read_b64 v[62:63], v56
	v_add_u32_e32 v58, 1, v58
	v_cmp_lt_u32_e32 vcc, 3, v58
	v_add_u32_e32 v56, 8, v56
	v_add_u32_e32 v57, 8, v57
	s_or_b64 s[6:7], vcc, s[6:7]
	s_waitcnt vmcnt(0) lgkmcnt(0)
	v_fmac_f64_e32 v[54:55], v[60:61], v[62:63]
	s_andn2_b64 exec, exec, s[6:7]
	s_cbranch_execnz .LBB24_275
; %bb.276:
	s_or_b64 exec, exec, s[6:7]
.LBB24_277:
	s_or_b64 exec, exec, s[4:5]
	v_mov_b32_e32 v56, 0
	ds_read_b64 v[56:57], v56 offset:40
	s_waitcnt lgkmcnt(0)
	v_mul_f64 v[54:55], v[54:55], v[56:57]
	scratch_store_dwordx2 off, v[54:55], off offset:40
.LBB24_278:
	s_or_b64 exec, exec, s[2:3]
	scratch_load_dwordx2 v[54:55], off, off offset:48
	v_cmp_gt_u32_e32 vcc, 6, v0
	s_waitcnt vmcnt(0)
	ds_write_b64 v1, v[54:55]
	s_waitcnt lgkmcnt(0)
	; wave barrier
	s_and_saveexec_b64 s[2:3], vcc
	s_cbranch_execz .LBB24_288
; %bb.279:
	s_and_b64 vcc, exec, s[0:1]
	s_cbranch_vccnz .LBB24_281
; %bb.280:
	scratch_load_dwordx2 v[54:55], v21, off
	ds_read_b64 v[56:57], v1
	s_waitcnt vmcnt(0) lgkmcnt(0)
	v_mul_f64 v[54:55], v[54:55], v[56:57]
	s_cbranch_execz .LBB24_282
	s_branch .LBB24_283
.LBB24_281:
                                        ; implicit-def: $vgpr54_vgpr55
.LBB24_282:
	ds_read_b64 v[54:55], v1
.LBB24_283:
	v_cmp_ne_u32_e32 vcc, 5, v0
	s_and_saveexec_b64 s[4:5], vcc
	s_cbranch_execz .LBB24_287
; %bb.284:
	s_mov_b32 s6, 0
	v_add_u32_e32 v56, 0xd8, v20
	v_add3_u32 v57, v20, s6, 8
	s_mov_b64 s[6:7], 0
	v_mov_b32_e32 v58, v0
.LBB24_285:                             ; =>This Inner Loop Header: Depth=1
	scratch_load_dwordx2 v[60:61], v57, off
	ds_read_b64 v[62:63], v56
	v_add_u32_e32 v58, 1, v58
	v_cmp_lt_u32_e32 vcc, 4, v58
	v_add_u32_e32 v56, 8, v56
	v_add_u32_e32 v57, 8, v57
	s_or_b64 s[6:7], vcc, s[6:7]
	s_waitcnt vmcnt(0) lgkmcnt(0)
	v_fmac_f64_e32 v[54:55], v[60:61], v[62:63]
	s_andn2_b64 exec, exec, s[6:7]
	s_cbranch_execnz .LBB24_285
; %bb.286:
	s_or_b64 exec, exec, s[6:7]
.LBB24_287:
	s_or_b64 exec, exec, s[4:5]
	v_mov_b32_e32 v56, 0
	ds_read_b64 v[56:57], v56 offset:48
	s_waitcnt lgkmcnt(0)
	v_mul_f64 v[54:55], v[54:55], v[56:57]
	scratch_store_dwordx2 off, v[54:55], off offset:48
.LBB24_288:
	s_or_b64 exec, exec, s[2:3]
	scratch_load_dwordx2 v[54:55], off, off offset:56
	v_cmp_gt_u32_e32 vcc, 7, v0
	s_waitcnt vmcnt(0)
	ds_write_b64 v1, v[54:55]
	s_waitcnt lgkmcnt(0)
	; wave barrier
	s_and_saveexec_b64 s[2:3], vcc
	s_cbranch_execz .LBB24_298
; %bb.289:
	s_and_b64 vcc, exec, s[0:1]
	s_cbranch_vccnz .LBB24_291
; %bb.290:
	scratch_load_dwordx2 v[54:55], v21, off
	ds_read_b64 v[56:57], v1
	s_waitcnt vmcnt(0) lgkmcnt(0)
	v_mul_f64 v[54:55], v[54:55], v[56:57]
	s_cbranch_execz .LBB24_292
	s_branch .LBB24_293
.LBB24_291:
                                        ; implicit-def: $vgpr54_vgpr55
.LBB24_292:
	ds_read_b64 v[54:55], v1
.LBB24_293:
	v_cmp_ne_u32_e32 vcc, 6, v0
	s_and_saveexec_b64 s[4:5], vcc
	s_cbranch_execz .LBB24_297
; %bb.294:
	s_mov_b32 s6, 0
	v_add_u32_e32 v56, 0xd8, v20
	v_add3_u32 v57, v20, s6, 8
	s_mov_b64 s[6:7], 0
	v_mov_b32_e32 v58, v0
.LBB24_295:                             ; =>This Inner Loop Header: Depth=1
	scratch_load_dwordx2 v[60:61], v57, off
	ds_read_b64 v[62:63], v56
	v_add_u32_e32 v58, 1, v58
	v_cmp_lt_u32_e32 vcc, 5, v58
	v_add_u32_e32 v56, 8, v56
	v_add_u32_e32 v57, 8, v57
	s_or_b64 s[6:7], vcc, s[6:7]
	s_waitcnt vmcnt(0) lgkmcnt(0)
	v_fmac_f64_e32 v[54:55], v[60:61], v[62:63]
	s_andn2_b64 exec, exec, s[6:7]
	s_cbranch_execnz .LBB24_295
; %bb.296:
	s_or_b64 exec, exec, s[6:7]
.LBB24_297:
	s_or_b64 exec, exec, s[4:5]
	v_mov_b32_e32 v56, 0
	ds_read_b64 v[56:57], v56 offset:56
	s_waitcnt lgkmcnt(0)
	v_mul_f64 v[54:55], v[54:55], v[56:57]
	scratch_store_dwordx2 off, v[54:55], off offset:56
.LBB24_298:
	s_or_b64 exec, exec, s[2:3]
	scratch_load_dwordx2 v[54:55], off, off offset:64
	v_cmp_gt_u32_e32 vcc, 8, v0
	s_waitcnt vmcnt(0)
	ds_write_b64 v1, v[54:55]
	s_waitcnt lgkmcnt(0)
	; wave barrier
	s_and_saveexec_b64 s[2:3], vcc
	s_cbranch_execz .LBB24_308
; %bb.299:
	s_and_b64 vcc, exec, s[0:1]
	s_cbranch_vccnz .LBB24_301
; %bb.300:
	scratch_load_dwordx2 v[54:55], v21, off
	ds_read_b64 v[56:57], v1
	s_waitcnt vmcnt(0) lgkmcnt(0)
	v_mul_f64 v[54:55], v[54:55], v[56:57]
	s_cbranch_execz .LBB24_302
	s_branch .LBB24_303
.LBB24_301:
                                        ; implicit-def: $vgpr54_vgpr55
.LBB24_302:
	ds_read_b64 v[54:55], v1
.LBB24_303:
	v_cmp_ne_u32_e32 vcc, 7, v0
	s_and_saveexec_b64 s[4:5], vcc
	s_cbranch_execz .LBB24_307
; %bb.304:
	s_mov_b32 s6, 0
	v_add_u32_e32 v56, 0xd8, v20
	v_add3_u32 v57, v20, s6, 8
	s_mov_b64 s[6:7], 0
	v_mov_b32_e32 v58, v0
.LBB24_305:                             ; =>This Inner Loop Header: Depth=1
	scratch_load_dwordx2 v[60:61], v57, off
	ds_read_b64 v[62:63], v56
	v_add_u32_e32 v58, 1, v58
	v_cmp_lt_u32_e32 vcc, 6, v58
	v_add_u32_e32 v56, 8, v56
	v_add_u32_e32 v57, 8, v57
	s_or_b64 s[6:7], vcc, s[6:7]
	s_waitcnt vmcnt(0) lgkmcnt(0)
	v_fmac_f64_e32 v[54:55], v[60:61], v[62:63]
	s_andn2_b64 exec, exec, s[6:7]
	s_cbranch_execnz .LBB24_305
; %bb.306:
	s_or_b64 exec, exec, s[6:7]
.LBB24_307:
	s_or_b64 exec, exec, s[4:5]
	v_mov_b32_e32 v56, 0
	ds_read_b64 v[56:57], v56 offset:64
	s_waitcnt lgkmcnt(0)
	v_mul_f64 v[54:55], v[54:55], v[56:57]
	scratch_store_dwordx2 off, v[54:55], off offset:64
.LBB24_308:
	s_or_b64 exec, exec, s[2:3]
	scratch_load_dwordx2 v[54:55], off, off offset:72
	v_cmp_gt_u32_e32 vcc, 9, v0
	s_waitcnt vmcnt(0)
	ds_write_b64 v1, v[54:55]
	s_waitcnt lgkmcnt(0)
	; wave barrier
	s_and_saveexec_b64 s[2:3], vcc
	s_cbranch_execz .LBB24_318
; %bb.309:
	s_and_b64 vcc, exec, s[0:1]
	s_cbranch_vccnz .LBB24_311
; %bb.310:
	scratch_load_dwordx2 v[54:55], v21, off
	ds_read_b64 v[56:57], v1
	s_waitcnt vmcnt(0) lgkmcnt(0)
	v_mul_f64 v[54:55], v[54:55], v[56:57]
	s_cbranch_execz .LBB24_312
	s_branch .LBB24_313
.LBB24_311:
                                        ; implicit-def: $vgpr54_vgpr55
.LBB24_312:
	ds_read_b64 v[54:55], v1
.LBB24_313:
	v_cmp_ne_u32_e32 vcc, 8, v0
	s_and_saveexec_b64 s[4:5], vcc
	s_cbranch_execz .LBB24_317
; %bb.314:
	s_mov_b32 s6, 0
	v_add_u32_e32 v56, 0xd8, v20
	v_add3_u32 v57, v20, s6, 8
	s_mov_b64 s[6:7], 0
	v_mov_b32_e32 v58, v0
.LBB24_315:                             ; =>This Inner Loop Header: Depth=1
	scratch_load_dwordx2 v[60:61], v57, off
	ds_read_b64 v[62:63], v56
	v_add_u32_e32 v58, 1, v58
	v_cmp_lt_u32_e32 vcc, 7, v58
	v_add_u32_e32 v56, 8, v56
	v_add_u32_e32 v57, 8, v57
	s_or_b64 s[6:7], vcc, s[6:7]
	s_waitcnt vmcnt(0) lgkmcnt(0)
	v_fmac_f64_e32 v[54:55], v[60:61], v[62:63]
	s_andn2_b64 exec, exec, s[6:7]
	s_cbranch_execnz .LBB24_315
; %bb.316:
	s_or_b64 exec, exec, s[6:7]
.LBB24_317:
	s_or_b64 exec, exec, s[4:5]
	v_mov_b32_e32 v56, 0
	ds_read_b64 v[56:57], v56 offset:72
	s_waitcnt lgkmcnt(0)
	v_mul_f64 v[54:55], v[54:55], v[56:57]
	scratch_store_dwordx2 off, v[54:55], off offset:72
.LBB24_318:
	s_or_b64 exec, exec, s[2:3]
	scratch_load_dwordx2 v[54:55], off, off offset:80
	v_cmp_gt_u32_e32 vcc, 10, v0
	s_waitcnt vmcnt(0)
	ds_write_b64 v1, v[54:55]
	s_waitcnt lgkmcnt(0)
	; wave barrier
	s_and_saveexec_b64 s[2:3], vcc
	s_cbranch_execz .LBB24_328
; %bb.319:
	s_and_b64 vcc, exec, s[0:1]
	s_cbranch_vccnz .LBB24_321
; %bb.320:
	scratch_load_dwordx2 v[54:55], v21, off
	ds_read_b64 v[56:57], v1
	s_waitcnt vmcnt(0) lgkmcnt(0)
	v_mul_f64 v[54:55], v[54:55], v[56:57]
	s_cbranch_execz .LBB24_322
	s_branch .LBB24_323
.LBB24_321:
                                        ; implicit-def: $vgpr54_vgpr55
.LBB24_322:
	ds_read_b64 v[54:55], v1
.LBB24_323:
	v_cmp_ne_u32_e32 vcc, 9, v0
	s_and_saveexec_b64 s[4:5], vcc
	s_cbranch_execz .LBB24_327
; %bb.324:
	s_mov_b32 s6, 0
	v_add_u32_e32 v56, 0xd8, v20
	v_add3_u32 v57, v20, s6, 8
	s_mov_b64 s[6:7], 0
	v_mov_b32_e32 v58, v0
.LBB24_325:                             ; =>This Inner Loop Header: Depth=1
	scratch_load_dwordx2 v[60:61], v57, off
	ds_read_b64 v[62:63], v56
	v_add_u32_e32 v58, 1, v58
	v_cmp_lt_u32_e32 vcc, 8, v58
	v_add_u32_e32 v56, 8, v56
	v_add_u32_e32 v57, 8, v57
	s_or_b64 s[6:7], vcc, s[6:7]
	s_waitcnt vmcnt(0) lgkmcnt(0)
	v_fmac_f64_e32 v[54:55], v[60:61], v[62:63]
	s_andn2_b64 exec, exec, s[6:7]
	s_cbranch_execnz .LBB24_325
; %bb.326:
	s_or_b64 exec, exec, s[6:7]
.LBB24_327:
	s_or_b64 exec, exec, s[4:5]
	v_mov_b32_e32 v56, 0
	ds_read_b64 v[56:57], v56 offset:80
	s_waitcnt lgkmcnt(0)
	v_mul_f64 v[54:55], v[54:55], v[56:57]
	scratch_store_dwordx2 off, v[54:55], off offset:80
.LBB24_328:
	s_or_b64 exec, exec, s[2:3]
	scratch_load_dwordx2 v[54:55], off, off offset:88
	v_cmp_gt_u32_e32 vcc, 11, v0
	s_waitcnt vmcnt(0)
	ds_write_b64 v1, v[54:55]
	s_waitcnt lgkmcnt(0)
	; wave barrier
	s_and_saveexec_b64 s[2:3], vcc
	s_cbranch_execz .LBB24_338
; %bb.329:
	s_and_b64 vcc, exec, s[0:1]
	s_cbranch_vccnz .LBB24_331
; %bb.330:
	scratch_load_dwordx2 v[54:55], v21, off
	ds_read_b64 v[56:57], v1
	s_waitcnt vmcnt(0) lgkmcnt(0)
	v_mul_f64 v[54:55], v[54:55], v[56:57]
	s_cbranch_execz .LBB24_332
	s_branch .LBB24_333
.LBB24_331:
                                        ; implicit-def: $vgpr54_vgpr55
.LBB24_332:
	ds_read_b64 v[54:55], v1
.LBB24_333:
	v_cmp_ne_u32_e32 vcc, 10, v0
	s_and_saveexec_b64 s[4:5], vcc
	s_cbranch_execz .LBB24_337
; %bb.334:
	s_mov_b32 s6, 0
	v_add_u32_e32 v56, 0xd8, v20
	v_add3_u32 v57, v20, s6, 8
	s_mov_b64 s[6:7], 0
	v_mov_b32_e32 v58, v0
.LBB24_335:                             ; =>This Inner Loop Header: Depth=1
	scratch_load_dwordx2 v[60:61], v57, off
	ds_read_b64 v[62:63], v56
	v_add_u32_e32 v58, 1, v58
	v_cmp_lt_u32_e32 vcc, 9, v58
	v_add_u32_e32 v56, 8, v56
	v_add_u32_e32 v57, 8, v57
	s_or_b64 s[6:7], vcc, s[6:7]
	s_waitcnt vmcnt(0) lgkmcnt(0)
	v_fmac_f64_e32 v[54:55], v[60:61], v[62:63]
	s_andn2_b64 exec, exec, s[6:7]
	s_cbranch_execnz .LBB24_335
; %bb.336:
	s_or_b64 exec, exec, s[6:7]
.LBB24_337:
	s_or_b64 exec, exec, s[4:5]
	v_mov_b32_e32 v56, 0
	ds_read_b64 v[56:57], v56 offset:88
	s_waitcnt lgkmcnt(0)
	v_mul_f64 v[54:55], v[54:55], v[56:57]
	scratch_store_dwordx2 off, v[54:55], off offset:88
.LBB24_338:
	s_or_b64 exec, exec, s[2:3]
	scratch_load_dwordx2 v[54:55], off, off offset:96
	v_cmp_gt_u32_e32 vcc, 12, v0
	s_waitcnt vmcnt(0)
	ds_write_b64 v1, v[54:55]
	s_waitcnt lgkmcnt(0)
	; wave barrier
	s_and_saveexec_b64 s[2:3], vcc
	s_cbranch_execz .LBB24_348
; %bb.339:
	s_and_b64 vcc, exec, s[0:1]
	s_cbranch_vccnz .LBB24_341
; %bb.340:
	scratch_load_dwordx2 v[54:55], v21, off
	ds_read_b64 v[56:57], v1
	s_waitcnt vmcnt(0) lgkmcnt(0)
	v_mul_f64 v[54:55], v[54:55], v[56:57]
	s_cbranch_execz .LBB24_342
	s_branch .LBB24_343
.LBB24_341:
                                        ; implicit-def: $vgpr54_vgpr55
.LBB24_342:
	ds_read_b64 v[54:55], v1
.LBB24_343:
	v_cmp_ne_u32_e32 vcc, 11, v0
	s_and_saveexec_b64 s[4:5], vcc
	s_cbranch_execz .LBB24_347
; %bb.344:
	s_mov_b32 s6, 0
	v_add_u32_e32 v56, 0xd8, v20
	v_add3_u32 v57, v20, s6, 8
	s_mov_b64 s[6:7], 0
	v_mov_b32_e32 v58, v0
.LBB24_345:                             ; =>This Inner Loop Header: Depth=1
	scratch_load_dwordx2 v[60:61], v57, off
	ds_read_b64 v[62:63], v56
	v_add_u32_e32 v58, 1, v58
	v_cmp_lt_u32_e32 vcc, 10, v58
	v_add_u32_e32 v56, 8, v56
	v_add_u32_e32 v57, 8, v57
	s_or_b64 s[6:7], vcc, s[6:7]
	s_waitcnt vmcnt(0) lgkmcnt(0)
	v_fmac_f64_e32 v[54:55], v[60:61], v[62:63]
	s_andn2_b64 exec, exec, s[6:7]
	s_cbranch_execnz .LBB24_345
; %bb.346:
	s_or_b64 exec, exec, s[6:7]
.LBB24_347:
	s_or_b64 exec, exec, s[4:5]
	v_mov_b32_e32 v56, 0
	ds_read_b64 v[56:57], v56 offset:96
	s_waitcnt lgkmcnt(0)
	v_mul_f64 v[54:55], v[54:55], v[56:57]
	scratch_store_dwordx2 off, v[54:55], off offset:96
.LBB24_348:
	s_or_b64 exec, exec, s[2:3]
	scratch_load_dwordx2 v[54:55], off, off offset:104
	v_cmp_gt_u32_e32 vcc, 13, v0
	s_waitcnt vmcnt(0)
	ds_write_b64 v1, v[54:55]
	s_waitcnt lgkmcnt(0)
	; wave barrier
	s_and_saveexec_b64 s[2:3], vcc
	s_cbranch_execz .LBB24_358
; %bb.349:
	s_and_b64 vcc, exec, s[0:1]
	s_cbranch_vccnz .LBB24_351
; %bb.350:
	scratch_load_dwordx2 v[54:55], v21, off
	ds_read_b64 v[56:57], v1
	s_waitcnt vmcnt(0) lgkmcnt(0)
	v_mul_f64 v[54:55], v[54:55], v[56:57]
	s_cbranch_execz .LBB24_352
	s_branch .LBB24_353
.LBB24_351:
                                        ; implicit-def: $vgpr54_vgpr55
.LBB24_352:
	ds_read_b64 v[54:55], v1
.LBB24_353:
	v_cmp_ne_u32_e32 vcc, 12, v0
	s_and_saveexec_b64 s[4:5], vcc
	s_cbranch_execz .LBB24_357
; %bb.354:
	s_mov_b32 s6, 0
	v_add_u32_e32 v56, 0xd8, v20
	v_add3_u32 v57, v20, s6, 8
	s_mov_b64 s[6:7], 0
	v_mov_b32_e32 v58, v0
.LBB24_355:                             ; =>This Inner Loop Header: Depth=1
	scratch_load_dwordx2 v[60:61], v57, off
	ds_read_b64 v[62:63], v56
	v_add_u32_e32 v58, 1, v58
	v_cmp_lt_u32_e32 vcc, 11, v58
	v_add_u32_e32 v56, 8, v56
	v_add_u32_e32 v57, 8, v57
	s_or_b64 s[6:7], vcc, s[6:7]
	s_waitcnt vmcnt(0) lgkmcnt(0)
	v_fmac_f64_e32 v[54:55], v[60:61], v[62:63]
	s_andn2_b64 exec, exec, s[6:7]
	s_cbranch_execnz .LBB24_355
; %bb.356:
	s_or_b64 exec, exec, s[6:7]
.LBB24_357:
	s_or_b64 exec, exec, s[4:5]
	v_mov_b32_e32 v56, 0
	ds_read_b64 v[56:57], v56 offset:104
	s_waitcnt lgkmcnt(0)
	v_mul_f64 v[54:55], v[54:55], v[56:57]
	scratch_store_dwordx2 off, v[54:55], off offset:104
.LBB24_358:
	s_or_b64 exec, exec, s[2:3]
	scratch_load_dwordx2 v[54:55], off, off offset:112
	v_cmp_gt_u32_e32 vcc, 14, v0
	s_waitcnt vmcnt(0)
	ds_write_b64 v1, v[54:55]
	s_waitcnt lgkmcnt(0)
	; wave barrier
	s_and_saveexec_b64 s[2:3], vcc
	s_cbranch_execz .LBB24_368
; %bb.359:
	s_and_b64 vcc, exec, s[0:1]
	s_cbranch_vccnz .LBB24_361
; %bb.360:
	scratch_load_dwordx2 v[54:55], v21, off
	ds_read_b64 v[56:57], v1
	s_waitcnt vmcnt(0) lgkmcnt(0)
	v_mul_f64 v[54:55], v[54:55], v[56:57]
	s_cbranch_execz .LBB24_362
	s_branch .LBB24_363
.LBB24_361:
                                        ; implicit-def: $vgpr54_vgpr55
.LBB24_362:
	ds_read_b64 v[54:55], v1
.LBB24_363:
	v_cmp_ne_u32_e32 vcc, 13, v0
	s_and_saveexec_b64 s[4:5], vcc
	s_cbranch_execz .LBB24_367
; %bb.364:
	s_mov_b32 s6, 0
	v_add_u32_e32 v56, 0xd8, v20
	v_add3_u32 v57, v20, s6, 8
	s_mov_b64 s[6:7], 0
	v_mov_b32_e32 v58, v0
.LBB24_365:                             ; =>This Inner Loop Header: Depth=1
	scratch_load_dwordx2 v[60:61], v57, off
	ds_read_b64 v[62:63], v56
	v_add_u32_e32 v58, 1, v58
	v_cmp_lt_u32_e32 vcc, 12, v58
	v_add_u32_e32 v56, 8, v56
	v_add_u32_e32 v57, 8, v57
	s_or_b64 s[6:7], vcc, s[6:7]
	s_waitcnt vmcnt(0) lgkmcnt(0)
	v_fmac_f64_e32 v[54:55], v[60:61], v[62:63]
	s_andn2_b64 exec, exec, s[6:7]
	s_cbranch_execnz .LBB24_365
; %bb.366:
	s_or_b64 exec, exec, s[6:7]
.LBB24_367:
	s_or_b64 exec, exec, s[4:5]
	v_mov_b32_e32 v56, 0
	ds_read_b64 v[56:57], v56 offset:112
	s_waitcnt lgkmcnt(0)
	v_mul_f64 v[54:55], v[54:55], v[56:57]
	scratch_store_dwordx2 off, v[54:55], off offset:112
.LBB24_368:
	s_or_b64 exec, exec, s[2:3]
	scratch_load_dwordx2 v[54:55], off, off offset:120
	v_cmp_gt_u32_e32 vcc, 15, v0
	s_waitcnt vmcnt(0)
	ds_write_b64 v1, v[54:55]
	s_waitcnt lgkmcnt(0)
	; wave barrier
	s_and_saveexec_b64 s[2:3], vcc
	s_cbranch_execz .LBB24_378
; %bb.369:
	s_and_b64 vcc, exec, s[0:1]
	s_cbranch_vccnz .LBB24_371
; %bb.370:
	scratch_load_dwordx2 v[54:55], v21, off
	ds_read_b64 v[56:57], v1
	s_waitcnt vmcnt(0) lgkmcnt(0)
	v_mul_f64 v[54:55], v[54:55], v[56:57]
	s_cbranch_execz .LBB24_372
	s_branch .LBB24_373
.LBB24_371:
                                        ; implicit-def: $vgpr54_vgpr55
.LBB24_372:
	ds_read_b64 v[54:55], v1
.LBB24_373:
	v_cmp_ne_u32_e32 vcc, 14, v0
	s_and_saveexec_b64 s[4:5], vcc
	s_cbranch_execz .LBB24_377
; %bb.374:
	s_mov_b32 s6, 0
	v_add_u32_e32 v56, 0xd8, v20
	v_add3_u32 v57, v20, s6, 8
	s_mov_b64 s[6:7], 0
	v_mov_b32_e32 v58, v0
.LBB24_375:                             ; =>This Inner Loop Header: Depth=1
	scratch_load_dwordx2 v[60:61], v57, off
	ds_read_b64 v[62:63], v56
	v_add_u32_e32 v58, 1, v58
	v_cmp_lt_u32_e32 vcc, 13, v58
	v_add_u32_e32 v56, 8, v56
	v_add_u32_e32 v57, 8, v57
	s_or_b64 s[6:7], vcc, s[6:7]
	s_waitcnt vmcnt(0) lgkmcnt(0)
	v_fmac_f64_e32 v[54:55], v[60:61], v[62:63]
	s_andn2_b64 exec, exec, s[6:7]
	s_cbranch_execnz .LBB24_375
; %bb.376:
	s_or_b64 exec, exec, s[6:7]
.LBB24_377:
	s_or_b64 exec, exec, s[4:5]
	v_mov_b32_e32 v56, 0
	ds_read_b64 v[56:57], v56 offset:120
	s_waitcnt lgkmcnt(0)
	v_mul_f64 v[54:55], v[54:55], v[56:57]
	scratch_store_dwordx2 off, v[54:55], off offset:120
.LBB24_378:
	s_or_b64 exec, exec, s[2:3]
	scratch_load_dwordx2 v[54:55], off, off offset:128
	v_cmp_gt_u32_e32 vcc, 16, v0
	s_waitcnt vmcnt(0)
	ds_write_b64 v1, v[54:55]
	s_waitcnt lgkmcnt(0)
	; wave barrier
	s_and_saveexec_b64 s[2:3], vcc
	s_cbranch_execz .LBB24_388
; %bb.379:
	s_and_b64 vcc, exec, s[0:1]
	s_cbranch_vccnz .LBB24_381
; %bb.380:
	scratch_load_dwordx2 v[54:55], v21, off
	ds_read_b64 v[56:57], v1
	s_waitcnt vmcnt(0) lgkmcnt(0)
	v_mul_f64 v[54:55], v[54:55], v[56:57]
	s_cbranch_execz .LBB24_382
	s_branch .LBB24_383
.LBB24_381:
                                        ; implicit-def: $vgpr54_vgpr55
.LBB24_382:
	ds_read_b64 v[54:55], v1
.LBB24_383:
	v_cmp_ne_u32_e32 vcc, 15, v0
	s_and_saveexec_b64 s[4:5], vcc
	s_cbranch_execz .LBB24_387
; %bb.384:
	s_mov_b32 s6, 0
	v_add_u32_e32 v56, 0xd8, v20
	v_add3_u32 v57, v20, s6, 8
	s_mov_b64 s[6:7], 0
	v_mov_b32_e32 v58, v0
.LBB24_385:                             ; =>This Inner Loop Header: Depth=1
	scratch_load_dwordx2 v[60:61], v57, off
	ds_read_b64 v[62:63], v56
	v_add_u32_e32 v58, 1, v58
	v_cmp_lt_u32_e32 vcc, 14, v58
	v_add_u32_e32 v56, 8, v56
	v_add_u32_e32 v57, 8, v57
	s_or_b64 s[6:7], vcc, s[6:7]
	s_waitcnt vmcnt(0) lgkmcnt(0)
	v_fmac_f64_e32 v[54:55], v[60:61], v[62:63]
	s_andn2_b64 exec, exec, s[6:7]
	s_cbranch_execnz .LBB24_385
; %bb.386:
	s_or_b64 exec, exec, s[6:7]
.LBB24_387:
	s_or_b64 exec, exec, s[4:5]
	v_mov_b32_e32 v56, 0
	ds_read_b64 v[56:57], v56 offset:128
	s_waitcnt lgkmcnt(0)
	v_mul_f64 v[54:55], v[54:55], v[56:57]
	scratch_store_dwordx2 off, v[54:55], off offset:128
.LBB24_388:
	s_or_b64 exec, exec, s[2:3]
	scratch_load_dwordx2 v[54:55], off, off offset:136
	v_cmp_gt_u32_e32 vcc, 17, v0
	s_waitcnt vmcnt(0)
	ds_write_b64 v1, v[54:55]
	s_waitcnt lgkmcnt(0)
	; wave barrier
	s_and_saveexec_b64 s[2:3], vcc
	s_cbranch_execz .LBB24_398
; %bb.389:
	s_and_b64 vcc, exec, s[0:1]
	s_cbranch_vccnz .LBB24_391
; %bb.390:
	scratch_load_dwordx2 v[54:55], v21, off
	ds_read_b64 v[56:57], v1
	s_waitcnt vmcnt(0) lgkmcnt(0)
	v_mul_f64 v[54:55], v[54:55], v[56:57]
	s_cbranch_execz .LBB24_392
	s_branch .LBB24_393
.LBB24_391:
                                        ; implicit-def: $vgpr54_vgpr55
.LBB24_392:
	ds_read_b64 v[54:55], v1
.LBB24_393:
	v_cmp_ne_u32_e32 vcc, 16, v0
	s_and_saveexec_b64 s[4:5], vcc
	s_cbranch_execz .LBB24_397
; %bb.394:
	s_mov_b32 s6, 0
	v_add_u32_e32 v56, 0xd8, v20
	v_add3_u32 v57, v20, s6, 8
	s_mov_b64 s[6:7], 0
	v_mov_b32_e32 v58, v0
.LBB24_395:                             ; =>This Inner Loop Header: Depth=1
	scratch_load_dwordx2 v[60:61], v57, off
	ds_read_b64 v[62:63], v56
	v_add_u32_e32 v58, 1, v58
	v_cmp_lt_u32_e32 vcc, 15, v58
	v_add_u32_e32 v56, 8, v56
	v_add_u32_e32 v57, 8, v57
	s_or_b64 s[6:7], vcc, s[6:7]
	s_waitcnt vmcnt(0) lgkmcnt(0)
	v_fmac_f64_e32 v[54:55], v[60:61], v[62:63]
	s_andn2_b64 exec, exec, s[6:7]
	s_cbranch_execnz .LBB24_395
; %bb.396:
	s_or_b64 exec, exec, s[6:7]
.LBB24_397:
	s_or_b64 exec, exec, s[4:5]
	v_mov_b32_e32 v56, 0
	ds_read_b64 v[56:57], v56 offset:136
	s_waitcnt lgkmcnt(0)
	v_mul_f64 v[54:55], v[54:55], v[56:57]
	scratch_store_dwordx2 off, v[54:55], off offset:136
.LBB24_398:
	s_or_b64 exec, exec, s[2:3]
	scratch_load_dwordx2 v[54:55], off, off offset:144
	v_cmp_gt_u32_e32 vcc, 18, v0
	s_waitcnt vmcnt(0)
	ds_write_b64 v1, v[54:55]
	s_waitcnt lgkmcnt(0)
	; wave barrier
	s_and_saveexec_b64 s[2:3], vcc
	s_cbranch_execz .LBB24_408
; %bb.399:
	s_and_b64 vcc, exec, s[0:1]
	s_cbranch_vccnz .LBB24_401
; %bb.400:
	scratch_load_dwordx2 v[54:55], v21, off
	ds_read_b64 v[56:57], v1
	s_waitcnt vmcnt(0) lgkmcnt(0)
	v_mul_f64 v[54:55], v[54:55], v[56:57]
	s_cbranch_execz .LBB24_402
	s_branch .LBB24_403
.LBB24_401:
                                        ; implicit-def: $vgpr54_vgpr55
.LBB24_402:
	ds_read_b64 v[54:55], v1
.LBB24_403:
	v_cmp_ne_u32_e32 vcc, 17, v0
	s_and_saveexec_b64 s[4:5], vcc
	s_cbranch_execz .LBB24_407
; %bb.404:
	s_mov_b32 s6, 0
	v_add_u32_e32 v56, 0xd8, v20
	v_add3_u32 v57, v20, s6, 8
	s_mov_b64 s[6:7], 0
	v_mov_b32_e32 v58, v0
.LBB24_405:                             ; =>This Inner Loop Header: Depth=1
	scratch_load_dwordx2 v[60:61], v57, off
	ds_read_b64 v[62:63], v56
	v_add_u32_e32 v58, 1, v58
	v_cmp_lt_u32_e32 vcc, 16, v58
	v_add_u32_e32 v56, 8, v56
	v_add_u32_e32 v57, 8, v57
	s_or_b64 s[6:7], vcc, s[6:7]
	s_waitcnt vmcnt(0) lgkmcnt(0)
	v_fmac_f64_e32 v[54:55], v[60:61], v[62:63]
	s_andn2_b64 exec, exec, s[6:7]
	s_cbranch_execnz .LBB24_405
; %bb.406:
	s_or_b64 exec, exec, s[6:7]
.LBB24_407:
	s_or_b64 exec, exec, s[4:5]
	v_mov_b32_e32 v56, 0
	ds_read_b64 v[56:57], v56 offset:144
	s_waitcnt lgkmcnt(0)
	v_mul_f64 v[54:55], v[54:55], v[56:57]
	scratch_store_dwordx2 off, v[54:55], off offset:144
.LBB24_408:
	s_or_b64 exec, exec, s[2:3]
	scratch_load_dwordx2 v[54:55], off, off offset:152
	v_cmp_gt_u32_e32 vcc, 19, v0
	s_waitcnt vmcnt(0)
	ds_write_b64 v1, v[54:55]
	s_waitcnt lgkmcnt(0)
	; wave barrier
	s_and_saveexec_b64 s[2:3], vcc
	s_cbranch_execz .LBB24_418
; %bb.409:
	s_and_b64 vcc, exec, s[0:1]
	s_cbranch_vccnz .LBB24_411
; %bb.410:
	scratch_load_dwordx2 v[54:55], v21, off
	ds_read_b64 v[56:57], v1
	s_waitcnt vmcnt(0) lgkmcnt(0)
	v_mul_f64 v[54:55], v[54:55], v[56:57]
	s_cbranch_execz .LBB24_412
	s_branch .LBB24_413
.LBB24_411:
                                        ; implicit-def: $vgpr54_vgpr55
.LBB24_412:
	ds_read_b64 v[54:55], v1
.LBB24_413:
	v_cmp_ne_u32_e32 vcc, 18, v0
	s_and_saveexec_b64 s[4:5], vcc
	s_cbranch_execz .LBB24_417
; %bb.414:
	s_mov_b32 s6, 0
	v_add_u32_e32 v56, 0xd8, v20
	v_add3_u32 v57, v20, s6, 8
	s_mov_b64 s[6:7], 0
	v_mov_b32_e32 v58, v0
.LBB24_415:                             ; =>This Inner Loop Header: Depth=1
	scratch_load_dwordx2 v[60:61], v57, off
	ds_read_b64 v[62:63], v56
	v_add_u32_e32 v58, 1, v58
	v_cmp_lt_u32_e32 vcc, 17, v58
	v_add_u32_e32 v56, 8, v56
	v_add_u32_e32 v57, 8, v57
	s_or_b64 s[6:7], vcc, s[6:7]
	s_waitcnt vmcnt(0) lgkmcnt(0)
	v_fmac_f64_e32 v[54:55], v[60:61], v[62:63]
	s_andn2_b64 exec, exec, s[6:7]
	s_cbranch_execnz .LBB24_415
; %bb.416:
	s_or_b64 exec, exec, s[6:7]
.LBB24_417:
	s_or_b64 exec, exec, s[4:5]
	v_mov_b32_e32 v56, 0
	ds_read_b64 v[56:57], v56 offset:152
	s_waitcnt lgkmcnt(0)
	v_mul_f64 v[54:55], v[54:55], v[56:57]
	scratch_store_dwordx2 off, v[54:55], off offset:152
.LBB24_418:
	s_or_b64 exec, exec, s[2:3]
	scratch_load_dwordx2 v[54:55], off, off offset:160
	v_cmp_gt_u32_e32 vcc, 20, v0
	s_waitcnt vmcnt(0)
	ds_write_b64 v1, v[54:55]
	s_waitcnt lgkmcnt(0)
	; wave barrier
	s_and_saveexec_b64 s[2:3], vcc
	s_cbranch_execz .LBB24_428
; %bb.419:
	s_and_b64 vcc, exec, s[0:1]
	s_cbranch_vccnz .LBB24_421
; %bb.420:
	scratch_load_dwordx2 v[54:55], v21, off
	ds_read_b64 v[56:57], v1
	s_waitcnt vmcnt(0) lgkmcnt(0)
	v_mul_f64 v[54:55], v[54:55], v[56:57]
	s_cbranch_execz .LBB24_422
	s_branch .LBB24_423
.LBB24_421:
                                        ; implicit-def: $vgpr54_vgpr55
.LBB24_422:
	ds_read_b64 v[54:55], v1
.LBB24_423:
	v_cmp_ne_u32_e32 vcc, 19, v0
	s_and_saveexec_b64 s[4:5], vcc
	s_cbranch_execz .LBB24_427
; %bb.424:
	s_mov_b32 s6, 0
	v_add_u32_e32 v56, 0xd8, v20
	v_add3_u32 v57, v20, s6, 8
	s_mov_b64 s[6:7], 0
	v_mov_b32_e32 v58, v0
.LBB24_425:                             ; =>This Inner Loop Header: Depth=1
	scratch_load_dwordx2 v[60:61], v57, off
	ds_read_b64 v[62:63], v56
	v_add_u32_e32 v58, 1, v58
	v_cmp_lt_u32_e32 vcc, 18, v58
	v_add_u32_e32 v56, 8, v56
	v_add_u32_e32 v57, 8, v57
	s_or_b64 s[6:7], vcc, s[6:7]
	s_waitcnt vmcnt(0) lgkmcnt(0)
	v_fmac_f64_e32 v[54:55], v[60:61], v[62:63]
	s_andn2_b64 exec, exec, s[6:7]
	s_cbranch_execnz .LBB24_425
; %bb.426:
	s_or_b64 exec, exec, s[6:7]
.LBB24_427:
	s_or_b64 exec, exec, s[4:5]
	v_mov_b32_e32 v56, 0
	ds_read_b64 v[56:57], v56 offset:160
	s_waitcnt lgkmcnt(0)
	v_mul_f64 v[54:55], v[54:55], v[56:57]
	scratch_store_dwordx2 off, v[54:55], off offset:160
.LBB24_428:
	s_or_b64 exec, exec, s[2:3]
	scratch_load_dwordx2 v[54:55], off, off offset:168
	v_cmp_gt_u32_e32 vcc, 21, v0
	s_waitcnt vmcnt(0)
	ds_write_b64 v1, v[54:55]
	s_waitcnt lgkmcnt(0)
	; wave barrier
	s_and_saveexec_b64 s[2:3], vcc
	s_cbranch_execz .LBB24_438
; %bb.429:
	s_and_b64 vcc, exec, s[0:1]
	s_cbranch_vccnz .LBB24_431
; %bb.430:
	scratch_load_dwordx2 v[54:55], v21, off
	ds_read_b64 v[56:57], v1
	s_waitcnt vmcnt(0) lgkmcnt(0)
	v_mul_f64 v[54:55], v[54:55], v[56:57]
	s_cbranch_execz .LBB24_432
	s_branch .LBB24_433
.LBB24_431:
                                        ; implicit-def: $vgpr54_vgpr55
.LBB24_432:
	ds_read_b64 v[54:55], v1
.LBB24_433:
	v_cmp_ne_u32_e32 vcc, 20, v0
	s_and_saveexec_b64 s[4:5], vcc
	s_cbranch_execz .LBB24_437
; %bb.434:
	s_mov_b32 s6, 0
	v_add_u32_e32 v56, 0xd8, v20
	v_add3_u32 v57, v20, s6, 8
	s_mov_b64 s[6:7], 0
	v_mov_b32_e32 v58, v0
.LBB24_435:                             ; =>This Inner Loop Header: Depth=1
	scratch_load_dwordx2 v[60:61], v57, off
	ds_read_b64 v[62:63], v56
	v_add_u32_e32 v58, 1, v58
	v_cmp_lt_u32_e32 vcc, 19, v58
	v_add_u32_e32 v56, 8, v56
	v_add_u32_e32 v57, 8, v57
	s_or_b64 s[6:7], vcc, s[6:7]
	s_waitcnt vmcnt(0) lgkmcnt(0)
	v_fmac_f64_e32 v[54:55], v[60:61], v[62:63]
	s_andn2_b64 exec, exec, s[6:7]
	s_cbranch_execnz .LBB24_435
; %bb.436:
	s_or_b64 exec, exec, s[6:7]
.LBB24_437:
	s_or_b64 exec, exec, s[4:5]
	v_mov_b32_e32 v56, 0
	ds_read_b64 v[56:57], v56 offset:168
	s_waitcnt lgkmcnt(0)
	v_mul_f64 v[54:55], v[54:55], v[56:57]
	scratch_store_dwordx2 off, v[54:55], off offset:168
.LBB24_438:
	s_or_b64 exec, exec, s[2:3]
	scratch_load_dwordx2 v[54:55], off, off offset:176
	v_cmp_gt_u32_e32 vcc, 22, v0
	s_waitcnt vmcnt(0)
	ds_write_b64 v1, v[54:55]
	s_waitcnt lgkmcnt(0)
	; wave barrier
	s_and_saveexec_b64 s[2:3], vcc
	s_cbranch_execz .LBB24_448
; %bb.439:
	s_and_b64 vcc, exec, s[0:1]
	s_cbranch_vccnz .LBB24_441
; %bb.440:
	scratch_load_dwordx2 v[54:55], v21, off
	ds_read_b64 v[56:57], v1
	s_waitcnt vmcnt(0) lgkmcnt(0)
	v_mul_f64 v[54:55], v[54:55], v[56:57]
	s_cbranch_execz .LBB24_442
	s_branch .LBB24_443
.LBB24_441:
                                        ; implicit-def: $vgpr54_vgpr55
.LBB24_442:
	ds_read_b64 v[54:55], v1
.LBB24_443:
	v_cmp_ne_u32_e32 vcc, 21, v0
	s_and_saveexec_b64 s[4:5], vcc
	s_cbranch_execz .LBB24_447
; %bb.444:
	s_mov_b32 s6, 0
	v_add_u32_e32 v56, 0xd8, v20
	v_add3_u32 v57, v20, s6, 8
	s_mov_b64 s[6:7], 0
	v_mov_b32_e32 v58, v0
.LBB24_445:                             ; =>This Inner Loop Header: Depth=1
	scratch_load_dwordx2 v[60:61], v57, off
	ds_read_b64 v[62:63], v56
	v_add_u32_e32 v58, 1, v58
	v_cmp_lt_u32_e32 vcc, 20, v58
	v_add_u32_e32 v56, 8, v56
	v_add_u32_e32 v57, 8, v57
	s_or_b64 s[6:7], vcc, s[6:7]
	s_waitcnt vmcnt(0) lgkmcnt(0)
	v_fmac_f64_e32 v[54:55], v[60:61], v[62:63]
	s_andn2_b64 exec, exec, s[6:7]
	s_cbranch_execnz .LBB24_445
; %bb.446:
	s_or_b64 exec, exec, s[6:7]
.LBB24_447:
	s_or_b64 exec, exec, s[4:5]
	v_mov_b32_e32 v56, 0
	ds_read_b64 v[56:57], v56 offset:176
	s_waitcnt lgkmcnt(0)
	v_mul_f64 v[54:55], v[54:55], v[56:57]
	scratch_store_dwordx2 off, v[54:55], off offset:176
.LBB24_448:
	s_or_b64 exec, exec, s[2:3]
	scratch_load_dwordx2 v[54:55], off, off offset:184
	v_cmp_gt_u32_e64 s[2:3], 23, v0
	s_waitcnt vmcnt(0)
	ds_write_b64 v1, v[54:55]
	s_waitcnt lgkmcnt(0)
	; wave barrier
	s_and_saveexec_b64 s[4:5], s[2:3]
	s_cbranch_execz .LBB24_458
; %bb.449:
	s_and_b64 vcc, exec, s[0:1]
	s_cbranch_vccnz .LBB24_451
; %bb.450:
	scratch_load_dwordx2 v[54:55], v21, off
	ds_read_b64 v[56:57], v1
	s_waitcnt vmcnt(0) lgkmcnt(0)
	v_mul_f64 v[54:55], v[54:55], v[56:57]
	s_cbranch_execz .LBB24_452
	s_branch .LBB24_453
.LBB24_451:
                                        ; implicit-def: $vgpr54_vgpr55
.LBB24_452:
	ds_read_b64 v[54:55], v1
.LBB24_453:
	v_cmp_ne_u32_e32 vcc, 22, v0
	s_and_saveexec_b64 s[6:7], vcc
	s_cbranch_execz .LBB24_457
; %bb.454:
	s_mov_b32 s8, 0
	v_add_u32_e32 v56, 0xd8, v20
	v_add3_u32 v57, v20, s8, 8
	s_mov_b64 s[8:9], 0
	v_mov_b32_e32 v58, v0
.LBB24_455:                             ; =>This Inner Loop Header: Depth=1
	scratch_load_dwordx2 v[60:61], v57, off
	ds_read_b64 v[62:63], v56
	v_add_u32_e32 v58, 1, v58
	v_cmp_lt_u32_e32 vcc, 21, v58
	v_add_u32_e32 v56, 8, v56
	v_add_u32_e32 v57, 8, v57
	s_or_b64 s[8:9], vcc, s[8:9]
	s_waitcnt vmcnt(0) lgkmcnt(0)
	v_fmac_f64_e32 v[54:55], v[60:61], v[62:63]
	s_andn2_b64 exec, exec, s[8:9]
	s_cbranch_execnz .LBB24_455
; %bb.456:
	s_or_b64 exec, exec, s[8:9]
.LBB24_457:
	s_or_b64 exec, exec, s[6:7]
	v_mov_b32_e32 v56, 0
	ds_read_b64 v[56:57], v56 offset:184
	s_waitcnt lgkmcnt(0)
	v_mul_f64 v[54:55], v[54:55], v[56:57]
	scratch_store_dwordx2 off, v[54:55], off offset:184
.LBB24_458:
	s_or_b64 exec, exec, s[4:5]
	scratch_load_dwordx2 v[54:55], off, off offset:192
	v_cmp_ne_u32_e32 vcc, 24, v0
	s_waitcnt vmcnt(0)
	ds_write_b64 v1, v[54:55]
	s_waitcnt lgkmcnt(0)
	; wave barrier
	s_and_saveexec_b64 s[4:5], vcc
	s_cbranch_execz .LBB24_468
; %bb.459:
	s_and_b64 vcc, exec, s[0:1]
	s_cbranch_vccnz .LBB24_461
; %bb.460:
	scratch_load_dwordx2 v[54:55], v21, off
	ds_read_b64 v[56:57], v1
	s_waitcnt vmcnt(0) lgkmcnt(0)
	v_mul_f64 v[54:55], v[54:55], v[56:57]
	s_cbranch_execz .LBB24_462
	s_branch .LBB24_463
.LBB24_461:
                                        ; implicit-def: $vgpr54_vgpr55
.LBB24_462:
	ds_read_b64 v[54:55], v1
.LBB24_463:
	s_and_saveexec_b64 s[0:1], s[2:3]
	s_cbranch_execz .LBB24_467
; %bb.464:
	s_mov_b32 s2, 0
	v_add_u32_e32 v1, 0xd8, v20
	v_add3_u32 v20, v20, s2, 8
	s_mov_b64 s[2:3], 0
.LBB24_465:                             ; =>This Inner Loop Header: Depth=1
	scratch_load_dwordx2 v[56:57], v20, off
	ds_read_b64 v[58:59], v1
	v_add_u32_e32 v0, 1, v0
	v_cmp_lt_u32_e32 vcc, 22, v0
	v_add_u32_e32 v1, 8, v1
	v_add_u32_e32 v20, 8, v20
	s_or_b64 s[2:3], vcc, s[2:3]
	s_waitcnt vmcnt(0) lgkmcnt(0)
	v_fmac_f64_e32 v[54:55], v[56:57], v[58:59]
	s_andn2_b64 exec, exec, s[2:3]
	s_cbranch_execnz .LBB24_465
; %bb.466:
	s_or_b64 exec, exec, s[2:3]
.LBB24_467:
	s_or_b64 exec, exec, s[0:1]
	v_mov_b32_e32 v0, 0
	ds_read_b64 v[0:1], v0 offset:192
	s_waitcnt lgkmcnt(0)
	v_mul_f64 v[0:1], v[54:55], v[0:1]
	scratch_store_dwordx2 off, v[0:1], off offset:192
.LBB24_468:
	s_or_b64 exec, exec, s[4:5]
.LBB24_469:
	scratch_load_dwordx4 v[54:57], off, off
	s_waitcnt vmcnt(0)
	global_store_dwordx2 v[2:3], v[54:55], off
	global_store_dwordx2 v[4:5], v[56:57], off
	scratch_load_dwordx4 v[0:3], off, off offset:16
	s_waitcnt vmcnt(0)
	global_store_dwordx2 v[6:7], v[0:1], off
	global_store_dwordx2 v[8:9], v[2:3], off
	scratch_load_dwordx4 v[0:3], off, off offset:32
	;; [unrolled: 4-line block ×11, first 2 shown]
	s_waitcnt vmcnt(0)
	global_store_dwordx2 v[50:51], v[0:1], off
	global_store_dwordx2 v[52:53], v[2:3], off
	scratch_load_dwordx2 v[0:1], off, off offset:192
	s_waitcnt vmcnt(0)
	global_store_dwordx2 v[46:47], v[0:1], off
.LBB24_470:
	s_endpgm
	.section	.rodata,"a",@progbits
	.p2align	6, 0x0
	.amdhsa_kernel _ZN9rocsolver6v33100L18trti2_kernel_smallILi25EdPdEEv13rocblas_fill_17rocblas_diagonal_T1_iil
		.amdhsa_group_segment_fixed_size 408
		.amdhsa_private_segment_fixed_size 208
		.amdhsa_kernarg_size 32
		.amdhsa_user_sgpr_count 2
		.amdhsa_user_sgpr_dispatch_ptr 0
		.amdhsa_user_sgpr_queue_ptr 0
		.amdhsa_user_sgpr_kernarg_segment_ptr 1
		.amdhsa_user_sgpr_dispatch_id 0
		.amdhsa_user_sgpr_kernarg_preload_length 0
		.amdhsa_user_sgpr_kernarg_preload_offset 0
		.amdhsa_user_sgpr_private_segment_size 0
		.amdhsa_uses_dynamic_stack 0
		.amdhsa_enable_private_segment 1
		.amdhsa_system_sgpr_workgroup_id_x 1
		.amdhsa_system_sgpr_workgroup_id_y 0
		.amdhsa_system_sgpr_workgroup_id_z 0
		.amdhsa_system_sgpr_workgroup_info 0
		.amdhsa_system_vgpr_workitem_id 0
		.amdhsa_next_free_vgpr 64
		.amdhsa_next_free_sgpr 22
		.amdhsa_accum_offset 64
		.amdhsa_reserve_vcc 1
		.amdhsa_float_round_mode_32 0
		.amdhsa_float_round_mode_16_64 0
		.amdhsa_float_denorm_mode_32 3
		.amdhsa_float_denorm_mode_16_64 3
		.amdhsa_dx10_clamp 1
		.amdhsa_ieee_mode 1
		.amdhsa_fp16_overflow 0
		.amdhsa_tg_split 0
		.amdhsa_exception_fp_ieee_invalid_op 0
		.amdhsa_exception_fp_denorm_src 0
		.amdhsa_exception_fp_ieee_div_zero 0
		.amdhsa_exception_fp_ieee_overflow 0
		.amdhsa_exception_fp_ieee_underflow 0
		.amdhsa_exception_fp_ieee_inexact 0
		.amdhsa_exception_int_div_zero 0
	.end_amdhsa_kernel
	.section	.text._ZN9rocsolver6v33100L18trti2_kernel_smallILi25EdPdEEv13rocblas_fill_17rocblas_diagonal_T1_iil,"axG",@progbits,_ZN9rocsolver6v33100L18trti2_kernel_smallILi25EdPdEEv13rocblas_fill_17rocblas_diagonal_T1_iil,comdat
.Lfunc_end24:
	.size	_ZN9rocsolver6v33100L18trti2_kernel_smallILi25EdPdEEv13rocblas_fill_17rocblas_diagonal_T1_iil, .Lfunc_end24-_ZN9rocsolver6v33100L18trti2_kernel_smallILi25EdPdEEv13rocblas_fill_17rocblas_diagonal_T1_iil
                                        ; -- End function
	.set _ZN9rocsolver6v33100L18trti2_kernel_smallILi25EdPdEEv13rocblas_fill_17rocblas_diagonal_T1_iil.num_vgpr, 64
	.set _ZN9rocsolver6v33100L18trti2_kernel_smallILi25EdPdEEv13rocblas_fill_17rocblas_diagonal_T1_iil.num_agpr, 0
	.set _ZN9rocsolver6v33100L18trti2_kernel_smallILi25EdPdEEv13rocblas_fill_17rocblas_diagonal_T1_iil.numbered_sgpr, 22
	.set _ZN9rocsolver6v33100L18trti2_kernel_smallILi25EdPdEEv13rocblas_fill_17rocblas_diagonal_T1_iil.num_named_barrier, 0
	.set _ZN9rocsolver6v33100L18trti2_kernel_smallILi25EdPdEEv13rocblas_fill_17rocblas_diagonal_T1_iil.private_seg_size, 208
	.set _ZN9rocsolver6v33100L18trti2_kernel_smallILi25EdPdEEv13rocblas_fill_17rocblas_diagonal_T1_iil.uses_vcc, 1
	.set _ZN9rocsolver6v33100L18trti2_kernel_smallILi25EdPdEEv13rocblas_fill_17rocblas_diagonal_T1_iil.uses_flat_scratch, 0
	.set _ZN9rocsolver6v33100L18trti2_kernel_smallILi25EdPdEEv13rocblas_fill_17rocblas_diagonal_T1_iil.has_dyn_sized_stack, 0
	.set _ZN9rocsolver6v33100L18trti2_kernel_smallILi25EdPdEEv13rocblas_fill_17rocblas_diagonal_T1_iil.has_recursion, 0
	.set _ZN9rocsolver6v33100L18trti2_kernel_smallILi25EdPdEEv13rocblas_fill_17rocblas_diagonal_T1_iil.has_indirect_call, 0
	.section	.AMDGPU.csdata,"",@progbits
; Kernel info:
; codeLenInByte = 11672
; TotalNumSgprs: 28
; NumVgprs: 64
; NumAgprs: 0
; TotalNumVgprs: 64
; ScratchSize: 208
; MemoryBound: 0
; FloatMode: 240
; IeeeMode: 1
; LDSByteSize: 408 bytes/workgroup (compile time only)
; SGPRBlocks: 3
; VGPRBlocks: 7
; NumSGPRsForWavesPerEU: 28
; NumVGPRsForWavesPerEU: 64
; AccumOffset: 64
; Occupancy: 8
; WaveLimiterHint : 0
; COMPUTE_PGM_RSRC2:SCRATCH_EN: 1
; COMPUTE_PGM_RSRC2:USER_SGPR: 2
; COMPUTE_PGM_RSRC2:TRAP_HANDLER: 0
; COMPUTE_PGM_RSRC2:TGID_X_EN: 1
; COMPUTE_PGM_RSRC2:TGID_Y_EN: 0
; COMPUTE_PGM_RSRC2:TGID_Z_EN: 0
; COMPUTE_PGM_RSRC2:TIDIG_COMP_CNT: 0
; COMPUTE_PGM_RSRC3_GFX90A:ACCUM_OFFSET: 15
; COMPUTE_PGM_RSRC3_GFX90A:TG_SPLIT: 0
	.section	.text._ZN9rocsolver6v33100L18trti2_kernel_smallILi26EdPdEEv13rocblas_fill_17rocblas_diagonal_T1_iil,"axG",@progbits,_ZN9rocsolver6v33100L18trti2_kernel_smallILi26EdPdEEv13rocblas_fill_17rocblas_diagonal_T1_iil,comdat
	.globl	_ZN9rocsolver6v33100L18trti2_kernel_smallILi26EdPdEEv13rocblas_fill_17rocblas_diagonal_T1_iil ; -- Begin function _ZN9rocsolver6v33100L18trti2_kernel_smallILi26EdPdEEv13rocblas_fill_17rocblas_diagonal_T1_iil
	.p2align	8
	.type	_ZN9rocsolver6v33100L18trti2_kernel_smallILi26EdPdEEv13rocblas_fill_17rocblas_diagonal_T1_iil,@function
_ZN9rocsolver6v33100L18trti2_kernel_smallILi26EdPdEEv13rocblas_fill_17rocblas_diagonal_T1_iil: ; @_ZN9rocsolver6v33100L18trti2_kernel_smallILi26EdPdEEv13rocblas_fill_17rocblas_diagonal_T1_iil
; %bb.0:
	v_cmp_gt_u32_e32 vcc, 26, v0
	s_and_saveexec_b64 s[4:5], vcc
	s_cbranch_execz .LBB25_490
; %bb.1:
	s_load_dwordx8 s[4:11], s[0:1], 0x0
	s_ashr_i32 s3, s2, 31
	v_lshlrev_b32_e32 v20, 3, v0
	v_mov_b32_e32 v21, 0
	s_waitcnt lgkmcnt(0)
	s_ashr_i32 s1, s8, 31
	s_mov_b32 s0, s8
	s_mul_hi_u32 s8, s10, s2
	s_mul_i32 s3, s10, s3
	s_add_i32 s3, s8, s3
	s_mul_i32 s8, s11, s2
	s_add_i32 s3, s3, s8
	s_mul_i32 s2, s10, s2
	s_lshl_b64 s[2:3], s[2:3], 3
	s_add_u32 s2, s6, s2
	s_addc_u32 s3, s7, s3
	s_lshl_b64 s[0:1], s[0:1], 3
	s_add_u32 s0, s2, s0
	s_addc_u32 s1, s3, s1
	v_lshl_add_u64 v[2:3], s[0:1], 0, v[20:21]
	s_ashr_i32 s3, s9, 31
	s_mov_b32 s2, s9
	v_lshl_add_u64 v[4:5], s[2:3], 3, v[2:3]
	global_load_dwordx2 v[6:7], v20, s[0:1]
	global_load_dwordx2 v[8:9], v[4:5], off
	s_add_i32 s2, s9, s9
	s_cmpk_lg_i32 s5, 0x84
	s_cselect_b64 s[6:7], -1, 0
	s_cmpk_eq_i32 s5, 0x84
	s_waitcnt vmcnt(0)
	scratch_store_dwordx4 off, v[6:9], off
	s_nop 1
	v_add_u32_e32 v8, s2, v0
	v_add_u32_e32 v10, s9, v8
	v_ashrrev_i32_e32 v9, 31, v8
	v_ashrrev_i32_e32 v11, 31, v10
	v_lshl_add_u64 v[6:7], v[8:9], 3, s[0:1]
	v_lshl_add_u64 v[8:9], v[10:11], 3, s[0:1]
	global_load_dwordx2 v[12:13], v[6:7], off
	global_load_dwordx2 v[14:15], v[8:9], off
	s_waitcnt vmcnt(0)
	scratch_store_dwordx4 off, v[12:15], off offset:16
	s_nop 1
	v_add_u32_e32 v12, s9, v10
	v_add_u32_e32 v14, s9, v12
	v_ashrrev_i32_e32 v13, 31, v12
	v_ashrrev_i32_e32 v15, 31, v14
	v_lshl_add_u64 v[10:11], v[12:13], 3, s[0:1]
	v_lshl_add_u64 v[12:13], v[14:15], 3, s[0:1]
	global_load_dwordx2 v[16:17], v[10:11], off
	global_load_dwordx2 v[18:19], v[12:13], off
	s_waitcnt vmcnt(0)
	scratch_store_dwordx4 off, v[16:19], off offset:32
	;; [unrolled: 11-line block ×8, first 2 shown]
	s_nop 1
	v_add_u32_e32 v42, s9, v40
	v_add_u32_e32 v44, s9, v42
	v_ashrrev_i32_e32 v43, 31, v42
	v_ashrrev_i32_e32 v45, 31, v44
	v_lshl_add_u64 v[40:41], v[42:43], 3, s[0:1]
	v_lshl_add_u64 v[42:43], v[44:45], 3, s[0:1]
	global_load_dwordx2 v[46:47], v[40:41], off
	global_load_dwordx2 v[48:49], v[42:43], off
	v_add_u32_e32 v44, s9, v44
	v_ashrrev_i32_e32 v45, 31, v44
	s_waitcnt vmcnt(0)
	scratch_store_dwordx4 off, v[46:49], off offset:144
	s_nop 1
	v_lshl_add_u64 v[46:47], v[44:45], 3, s[0:1]
	v_add_u32_e32 v44, s9, v44
	v_ashrrev_i32_e32 v45, 31, v44
	v_lshl_add_u64 v[50:51], v[44:45], 3, s[0:1]
	global_load_dwordx2 v[52:53], v[46:47], off
	global_load_dwordx2 v[54:55], v[50:51], off
	v_add_u32_e32 v44, s9, v44
	v_ashrrev_i32_e32 v45, 31, v44
	s_waitcnt vmcnt(0)
	scratch_store_dwordx4 off, v[52:55], off offset:160
	s_nop 1
	v_lshl_add_u64 v[52:53], v[44:45], 3, s[0:1]
	v_add_u32_e32 v44, s9, v44
	v_ashrrev_i32_e32 v45, 31, v44
	v_lshl_add_u64 v[54:55], v[44:45], 3, s[0:1]
	global_load_dwordx2 v[56:57], v[52:53], off
	global_load_dwordx2 v[58:59], v[54:55], off
	v_add_u32_e32 v48, s9, v44
	v_ashrrev_i32_e32 v49, 31, v48
	v_lshl_add_u64 v[44:45], v[48:49], 3, s[0:1]
	v_add_u32_e32 v48, s9, v48
	v_ashrrev_i32_e32 v49, 31, v48
	v_lshl_add_u64 v[48:49], v[48:49], 3, s[0:1]
	s_waitcnt vmcnt(0)
	scratch_store_dwordx4 off, v[56:59], off offset:176
	global_load_dwordx2 v[56:57], v[44:45], off
	s_nop 0
	global_load_dwordx2 v[58:59], v[48:49], off
	s_waitcnt vmcnt(0)
	scratch_store_dwordx4 off, v[56:59], off offset:192
	s_nop 1
	v_mov_b64_e32 v[56:57], -1.0
	s_cbranch_scc1 .LBB25_3
; %bb.2:
	scratch_load_dwordx2 v[56:57], v20, off
	s_waitcnt vmcnt(0)
	v_div_scale_f64 v[58:59], s[0:1], v[56:57], v[56:57], 1.0
	v_rcp_f64_e32 v[60:61], v[58:59]
	v_div_scale_f64 v[62:63], vcc, 1.0, v[56:57], 1.0
	v_fma_f64 v[64:65], -v[58:59], v[60:61], 1.0
	v_fmac_f64_e32 v[60:61], v[60:61], v[64:65]
	v_fma_f64 v[64:65], -v[58:59], v[60:61], 1.0
	v_fmac_f64_e32 v[60:61], v[60:61], v[64:65]
	v_mul_f64 v[64:65], v[62:63], v[60:61]
	v_fma_f64 v[58:59], -v[58:59], v[64:65], v[62:63]
	v_div_fmas_f64 v[58:59], v[58:59], v[60:61], v[64:65]
	v_div_fixup_f64 v[56:57], v[58:59], v[56:57], 1.0
	scratch_store_dwordx2 v20, v[56:57], off
	v_xor_b32_e32 v57, 0x80000000, v57
.LBB25_3:
	s_cmpk_eq_i32 s4, 0x79
	v_add_u32_e32 v1, 0xd0, v20
	v_mov_b32_e32 v21, v20
	s_mov_b64 s[0:1], -1
	ds_write_b64 v20, v[56:57]
	s_cbranch_scc1 .LBB25_247
; %bb.4:
	scratch_load_dwordx2 v[56:57], off, off offset:192
	s_movk_i32 s8, 0x50
	s_movk_i32 s9, 0x60
	;; [unrolled: 1-line block ×7, first 2 shown]
	v_cmp_eq_u32_e64 s[0:1], 25, v0
	s_waitcnt vmcnt(0)
	ds_write_b64 v1, v[56:57]
	s_waitcnt lgkmcnt(0)
	; wave barrier
	s_and_saveexec_b64 s[2:3], s[0:1]
	s_cbranch_execz .LBB25_10
; %bb.5:
	s_and_b64 vcc, exec, s[6:7]
	s_cbranch_vccz .LBB25_7
; %bb.6:
	scratch_load_dwordx2 v[56:57], v21, off
	ds_read_b64 v[58:59], v1
	s_waitcnt vmcnt(0) lgkmcnt(0)
	v_mul_f64 v[56:57], v[56:57], v[58:59]
	s_cbranch_execz .LBB25_8
	s_branch .LBB25_9
.LBB25_7:
                                        ; implicit-def: $vgpr56_vgpr57
.LBB25_8:
	ds_read_b64 v[56:57], v1
.LBB25_9:
	v_mov_b32_e32 v58, 0
	ds_read_b64 v[58:59], v58 offset:192
	s_waitcnt lgkmcnt(0)
	v_mul_f64 v[56:57], v[56:57], v[58:59]
	scratch_store_dwordx2 off, v[56:57], off offset:192
.LBB25_10:
	s_or_b64 exec, exec, s[2:3]
	scratch_load_dwordx2 v[56:57], off, off offset:184
	s_mov_b32 s10, 16
	s_mov_b32 s11, 32
	s_mov_b32 s12, 48
	s_mov_b32 s13, 64
	s_mov_b32 s14, s8
	s_mov_b32 s15, s9
	v_cmp_lt_u32_e64 s[2:3], 23, v0
	s_waitcnt vmcnt(0)
	ds_write_b64 v1, v[56:57]
	s_waitcnt lgkmcnt(0)
	; wave barrier
	s_and_saveexec_b64 s[4:5], s[2:3]
	s_cbranch_execz .LBB25_16
; %bb.11:
	s_andn2_b64 vcc, exec, s[6:7]
	s_cbranch_vccnz .LBB25_13
; %bb.12:
	scratch_load_dwordx2 v[56:57], v21, off
	ds_read_b64 v[58:59], v1
	s_waitcnt vmcnt(0) lgkmcnt(0)
	v_mul_f64 v[56:57], v[56:57], v[58:59]
	s_cbranch_execz .LBB25_14
	s_branch .LBB25_15
.LBB25_13:
                                        ; implicit-def: $vgpr56_vgpr57
.LBB25_14:
	ds_read_b64 v[56:57], v1
.LBB25_15:
	scratch_load_dwordx2 v[62:63], off, off offset:192
	v_mov_b32_e32 v58, 0
	ds_read2_b64 v[58:61], v58 offset0:23 offset1:50
	s_waitcnt vmcnt(0) lgkmcnt(0)
	v_fma_f64 v[60:61], v[62:63], v[60:61], v[56:57]
	v_cndmask_b32_e64 v57, v57, v61, s[0:1]
	v_cndmask_b32_e64 v56, v56, v60, s[0:1]
	v_mul_f64 v[56:57], v[56:57], v[58:59]
	scratch_store_dwordx2 off, v[56:57], off offset:184
.LBB25_16:
	s_or_b64 exec, exec, s[4:5]
	scratch_load_dwordx2 v[56:57], off, off offset:176
	v_cmp_lt_u32_e64 s[0:1], 22, v0
	s_waitcnt vmcnt(0)
	ds_write_b64 v1, v[56:57]
	s_waitcnt lgkmcnt(0)
	; wave barrier
	s_and_saveexec_b64 s[4:5], s[0:1]
	s_cbranch_execz .LBB25_26
; %bb.17:
	s_andn2_b64 vcc, exec, s[6:7]
	s_cbranch_vccnz .LBB25_19
; %bb.18:
	scratch_load_dwordx2 v[56:57], v21, off
	ds_read_b64 v[58:59], v1
	s_waitcnt vmcnt(0) lgkmcnt(0)
	v_mul_f64 v[56:57], v[56:57], v[58:59]
	s_cbranch_execz .LBB25_20
	s_branch .LBB25_21
.LBB25_19:
                                        ; implicit-def: $vgpr56_vgpr57
.LBB25_20:
	ds_read_b64 v[56:57], v1
.LBB25_21:
	s_and_saveexec_b64 s[8:9], s[2:3]
	s_cbranch_execz .LBB25_25
; %bb.22:
	s_movk_i32 s21, 0xb8
	v_subrev_u32_e32 v58, 23, v0
	s_movk_i32 s22, 0x188
	s_mov_b64 s[2:3], 0
.LBB25_23:                              ; =>This Inner Loop Header: Depth=1
	scratch_load_dwordx2 v[60:61], off, s21
	v_mov_b32_e32 v59, s22
	ds_read_b64 v[62:63], v59
	v_add_u32_e32 v58, -1, v58
	s_add_i32 s22, s22, 8
	s_add_i32 s21, s21, 8
	v_cmp_eq_u32_e32 vcc, 0, v58
	s_or_b64 s[2:3], vcc, s[2:3]
	s_waitcnt vmcnt(0) lgkmcnt(0)
	v_fmac_f64_e32 v[56:57], v[60:61], v[62:63]
	s_andn2_b64 exec, exec, s[2:3]
	s_cbranch_execnz .LBB25_23
; %bb.24:
	s_or_b64 exec, exec, s[2:3]
.LBB25_25:
	s_or_b64 exec, exec, s[8:9]
	v_mov_b32_e32 v58, 0
	ds_read_b64 v[58:59], v58 offset:176
	s_waitcnt lgkmcnt(0)
	v_mul_f64 v[56:57], v[56:57], v[58:59]
	scratch_store_dwordx2 off, v[56:57], off offset:176
.LBB25_26:
	s_or_b64 exec, exec, s[4:5]
	scratch_load_dwordx2 v[56:57], off, off offset:168
	v_cmp_lt_u32_e64 s[2:3], 21, v0
	s_waitcnt vmcnt(0)
	ds_write_b64 v1, v[56:57]
	s_waitcnt lgkmcnt(0)
	; wave barrier
	s_and_saveexec_b64 s[4:5], s[2:3]
	s_cbranch_execz .LBB25_36
; %bb.27:
	s_andn2_b64 vcc, exec, s[6:7]
	s_cbranch_vccnz .LBB25_29
; %bb.28:
	scratch_load_dwordx2 v[56:57], v21, off
	ds_read_b64 v[58:59], v1
	s_waitcnt vmcnt(0) lgkmcnt(0)
	v_mul_f64 v[56:57], v[56:57], v[58:59]
	s_cbranch_execz .LBB25_30
	s_branch .LBB25_31
.LBB25_29:
                                        ; implicit-def: $vgpr56_vgpr57
.LBB25_30:
	ds_read_b64 v[56:57], v1
.LBB25_31:
	s_and_saveexec_b64 s[8:9], s[0:1]
	s_cbranch_execz .LBB25_35
; %bb.32:
	v_subrev_u32_e32 v58, 22, v0
	s_movk_i32 s21, 0x180
	s_mov_b64 s[0:1], 0
.LBB25_33:                              ; =>This Inner Loop Header: Depth=1
	scratch_load_dwordx2 v[60:61], off, s20
	v_mov_b32_e32 v59, s21
	ds_read_b64 v[62:63], v59
	v_add_u32_e32 v58, -1, v58
	s_add_i32 s21, s21, 8
	s_add_i32 s20, s20, 8
	v_cmp_eq_u32_e32 vcc, 0, v58
	s_or_b64 s[0:1], vcc, s[0:1]
	s_waitcnt vmcnt(0) lgkmcnt(0)
	v_fmac_f64_e32 v[56:57], v[60:61], v[62:63]
	s_andn2_b64 exec, exec, s[0:1]
	s_cbranch_execnz .LBB25_33
; %bb.34:
	s_or_b64 exec, exec, s[0:1]
.LBB25_35:
	s_or_b64 exec, exec, s[8:9]
	v_mov_b32_e32 v58, 0
	ds_read_b64 v[58:59], v58 offset:168
	s_waitcnt lgkmcnt(0)
	v_mul_f64 v[56:57], v[56:57], v[58:59]
	scratch_store_dwordx2 off, v[56:57], off offset:168
.LBB25_36:
	s_or_b64 exec, exec, s[4:5]
	scratch_load_dwordx2 v[56:57], off, off offset:160
	v_cmp_lt_u32_e64 s[0:1], 20, v0
	s_waitcnt vmcnt(0)
	ds_write_b64 v1, v[56:57]
	s_waitcnt lgkmcnt(0)
	; wave barrier
	s_and_saveexec_b64 s[4:5], s[0:1]
	s_cbranch_execz .LBB25_46
; %bb.37:
	s_andn2_b64 vcc, exec, s[6:7]
	s_cbranch_vccnz .LBB25_39
; %bb.38:
	scratch_load_dwordx2 v[56:57], v21, off
	ds_read_b64 v[58:59], v1
	s_waitcnt vmcnt(0) lgkmcnt(0)
	v_mul_f64 v[56:57], v[56:57], v[58:59]
	s_cbranch_execz .LBB25_40
	s_branch .LBB25_41
.LBB25_39:
                                        ; implicit-def: $vgpr56_vgpr57
.LBB25_40:
	ds_read_b64 v[56:57], v1
.LBB25_41:
	s_and_saveexec_b64 s[8:9], s[2:3]
	s_cbranch_execz .LBB25_45
; %bb.42:
	s_movk_i32 s20, 0xa8
	v_subrev_u32_e32 v58, 21, v0
	s_movk_i32 s21, 0x178
	s_mov_b64 s[2:3], 0
.LBB25_43:                              ; =>This Inner Loop Header: Depth=1
	scratch_load_dwordx2 v[60:61], off, s20
	v_mov_b32_e32 v59, s21
	ds_read_b64 v[62:63], v59
	v_add_u32_e32 v58, -1, v58
	s_add_i32 s21, s21, 8
	s_add_i32 s20, s20, 8
	v_cmp_eq_u32_e32 vcc, 0, v58
	s_or_b64 s[2:3], vcc, s[2:3]
	s_waitcnt vmcnt(0) lgkmcnt(0)
	v_fmac_f64_e32 v[56:57], v[60:61], v[62:63]
	s_andn2_b64 exec, exec, s[2:3]
	s_cbranch_execnz .LBB25_43
; %bb.44:
	s_or_b64 exec, exec, s[2:3]
.LBB25_45:
	s_or_b64 exec, exec, s[8:9]
	v_mov_b32_e32 v58, 0
	ds_read_b64 v[58:59], v58 offset:160
	s_waitcnt lgkmcnt(0)
	v_mul_f64 v[56:57], v[56:57], v[58:59]
	scratch_store_dwordx2 off, v[56:57], off offset:160
.LBB25_46:
	s_or_b64 exec, exec, s[4:5]
	scratch_load_dwordx2 v[56:57], off, off offset:152
	v_cmp_lt_u32_e64 s[2:3], 19, v0
	s_waitcnt vmcnt(0)
	ds_write_b64 v1, v[56:57]
	s_waitcnt lgkmcnt(0)
	; wave barrier
	s_and_saveexec_b64 s[4:5], s[2:3]
	s_cbranch_execz .LBB25_56
; %bb.47:
	s_andn2_b64 vcc, exec, s[6:7]
	s_cbranch_vccnz .LBB25_49
; %bb.48:
	scratch_load_dwordx2 v[56:57], v21, off
	ds_read_b64 v[58:59], v1
	s_waitcnt vmcnt(0) lgkmcnt(0)
	v_mul_f64 v[56:57], v[56:57], v[58:59]
	s_cbranch_execz .LBB25_50
	s_branch .LBB25_51
.LBB25_49:
                                        ; implicit-def: $vgpr56_vgpr57
.LBB25_50:
	ds_read_b64 v[56:57], v1
.LBB25_51:
	s_and_saveexec_b64 s[8:9], s[0:1]
	s_cbranch_execz .LBB25_55
; %bb.52:
	v_subrev_u32_e32 v58, 20, v0
	s_movk_i32 s20, 0x170
	s_mov_b64 s[0:1], 0
.LBB25_53:                              ; =>This Inner Loop Header: Depth=1
	scratch_load_dwordx2 v[60:61], off, s19
	v_mov_b32_e32 v59, s20
	ds_read_b64 v[62:63], v59
	v_add_u32_e32 v58, -1, v58
	s_add_i32 s20, s20, 8
	s_add_i32 s19, s19, 8
	v_cmp_eq_u32_e32 vcc, 0, v58
	s_or_b64 s[0:1], vcc, s[0:1]
	s_waitcnt vmcnt(0) lgkmcnt(0)
	v_fmac_f64_e32 v[56:57], v[60:61], v[62:63]
	s_andn2_b64 exec, exec, s[0:1]
	s_cbranch_execnz .LBB25_53
; %bb.54:
	s_or_b64 exec, exec, s[0:1]
.LBB25_55:
	s_or_b64 exec, exec, s[8:9]
	v_mov_b32_e32 v58, 0
	ds_read_b64 v[58:59], v58 offset:152
	s_waitcnt lgkmcnt(0)
	v_mul_f64 v[56:57], v[56:57], v[58:59]
	scratch_store_dwordx2 off, v[56:57], off offset:152
.LBB25_56:
	s_or_b64 exec, exec, s[4:5]
	scratch_load_dwordx2 v[56:57], off, off offset:144
	v_cmp_lt_u32_e64 s[0:1], 18, v0
	s_waitcnt vmcnt(0)
	ds_write_b64 v1, v[56:57]
	s_waitcnt lgkmcnt(0)
	; wave barrier
	s_and_saveexec_b64 s[4:5], s[0:1]
	s_cbranch_execz .LBB25_66
; %bb.57:
	s_andn2_b64 vcc, exec, s[6:7]
	s_cbranch_vccnz .LBB25_59
; %bb.58:
	scratch_load_dwordx2 v[56:57], v21, off
	ds_read_b64 v[58:59], v1
	s_waitcnt vmcnt(0) lgkmcnt(0)
	v_mul_f64 v[56:57], v[56:57], v[58:59]
	s_cbranch_execz .LBB25_60
	s_branch .LBB25_61
.LBB25_59:
                                        ; implicit-def: $vgpr56_vgpr57
.LBB25_60:
	ds_read_b64 v[56:57], v1
.LBB25_61:
	s_and_saveexec_b64 s[8:9], s[2:3]
	s_cbranch_execz .LBB25_65
; %bb.62:
	s_movk_i32 s19, 0x98
	v_subrev_u32_e32 v58, 19, v0
	s_movk_i32 s20, 0x168
	s_mov_b64 s[2:3], 0
.LBB25_63:                              ; =>This Inner Loop Header: Depth=1
	scratch_load_dwordx2 v[60:61], off, s19
	v_mov_b32_e32 v59, s20
	ds_read_b64 v[62:63], v59
	v_add_u32_e32 v58, -1, v58
	s_add_i32 s20, s20, 8
	s_add_i32 s19, s19, 8
	v_cmp_eq_u32_e32 vcc, 0, v58
	s_or_b64 s[2:3], vcc, s[2:3]
	s_waitcnt vmcnt(0) lgkmcnt(0)
	v_fmac_f64_e32 v[56:57], v[60:61], v[62:63]
	s_andn2_b64 exec, exec, s[2:3]
	s_cbranch_execnz .LBB25_63
; %bb.64:
	s_or_b64 exec, exec, s[2:3]
.LBB25_65:
	s_or_b64 exec, exec, s[8:9]
	v_mov_b32_e32 v58, 0
	ds_read_b64 v[58:59], v58 offset:144
	s_waitcnt lgkmcnt(0)
	v_mul_f64 v[56:57], v[56:57], v[58:59]
	scratch_store_dwordx2 off, v[56:57], off offset:144
.LBB25_66:
	s_or_b64 exec, exec, s[4:5]
	scratch_load_dwordx2 v[56:57], off, off offset:136
	v_cmp_lt_u32_e64 s[2:3], 17, v0
	s_waitcnt vmcnt(0)
	ds_write_b64 v1, v[56:57]
	s_waitcnt lgkmcnt(0)
	; wave barrier
	s_and_saveexec_b64 s[4:5], s[2:3]
	s_cbranch_execz .LBB25_76
; %bb.67:
	s_andn2_b64 vcc, exec, s[6:7]
	s_cbranch_vccnz .LBB25_69
; %bb.68:
	scratch_load_dwordx2 v[56:57], v21, off
	ds_read_b64 v[58:59], v1
	s_waitcnt vmcnt(0) lgkmcnt(0)
	v_mul_f64 v[56:57], v[56:57], v[58:59]
	s_cbranch_execz .LBB25_70
	s_branch .LBB25_71
.LBB25_69:
                                        ; implicit-def: $vgpr56_vgpr57
.LBB25_70:
	ds_read_b64 v[56:57], v1
.LBB25_71:
	s_and_saveexec_b64 s[8:9], s[0:1]
	s_cbranch_execz .LBB25_75
; %bb.72:
	v_subrev_u32_e32 v58, 18, v0
	s_movk_i32 s19, 0x160
	s_mov_b64 s[0:1], 0
.LBB25_73:                              ; =>This Inner Loop Header: Depth=1
	scratch_load_dwordx2 v[60:61], off, s18
	v_mov_b32_e32 v59, s19
	ds_read_b64 v[62:63], v59
	v_add_u32_e32 v58, -1, v58
	s_add_i32 s19, s19, 8
	s_add_i32 s18, s18, 8
	v_cmp_eq_u32_e32 vcc, 0, v58
	s_or_b64 s[0:1], vcc, s[0:1]
	s_waitcnt vmcnt(0) lgkmcnt(0)
	v_fmac_f64_e32 v[56:57], v[60:61], v[62:63]
	s_andn2_b64 exec, exec, s[0:1]
	s_cbranch_execnz .LBB25_73
; %bb.74:
	s_or_b64 exec, exec, s[0:1]
.LBB25_75:
	s_or_b64 exec, exec, s[8:9]
	v_mov_b32_e32 v58, 0
	ds_read_b64 v[58:59], v58 offset:136
	s_waitcnt lgkmcnt(0)
	v_mul_f64 v[56:57], v[56:57], v[58:59]
	scratch_store_dwordx2 off, v[56:57], off offset:136
.LBB25_76:
	s_or_b64 exec, exec, s[4:5]
	scratch_load_dwordx2 v[56:57], off, off offset:128
	v_cmp_lt_u32_e64 s[0:1], 16, v0
	s_waitcnt vmcnt(0)
	ds_write_b64 v1, v[56:57]
	s_waitcnt lgkmcnt(0)
	; wave barrier
	s_and_saveexec_b64 s[4:5], s[0:1]
	s_cbranch_execz .LBB25_86
; %bb.77:
	s_andn2_b64 vcc, exec, s[6:7]
	s_cbranch_vccnz .LBB25_79
; %bb.78:
	scratch_load_dwordx2 v[56:57], v21, off
	ds_read_b64 v[58:59], v1
	s_waitcnt vmcnt(0) lgkmcnt(0)
	v_mul_f64 v[56:57], v[56:57], v[58:59]
	s_cbranch_execz .LBB25_80
	s_branch .LBB25_81
.LBB25_79:
                                        ; implicit-def: $vgpr56_vgpr57
.LBB25_80:
	ds_read_b64 v[56:57], v1
.LBB25_81:
	s_and_saveexec_b64 s[8:9], s[2:3]
	s_cbranch_execz .LBB25_85
; %bb.82:
	s_movk_i32 s18, 0x88
	v_subrev_u32_e32 v58, 17, v0
	s_movk_i32 s19, 0x158
	s_mov_b64 s[2:3], 0
.LBB25_83:                              ; =>This Inner Loop Header: Depth=1
	scratch_load_dwordx2 v[60:61], off, s18
	v_mov_b32_e32 v59, s19
	ds_read_b64 v[62:63], v59
	v_add_u32_e32 v58, -1, v58
	s_add_i32 s19, s19, 8
	s_add_i32 s18, s18, 8
	v_cmp_eq_u32_e32 vcc, 0, v58
	s_or_b64 s[2:3], vcc, s[2:3]
	s_waitcnt vmcnt(0) lgkmcnt(0)
	v_fmac_f64_e32 v[56:57], v[60:61], v[62:63]
	s_andn2_b64 exec, exec, s[2:3]
	s_cbranch_execnz .LBB25_83
; %bb.84:
	s_or_b64 exec, exec, s[2:3]
.LBB25_85:
	s_or_b64 exec, exec, s[8:9]
	v_mov_b32_e32 v58, 0
	ds_read_b64 v[58:59], v58 offset:128
	s_waitcnt lgkmcnt(0)
	v_mul_f64 v[56:57], v[56:57], v[58:59]
	scratch_store_dwordx2 off, v[56:57], off offset:128
.LBB25_86:
	s_or_b64 exec, exec, s[4:5]
	scratch_load_dwordx2 v[56:57], off, off offset:120
	v_cmp_lt_u32_e64 s[2:3], 15, v0
	s_waitcnt vmcnt(0)
	ds_write_b64 v1, v[56:57]
	s_waitcnt lgkmcnt(0)
	; wave barrier
	s_and_saveexec_b64 s[4:5], s[2:3]
	s_cbranch_execz .LBB25_96
; %bb.87:
	s_andn2_b64 vcc, exec, s[6:7]
	s_cbranch_vccnz .LBB25_89
; %bb.88:
	scratch_load_dwordx2 v[56:57], v21, off
	ds_read_b64 v[58:59], v1
	s_waitcnt vmcnt(0) lgkmcnt(0)
	v_mul_f64 v[56:57], v[56:57], v[58:59]
	s_cbranch_execz .LBB25_90
	s_branch .LBB25_91
.LBB25_89:
                                        ; implicit-def: $vgpr56_vgpr57
.LBB25_90:
	ds_read_b64 v[56:57], v1
.LBB25_91:
	s_and_saveexec_b64 s[8:9], s[0:1]
	s_cbranch_execz .LBB25_95
; %bb.92:
	v_add_u32_e32 v58, -16, v0
	s_movk_i32 s18, 0x150
	s_mov_b64 s[0:1], 0
.LBB25_93:                              ; =>This Inner Loop Header: Depth=1
	scratch_load_dwordx2 v[60:61], off, s17
	v_mov_b32_e32 v59, s18
	ds_read_b64 v[62:63], v59
	v_add_u32_e32 v58, -1, v58
	s_add_i32 s18, s18, 8
	s_add_i32 s17, s17, 8
	v_cmp_eq_u32_e32 vcc, 0, v58
	s_or_b64 s[0:1], vcc, s[0:1]
	s_waitcnt vmcnt(0) lgkmcnt(0)
	v_fmac_f64_e32 v[56:57], v[60:61], v[62:63]
	s_andn2_b64 exec, exec, s[0:1]
	s_cbranch_execnz .LBB25_93
; %bb.94:
	s_or_b64 exec, exec, s[0:1]
.LBB25_95:
	s_or_b64 exec, exec, s[8:9]
	v_mov_b32_e32 v58, 0
	ds_read_b64 v[58:59], v58 offset:120
	s_waitcnt lgkmcnt(0)
	v_mul_f64 v[56:57], v[56:57], v[58:59]
	scratch_store_dwordx2 off, v[56:57], off offset:120
.LBB25_96:
	s_or_b64 exec, exec, s[4:5]
	scratch_load_dwordx2 v[56:57], off, off offset:112
	v_cmp_lt_u32_e64 s[0:1], 14, v0
	s_waitcnt vmcnt(0)
	ds_write_b64 v1, v[56:57]
	s_waitcnt lgkmcnt(0)
	; wave barrier
	s_and_saveexec_b64 s[4:5], s[0:1]
	s_cbranch_execz .LBB25_106
; %bb.97:
	s_andn2_b64 vcc, exec, s[6:7]
	s_cbranch_vccnz .LBB25_99
; %bb.98:
	scratch_load_dwordx2 v[56:57], v21, off
	ds_read_b64 v[58:59], v1
	s_waitcnt vmcnt(0) lgkmcnt(0)
	v_mul_f64 v[56:57], v[56:57], v[58:59]
	s_cbranch_execz .LBB25_100
	s_branch .LBB25_101
.LBB25_99:
                                        ; implicit-def: $vgpr56_vgpr57
.LBB25_100:
	ds_read_b64 v[56:57], v1
.LBB25_101:
	s_and_saveexec_b64 s[8:9], s[2:3]
	s_cbranch_execz .LBB25_105
; %bb.102:
	s_movk_i32 s17, 0x78
	v_add_u32_e32 v58, -15, v0
	s_movk_i32 s18, 0x148
	s_mov_b64 s[2:3], 0
.LBB25_103:                             ; =>This Inner Loop Header: Depth=1
	scratch_load_dwordx2 v[60:61], off, s17
	v_mov_b32_e32 v59, s18
	ds_read_b64 v[62:63], v59
	v_add_u32_e32 v58, -1, v58
	s_add_i32 s18, s18, 8
	s_add_i32 s17, s17, 8
	v_cmp_eq_u32_e32 vcc, 0, v58
	s_or_b64 s[2:3], vcc, s[2:3]
	s_waitcnt vmcnt(0) lgkmcnt(0)
	v_fmac_f64_e32 v[56:57], v[60:61], v[62:63]
	s_andn2_b64 exec, exec, s[2:3]
	s_cbranch_execnz .LBB25_103
; %bb.104:
	s_or_b64 exec, exec, s[2:3]
.LBB25_105:
	s_or_b64 exec, exec, s[8:9]
	v_mov_b32_e32 v58, 0
	ds_read_b64 v[58:59], v58 offset:112
	s_waitcnt lgkmcnt(0)
	v_mul_f64 v[56:57], v[56:57], v[58:59]
	scratch_store_dwordx2 off, v[56:57], off offset:112
.LBB25_106:
	s_or_b64 exec, exec, s[4:5]
	scratch_load_dwordx2 v[56:57], off, off offset:104
	v_cmp_lt_u32_e64 s[2:3], 13, v0
	s_waitcnt vmcnt(0)
	ds_write_b64 v1, v[56:57]
	s_waitcnt lgkmcnt(0)
	; wave barrier
	s_and_saveexec_b64 s[4:5], s[2:3]
	s_cbranch_execz .LBB25_116
; %bb.107:
	s_andn2_b64 vcc, exec, s[6:7]
	s_cbranch_vccnz .LBB25_109
; %bb.108:
	scratch_load_dwordx2 v[56:57], v21, off
	ds_read_b64 v[58:59], v1
	s_waitcnt vmcnt(0) lgkmcnt(0)
	v_mul_f64 v[56:57], v[56:57], v[58:59]
	s_cbranch_execz .LBB25_110
	s_branch .LBB25_111
.LBB25_109:
                                        ; implicit-def: $vgpr56_vgpr57
.LBB25_110:
	ds_read_b64 v[56:57], v1
.LBB25_111:
	s_and_saveexec_b64 s[8:9], s[0:1]
	s_cbranch_execz .LBB25_115
; %bb.112:
	v_add_u32_e32 v58, -14, v0
	s_movk_i32 s17, 0x140
	s_mov_b64 s[0:1], 0
.LBB25_113:                             ; =>This Inner Loop Header: Depth=1
	scratch_load_dwordx2 v[60:61], off, s16
	v_mov_b32_e32 v59, s17
	ds_read_b64 v[62:63], v59
	v_add_u32_e32 v58, -1, v58
	s_add_i32 s17, s17, 8
	s_add_i32 s16, s16, 8
	v_cmp_eq_u32_e32 vcc, 0, v58
	s_or_b64 s[0:1], vcc, s[0:1]
	s_waitcnt vmcnt(0) lgkmcnt(0)
	v_fmac_f64_e32 v[56:57], v[60:61], v[62:63]
	s_andn2_b64 exec, exec, s[0:1]
	s_cbranch_execnz .LBB25_113
; %bb.114:
	s_or_b64 exec, exec, s[0:1]
.LBB25_115:
	s_or_b64 exec, exec, s[8:9]
	v_mov_b32_e32 v58, 0
	ds_read_b64 v[58:59], v58 offset:104
	s_waitcnt lgkmcnt(0)
	v_mul_f64 v[56:57], v[56:57], v[58:59]
	scratch_store_dwordx2 off, v[56:57], off offset:104
.LBB25_116:
	s_or_b64 exec, exec, s[4:5]
	scratch_load_dwordx2 v[56:57], off, off offset:96
	v_cmp_lt_u32_e64 s[0:1], 12, v0
	s_waitcnt vmcnt(0)
	ds_write_b64 v1, v[56:57]
	s_waitcnt lgkmcnt(0)
	; wave barrier
	s_and_saveexec_b64 s[4:5], s[0:1]
	s_cbranch_execz .LBB25_126
; %bb.117:
	s_andn2_b64 vcc, exec, s[6:7]
	s_cbranch_vccnz .LBB25_119
; %bb.118:
	scratch_load_dwordx2 v[56:57], v21, off
	ds_read_b64 v[58:59], v1
	s_waitcnt vmcnt(0) lgkmcnt(0)
	v_mul_f64 v[56:57], v[56:57], v[58:59]
	s_cbranch_execz .LBB25_120
	s_branch .LBB25_121
.LBB25_119:
                                        ; implicit-def: $vgpr56_vgpr57
.LBB25_120:
	ds_read_b64 v[56:57], v1
.LBB25_121:
	s_and_saveexec_b64 s[8:9], s[2:3]
	s_cbranch_execz .LBB25_125
; %bb.122:
	s_movk_i32 s16, 0x68
	v_add_u32_e32 v58, -13, v0
	s_movk_i32 s17, 0x138
	s_mov_b64 s[2:3], 0
.LBB25_123:                             ; =>This Inner Loop Header: Depth=1
	scratch_load_dwordx2 v[60:61], off, s16
	v_mov_b32_e32 v59, s17
	ds_read_b64 v[62:63], v59
	v_add_u32_e32 v58, -1, v58
	s_add_i32 s17, s17, 8
	s_add_i32 s16, s16, 8
	v_cmp_eq_u32_e32 vcc, 0, v58
	s_or_b64 s[2:3], vcc, s[2:3]
	s_waitcnt vmcnt(0) lgkmcnt(0)
	v_fmac_f64_e32 v[56:57], v[60:61], v[62:63]
	s_andn2_b64 exec, exec, s[2:3]
	s_cbranch_execnz .LBB25_123
; %bb.124:
	s_or_b64 exec, exec, s[2:3]
.LBB25_125:
	s_or_b64 exec, exec, s[8:9]
	v_mov_b32_e32 v58, 0
	ds_read_b64 v[58:59], v58 offset:96
	s_waitcnt lgkmcnt(0)
	v_mul_f64 v[56:57], v[56:57], v[58:59]
	scratch_store_dwordx2 off, v[56:57], off offset:96
.LBB25_126:
	s_or_b64 exec, exec, s[4:5]
	scratch_load_dwordx2 v[56:57], off, off offset:88
	v_cmp_lt_u32_e64 s[2:3], 11, v0
	s_waitcnt vmcnt(0)
	ds_write_b64 v1, v[56:57]
	s_waitcnt lgkmcnt(0)
	; wave barrier
	s_and_saveexec_b64 s[4:5], s[2:3]
	s_cbranch_execz .LBB25_136
; %bb.127:
	s_andn2_b64 vcc, exec, s[6:7]
	s_cbranch_vccnz .LBB25_129
; %bb.128:
	scratch_load_dwordx2 v[56:57], v21, off
	ds_read_b64 v[58:59], v1
	s_waitcnt vmcnt(0) lgkmcnt(0)
	v_mul_f64 v[56:57], v[56:57], v[58:59]
	s_cbranch_execz .LBB25_130
	s_branch .LBB25_131
.LBB25_129:
                                        ; implicit-def: $vgpr56_vgpr57
.LBB25_130:
	ds_read_b64 v[56:57], v1
.LBB25_131:
	s_and_saveexec_b64 s[8:9], s[0:1]
	s_cbranch_execz .LBB25_135
; %bb.132:
	v_add_u32_e32 v58, -12, v0
	s_movk_i32 s16, 0x130
	s_mov_b64 s[0:1], 0
.LBB25_133:                             ; =>This Inner Loop Header: Depth=1
	scratch_load_dwordx2 v[60:61], off, s15
	v_mov_b32_e32 v59, s16
	ds_read_b64 v[62:63], v59
	v_add_u32_e32 v58, -1, v58
	s_add_i32 s16, s16, 8
	s_add_i32 s15, s15, 8
	v_cmp_eq_u32_e32 vcc, 0, v58
	s_or_b64 s[0:1], vcc, s[0:1]
	s_waitcnt vmcnt(0) lgkmcnt(0)
	v_fmac_f64_e32 v[56:57], v[60:61], v[62:63]
	s_andn2_b64 exec, exec, s[0:1]
	s_cbranch_execnz .LBB25_133
; %bb.134:
	s_or_b64 exec, exec, s[0:1]
.LBB25_135:
	s_or_b64 exec, exec, s[8:9]
	v_mov_b32_e32 v58, 0
	ds_read_b64 v[58:59], v58 offset:88
	s_waitcnt lgkmcnt(0)
	v_mul_f64 v[56:57], v[56:57], v[58:59]
	scratch_store_dwordx2 off, v[56:57], off offset:88
.LBB25_136:
	s_or_b64 exec, exec, s[4:5]
	scratch_load_dwordx2 v[56:57], off, off offset:80
	v_cmp_lt_u32_e64 s[0:1], 10, v0
	s_waitcnt vmcnt(0)
	ds_write_b64 v1, v[56:57]
	s_waitcnt lgkmcnt(0)
	; wave barrier
	s_and_saveexec_b64 s[4:5], s[0:1]
	s_cbranch_execz .LBB25_146
; %bb.137:
	s_andn2_b64 vcc, exec, s[6:7]
	s_cbranch_vccnz .LBB25_139
; %bb.138:
	scratch_load_dwordx2 v[56:57], v21, off
	ds_read_b64 v[58:59], v1
	s_waitcnt vmcnt(0) lgkmcnt(0)
	v_mul_f64 v[56:57], v[56:57], v[58:59]
	s_cbranch_execz .LBB25_140
	s_branch .LBB25_141
.LBB25_139:
                                        ; implicit-def: $vgpr56_vgpr57
.LBB25_140:
	ds_read_b64 v[56:57], v1
.LBB25_141:
	s_and_saveexec_b64 s[8:9], s[2:3]
	s_cbranch_execz .LBB25_145
; %bb.142:
	s_movk_i32 s15, 0x58
	v_add_u32_e32 v58, -11, v0
	s_movk_i32 s16, 0x128
	s_mov_b64 s[2:3], 0
.LBB25_143:                             ; =>This Inner Loop Header: Depth=1
	scratch_load_dwordx2 v[60:61], off, s15
	v_mov_b32_e32 v59, s16
	ds_read_b64 v[62:63], v59
	v_add_u32_e32 v58, -1, v58
	s_add_i32 s16, s16, 8
	s_add_i32 s15, s15, 8
	v_cmp_eq_u32_e32 vcc, 0, v58
	s_or_b64 s[2:3], vcc, s[2:3]
	s_waitcnt vmcnt(0) lgkmcnt(0)
	v_fmac_f64_e32 v[56:57], v[60:61], v[62:63]
	s_andn2_b64 exec, exec, s[2:3]
	s_cbranch_execnz .LBB25_143
; %bb.144:
	s_or_b64 exec, exec, s[2:3]
.LBB25_145:
	s_or_b64 exec, exec, s[8:9]
	v_mov_b32_e32 v58, 0
	ds_read_b64 v[58:59], v58 offset:80
	s_waitcnt lgkmcnt(0)
	v_mul_f64 v[56:57], v[56:57], v[58:59]
	scratch_store_dwordx2 off, v[56:57], off offset:80
.LBB25_146:
	s_or_b64 exec, exec, s[4:5]
	scratch_load_dwordx2 v[56:57], off, off offset:72
	v_cmp_lt_u32_e64 s[2:3], 9, v0
	s_waitcnt vmcnt(0)
	ds_write_b64 v1, v[56:57]
	s_waitcnt lgkmcnt(0)
	; wave barrier
	s_and_saveexec_b64 s[4:5], s[2:3]
	s_cbranch_execz .LBB25_156
; %bb.147:
	s_andn2_b64 vcc, exec, s[6:7]
	s_cbranch_vccnz .LBB25_149
; %bb.148:
	scratch_load_dwordx2 v[56:57], v21, off
	ds_read_b64 v[58:59], v1
	s_waitcnt vmcnt(0) lgkmcnt(0)
	v_mul_f64 v[56:57], v[56:57], v[58:59]
	s_cbranch_execz .LBB25_150
	s_branch .LBB25_151
.LBB25_149:
                                        ; implicit-def: $vgpr56_vgpr57
.LBB25_150:
	ds_read_b64 v[56:57], v1
.LBB25_151:
	s_and_saveexec_b64 s[8:9], s[0:1]
	s_cbranch_execz .LBB25_155
; %bb.152:
	v_add_u32_e32 v58, -10, v0
	s_movk_i32 s15, 0x120
	s_mov_b64 s[0:1], 0
.LBB25_153:                             ; =>This Inner Loop Header: Depth=1
	scratch_load_dwordx2 v[60:61], off, s14
	v_mov_b32_e32 v59, s15
	ds_read_b64 v[62:63], v59
	v_add_u32_e32 v58, -1, v58
	s_add_i32 s15, s15, 8
	s_add_i32 s14, s14, 8
	v_cmp_eq_u32_e32 vcc, 0, v58
	s_or_b64 s[0:1], vcc, s[0:1]
	s_waitcnt vmcnt(0) lgkmcnt(0)
	v_fmac_f64_e32 v[56:57], v[60:61], v[62:63]
	s_andn2_b64 exec, exec, s[0:1]
	s_cbranch_execnz .LBB25_153
; %bb.154:
	s_or_b64 exec, exec, s[0:1]
.LBB25_155:
	s_or_b64 exec, exec, s[8:9]
	v_mov_b32_e32 v58, 0
	ds_read_b64 v[58:59], v58 offset:72
	s_waitcnt lgkmcnt(0)
	v_mul_f64 v[56:57], v[56:57], v[58:59]
	scratch_store_dwordx2 off, v[56:57], off offset:72
.LBB25_156:
	s_or_b64 exec, exec, s[4:5]
	scratch_load_dwordx2 v[56:57], off, off offset:64
	v_cmp_lt_u32_e64 s[0:1], 8, v0
	s_waitcnt vmcnt(0)
	ds_write_b64 v1, v[56:57]
	s_waitcnt lgkmcnt(0)
	; wave barrier
	s_and_saveexec_b64 s[4:5], s[0:1]
	s_cbranch_execz .LBB25_166
; %bb.157:
	s_andn2_b64 vcc, exec, s[6:7]
	s_cbranch_vccnz .LBB25_159
; %bb.158:
	scratch_load_dwordx2 v[56:57], v21, off
	ds_read_b64 v[58:59], v1
	s_waitcnt vmcnt(0) lgkmcnt(0)
	v_mul_f64 v[56:57], v[56:57], v[58:59]
	s_cbranch_execz .LBB25_160
	s_branch .LBB25_161
.LBB25_159:
                                        ; implicit-def: $vgpr56_vgpr57
.LBB25_160:
	ds_read_b64 v[56:57], v1
.LBB25_161:
	s_and_saveexec_b64 s[8:9], s[2:3]
	s_cbranch_execz .LBB25_165
; %bb.162:
	s_movk_i32 s14, 0x48
	v_add_u32_e32 v58, -9, v0
	s_movk_i32 s15, 0x118
	s_mov_b64 s[2:3], 0
.LBB25_163:                             ; =>This Inner Loop Header: Depth=1
	scratch_load_dwordx2 v[60:61], off, s14
	v_mov_b32_e32 v59, s15
	ds_read_b64 v[62:63], v59
	v_add_u32_e32 v58, -1, v58
	s_add_i32 s15, s15, 8
	s_add_i32 s14, s14, 8
	v_cmp_eq_u32_e32 vcc, 0, v58
	s_or_b64 s[2:3], vcc, s[2:3]
	s_waitcnt vmcnt(0) lgkmcnt(0)
	v_fmac_f64_e32 v[56:57], v[60:61], v[62:63]
	s_andn2_b64 exec, exec, s[2:3]
	s_cbranch_execnz .LBB25_163
; %bb.164:
	s_or_b64 exec, exec, s[2:3]
.LBB25_165:
	s_or_b64 exec, exec, s[8:9]
	v_mov_b32_e32 v58, 0
	ds_read_b64 v[58:59], v58 offset:64
	s_waitcnt lgkmcnt(0)
	v_mul_f64 v[56:57], v[56:57], v[58:59]
	scratch_store_dwordx2 off, v[56:57], off offset:64
.LBB25_166:
	s_or_b64 exec, exec, s[4:5]
	scratch_load_dwordx2 v[56:57], off, off offset:56
	v_cmp_lt_u32_e64 s[2:3], 7, v0
	s_waitcnt vmcnt(0)
	ds_write_b64 v1, v[56:57]
	s_waitcnt lgkmcnt(0)
	; wave barrier
	s_and_saveexec_b64 s[4:5], s[2:3]
	s_cbranch_execz .LBB25_176
; %bb.167:
	s_andn2_b64 vcc, exec, s[6:7]
	s_cbranch_vccnz .LBB25_169
; %bb.168:
	scratch_load_dwordx2 v[56:57], v21, off
	ds_read_b64 v[58:59], v1
	s_waitcnt vmcnt(0) lgkmcnt(0)
	v_mul_f64 v[56:57], v[56:57], v[58:59]
	s_cbranch_execz .LBB25_170
	s_branch .LBB25_171
.LBB25_169:
                                        ; implicit-def: $vgpr56_vgpr57
.LBB25_170:
	ds_read_b64 v[56:57], v1
.LBB25_171:
	s_and_saveexec_b64 s[8:9], s[0:1]
	s_cbranch_execz .LBB25_175
; %bb.172:
	v_add_u32_e32 v58, -8, v0
	s_movk_i32 s14, 0x110
	s_mov_b64 s[0:1], 0
.LBB25_173:                             ; =>This Inner Loop Header: Depth=1
	scratch_load_dwordx2 v[60:61], off, s13
	v_mov_b32_e32 v59, s14
	ds_read_b64 v[62:63], v59
	v_add_u32_e32 v58, -1, v58
	s_add_i32 s14, s14, 8
	s_add_i32 s13, s13, 8
	v_cmp_eq_u32_e32 vcc, 0, v58
	s_or_b64 s[0:1], vcc, s[0:1]
	s_waitcnt vmcnt(0) lgkmcnt(0)
	v_fmac_f64_e32 v[56:57], v[60:61], v[62:63]
	s_andn2_b64 exec, exec, s[0:1]
	s_cbranch_execnz .LBB25_173
; %bb.174:
	s_or_b64 exec, exec, s[0:1]
.LBB25_175:
	s_or_b64 exec, exec, s[8:9]
	v_mov_b32_e32 v58, 0
	ds_read_b64 v[58:59], v58 offset:56
	s_waitcnt lgkmcnt(0)
	v_mul_f64 v[56:57], v[56:57], v[58:59]
	scratch_store_dwordx2 off, v[56:57], off offset:56
.LBB25_176:
	s_or_b64 exec, exec, s[4:5]
	scratch_load_dwordx2 v[56:57], off, off offset:48
	v_cmp_lt_u32_e64 s[0:1], 6, v0
	s_waitcnt vmcnt(0)
	ds_write_b64 v1, v[56:57]
	s_waitcnt lgkmcnt(0)
	; wave barrier
	s_and_saveexec_b64 s[4:5], s[0:1]
	s_cbranch_execz .LBB25_186
; %bb.177:
	s_andn2_b64 vcc, exec, s[6:7]
	s_cbranch_vccnz .LBB25_179
; %bb.178:
	scratch_load_dwordx2 v[56:57], v21, off
	ds_read_b64 v[58:59], v1
	s_waitcnt vmcnt(0) lgkmcnt(0)
	v_mul_f64 v[56:57], v[56:57], v[58:59]
	s_cbranch_execz .LBB25_180
	s_branch .LBB25_181
.LBB25_179:
                                        ; implicit-def: $vgpr56_vgpr57
.LBB25_180:
	ds_read_b64 v[56:57], v1
.LBB25_181:
	s_and_saveexec_b64 s[8:9], s[2:3]
	s_cbranch_execz .LBB25_185
; %bb.182:
	s_mov_b32 s13, 56
	v_add_u32_e32 v58, -7, v0
	s_movk_i32 s14, 0x108
	s_mov_b64 s[2:3], 0
.LBB25_183:                             ; =>This Inner Loop Header: Depth=1
	scratch_load_dwordx2 v[60:61], off, s13
	v_mov_b32_e32 v59, s14
	ds_read_b64 v[62:63], v59
	v_add_u32_e32 v58, -1, v58
	s_add_i32 s14, s14, 8
	s_add_i32 s13, s13, 8
	v_cmp_eq_u32_e32 vcc, 0, v58
	s_or_b64 s[2:3], vcc, s[2:3]
	s_waitcnt vmcnt(0) lgkmcnt(0)
	v_fmac_f64_e32 v[56:57], v[60:61], v[62:63]
	s_andn2_b64 exec, exec, s[2:3]
	s_cbranch_execnz .LBB25_183
; %bb.184:
	s_or_b64 exec, exec, s[2:3]
.LBB25_185:
	s_or_b64 exec, exec, s[8:9]
	v_mov_b32_e32 v58, 0
	ds_read_b64 v[58:59], v58 offset:48
	s_waitcnt lgkmcnt(0)
	v_mul_f64 v[56:57], v[56:57], v[58:59]
	scratch_store_dwordx2 off, v[56:57], off offset:48
.LBB25_186:
	s_or_b64 exec, exec, s[4:5]
	scratch_load_dwordx2 v[56:57], off, off offset:40
	v_cmp_lt_u32_e64 s[2:3], 5, v0
	s_waitcnt vmcnt(0)
	ds_write_b64 v1, v[56:57]
	s_waitcnt lgkmcnt(0)
	; wave barrier
	s_and_saveexec_b64 s[4:5], s[2:3]
	s_cbranch_execz .LBB25_196
; %bb.187:
	s_andn2_b64 vcc, exec, s[6:7]
	s_cbranch_vccnz .LBB25_189
; %bb.188:
	scratch_load_dwordx2 v[56:57], v21, off
	ds_read_b64 v[58:59], v1
	s_waitcnt vmcnt(0) lgkmcnt(0)
	v_mul_f64 v[56:57], v[56:57], v[58:59]
	s_cbranch_execz .LBB25_190
	s_branch .LBB25_191
.LBB25_189:
                                        ; implicit-def: $vgpr56_vgpr57
.LBB25_190:
	ds_read_b64 v[56:57], v1
.LBB25_191:
	s_and_saveexec_b64 s[8:9], s[0:1]
	s_cbranch_execz .LBB25_195
; %bb.192:
	v_add_u32_e32 v58, -6, v0
	s_movk_i32 s13, 0x100
	s_mov_b64 s[0:1], 0
.LBB25_193:                             ; =>This Inner Loop Header: Depth=1
	scratch_load_dwordx2 v[60:61], off, s12
	v_mov_b32_e32 v59, s13
	ds_read_b64 v[62:63], v59
	v_add_u32_e32 v58, -1, v58
	s_add_i32 s13, s13, 8
	s_add_i32 s12, s12, 8
	v_cmp_eq_u32_e32 vcc, 0, v58
	s_or_b64 s[0:1], vcc, s[0:1]
	s_waitcnt vmcnt(0) lgkmcnt(0)
	v_fmac_f64_e32 v[56:57], v[60:61], v[62:63]
	s_andn2_b64 exec, exec, s[0:1]
	s_cbranch_execnz .LBB25_193
; %bb.194:
	s_or_b64 exec, exec, s[0:1]
.LBB25_195:
	s_or_b64 exec, exec, s[8:9]
	v_mov_b32_e32 v58, 0
	ds_read_b64 v[58:59], v58 offset:40
	s_waitcnt lgkmcnt(0)
	v_mul_f64 v[56:57], v[56:57], v[58:59]
	scratch_store_dwordx2 off, v[56:57], off offset:40
.LBB25_196:
	s_or_b64 exec, exec, s[4:5]
	scratch_load_dwordx2 v[56:57], off, off offset:32
	v_cmp_lt_u32_e64 s[0:1], 4, v0
	s_waitcnt vmcnt(0)
	ds_write_b64 v1, v[56:57]
	s_waitcnt lgkmcnt(0)
	; wave barrier
	s_and_saveexec_b64 s[4:5], s[0:1]
	s_cbranch_execz .LBB25_206
; %bb.197:
	s_andn2_b64 vcc, exec, s[6:7]
	s_cbranch_vccnz .LBB25_199
; %bb.198:
	scratch_load_dwordx2 v[56:57], v21, off
	ds_read_b64 v[58:59], v1
	s_waitcnt vmcnt(0) lgkmcnt(0)
	v_mul_f64 v[56:57], v[56:57], v[58:59]
	s_cbranch_execz .LBB25_200
	s_branch .LBB25_201
.LBB25_199:
                                        ; implicit-def: $vgpr56_vgpr57
.LBB25_200:
	ds_read_b64 v[56:57], v1
.LBB25_201:
	s_and_saveexec_b64 s[8:9], s[2:3]
	s_cbranch_execz .LBB25_205
; %bb.202:
	s_mov_b32 s12, 40
	v_add_u32_e32 v58, -5, v0
	s_movk_i32 s13, 0xf8
	s_mov_b64 s[2:3], 0
.LBB25_203:                             ; =>This Inner Loop Header: Depth=1
	scratch_load_dwordx2 v[60:61], off, s12
	v_mov_b32_e32 v59, s13
	ds_read_b64 v[62:63], v59
	v_add_u32_e32 v58, -1, v58
	s_add_i32 s13, s13, 8
	s_add_i32 s12, s12, 8
	v_cmp_eq_u32_e32 vcc, 0, v58
	s_or_b64 s[2:3], vcc, s[2:3]
	s_waitcnt vmcnt(0) lgkmcnt(0)
	v_fmac_f64_e32 v[56:57], v[60:61], v[62:63]
	s_andn2_b64 exec, exec, s[2:3]
	s_cbranch_execnz .LBB25_203
; %bb.204:
	s_or_b64 exec, exec, s[2:3]
.LBB25_205:
	s_or_b64 exec, exec, s[8:9]
	v_mov_b32_e32 v58, 0
	ds_read_b64 v[58:59], v58 offset:32
	s_waitcnt lgkmcnt(0)
	v_mul_f64 v[56:57], v[56:57], v[58:59]
	scratch_store_dwordx2 off, v[56:57], off offset:32
.LBB25_206:
	s_or_b64 exec, exec, s[4:5]
	scratch_load_dwordx2 v[56:57], off, off offset:24
	v_cmp_lt_u32_e64 s[2:3], 3, v0
	s_waitcnt vmcnt(0)
	ds_write_b64 v1, v[56:57]
	s_waitcnt lgkmcnt(0)
	; wave barrier
	s_and_saveexec_b64 s[4:5], s[2:3]
	s_cbranch_execz .LBB25_216
; %bb.207:
	s_andn2_b64 vcc, exec, s[6:7]
	s_cbranch_vccnz .LBB25_209
; %bb.208:
	scratch_load_dwordx2 v[56:57], v21, off
	ds_read_b64 v[58:59], v1
	s_waitcnt vmcnt(0) lgkmcnt(0)
	v_mul_f64 v[56:57], v[56:57], v[58:59]
	s_cbranch_execz .LBB25_210
	s_branch .LBB25_211
.LBB25_209:
                                        ; implicit-def: $vgpr56_vgpr57
.LBB25_210:
	ds_read_b64 v[56:57], v1
.LBB25_211:
	s_and_saveexec_b64 s[8:9], s[0:1]
	s_cbranch_execz .LBB25_215
; %bb.212:
	v_add_u32_e32 v58, -4, v0
	s_movk_i32 s12, 0xf0
	s_mov_b64 s[0:1], 0
.LBB25_213:                             ; =>This Inner Loop Header: Depth=1
	scratch_load_dwordx2 v[60:61], off, s11
	v_mov_b32_e32 v59, s12
	ds_read_b64 v[62:63], v59
	v_add_u32_e32 v58, -1, v58
	s_add_i32 s12, s12, 8
	s_add_i32 s11, s11, 8
	v_cmp_eq_u32_e32 vcc, 0, v58
	s_or_b64 s[0:1], vcc, s[0:1]
	s_waitcnt vmcnt(0) lgkmcnt(0)
	v_fmac_f64_e32 v[56:57], v[60:61], v[62:63]
	s_andn2_b64 exec, exec, s[0:1]
	s_cbranch_execnz .LBB25_213
; %bb.214:
	s_or_b64 exec, exec, s[0:1]
.LBB25_215:
	s_or_b64 exec, exec, s[8:9]
	v_mov_b32_e32 v58, 0
	ds_read_b64 v[58:59], v58 offset:24
	s_waitcnt lgkmcnt(0)
	v_mul_f64 v[56:57], v[56:57], v[58:59]
	scratch_store_dwordx2 off, v[56:57], off offset:24
.LBB25_216:
	s_or_b64 exec, exec, s[4:5]
	scratch_load_dwordx2 v[56:57], off, off offset:16
	v_cmp_lt_u32_e64 s[0:1], 2, v0
	s_waitcnt vmcnt(0)
	ds_write_b64 v1, v[56:57]
	s_waitcnt lgkmcnt(0)
	; wave barrier
	s_and_saveexec_b64 s[4:5], s[0:1]
	s_cbranch_execz .LBB25_226
; %bb.217:
	s_andn2_b64 vcc, exec, s[6:7]
	s_cbranch_vccnz .LBB25_219
; %bb.218:
	scratch_load_dwordx2 v[56:57], v21, off
	ds_read_b64 v[58:59], v1
	s_waitcnt vmcnt(0) lgkmcnt(0)
	v_mul_f64 v[56:57], v[56:57], v[58:59]
	s_cbranch_execz .LBB25_220
	s_branch .LBB25_221
.LBB25_219:
                                        ; implicit-def: $vgpr56_vgpr57
.LBB25_220:
	ds_read_b64 v[56:57], v1
.LBB25_221:
	s_and_saveexec_b64 s[8:9], s[2:3]
	s_cbranch_execz .LBB25_225
; %bb.222:
	s_mov_b32 s11, 24
	v_add_u32_e32 v58, -3, v0
	s_movk_i32 s12, 0xe8
	s_mov_b64 s[2:3], 0
.LBB25_223:                             ; =>This Inner Loop Header: Depth=1
	scratch_load_dwordx2 v[60:61], off, s11
	v_mov_b32_e32 v59, s12
	ds_read_b64 v[62:63], v59
	v_add_u32_e32 v58, -1, v58
	s_add_i32 s12, s12, 8
	s_add_i32 s11, s11, 8
	v_cmp_eq_u32_e32 vcc, 0, v58
	s_or_b64 s[2:3], vcc, s[2:3]
	s_waitcnt vmcnt(0) lgkmcnt(0)
	v_fmac_f64_e32 v[56:57], v[60:61], v[62:63]
	s_andn2_b64 exec, exec, s[2:3]
	s_cbranch_execnz .LBB25_223
; %bb.224:
	s_or_b64 exec, exec, s[2:3]
.LBB25_225:
	s_or_b64 exec, exec, s[8:9]
	v_mov_b32_e32 v58, 0
	ds_read_b64 v[58:59], v58 offset:16
	s_waitcnt lgkmcnt(0)
	v_mul_f64 v[56:57], v[56:57], v[58:59]
	scratch_store_dwordx2 off, v[56:57], off offset:16
.LBB25_226:
	s_or_b64 exec, exec, s[4:5]
	scratch_load_dwordx2 v[56:57], off, off offset:8
	v_cmp_lt_u32_e64 s[2:3], 1, v0
	s_waitcnt vmcnt(0)
	ds_write_b64 v1, v[56:57]
	s_waitcnt lgkmcnt(0)
	; wave barrier
	s_and_saveexec_b64 s[4:5], s[2:3]
	s_cbranch_execz .LBB25_236
; %bb.227:
	s_andn2_b64 vcc, exec, s[6:7]
	s_cbranch_vccnz .LBB25_229
; %bb.228:
	scratch_load_dwordx2 v[56:57], v21, off
	ds_read_b64 v[58:59], v1
	s_waitcnt vmcnt(0) lgkmcnt(0)
	v_mul_f64 v[56:57], v[56:57], v[58:59]
	s_cbranch_execz .LBB25_230
	s_branch .LBB25_231
.LBB25_229:
                                        ; implicit-def: $vgpr56_vgpr57
.LBB25_230:
	ds_read_b64 v[56:57], v1
.LBB25_231:
	s_and_saveexec_b64 s[8:9], s[0:1]
	s_cbranch_execz .LBB25_235
; %bb.232:
	v_add_u32_e32 v58, -2, v0
	s_movk_i32 s11, 0xe0
	s_mov_b64 s[0:1], 0
.LBB25_233:                             ; =>This Inner Loop Header: Depth=1
	scratch_load_dwordx2 v[60:61], off, s10
	v_mov_b32_e32 v59, s11
	ds_read_b64 v[62:63], v59
	v_add_u32_e32 v58, -1, v58
	s_add_i32 s11, s11, 8
	s_add_i32 s10, s10, 8
	v_cmp_eq_u32_e32 vcc, 0, v58
	s_or_b64 s[0:1], vcc, s[0:1]
	s_waitcnt vmcnt(0) lgkmcnt(0)
	v_fmac_f64_e32 v[56:57], v[60:61], v[62:63]
	s_andn2_b64 exec, exec, s[0:1]
	s_cbranch_execnz .LBB25_233
; %bb.234:
	s_or_b64 exec, exec, s[0:1]
.LBB25_235:
	s_or_b64 exec, exec, s[8:9]
	v_mov_b32_e32 v58, 0
	ds_read_b64 v[58:59], v58 offset:8
	s_waitcnt lgkmcnt(0)
	v_mul_f64 v[56:57], v[56:57], v[58:59]
	scratch_store_dwordx2 off, v[56:57], off offset:8
.LBB25_236:
	s_or_b64 exec, exec, s[4:5]
	scratch_load_dwordx2 v[56:57], off, off
	v_cmp_ne_u32_e32 vcc, 0, v0
	s_waitcnt vmcnt(0)
	ds_write_b64 v1, v[56:57]
	s_waitcnt lgkmcnt(0)
	; wave barrier
	s_and_saveexec_b64 s[0:1], vcc
	s_cbranch_execz .LBB25_246
; %bb.237:
	s_andn2_b64 vcc, exec, s[6:7]
	s_cbranch_vccnz .LBB25_239
; %bb.238:
	scratch_load_dwordx2 v[56:57], v21, off
	ds_read_b64 v[58:59], v1
	s_waitcnt vmcnt(0) lgkmcnt(0)
	v_mul_f64 v[56:57], v[56:57], v[58:59]
	s_cbranch_execz .LBB25_240
	s_branch .LBB25_241
.LBB25_239:
                                        ; implicit-def: $vgpr56_vgpr57
.LBB25_240:
	ds_read_b64 v[56:57], v1
.LBB25_241:
	s_and_saveexec_b64 s[4:5], s[2:3]
	s_cbranch_execz .LBB25_245
; %bb.242:
	s_or_b32 s8, 0, 8
	v_add_u32_e32 v58, -1, v0
	s_movk_i32 s9, 0xd8
	s_mov_b64 s[2:3], 0
.LBB25_243:                             ; =>This Inner Loop Header: Depth=1
	scratch_load_dwordx2 v[60:61], off, s8
	v_mov_b32_e32 v59, s9
	ds_read_b64 v[62:63], v59
	v_add_u32_e32 v58, -1, v58
	s_add_i32 s9, s9, 8
	s_add_i32 s8, s8, 8
	v_cmp_eq_u32_e32 vcc, 0, v58
	s_or_b64 s[2:3], vcc, s[2:3]
	s_waitcnt vmcnt(0) lgkmcnt(0)
	v_fmac_f64_e32 v[56:57], v[60:61], v[62:63]
	s_andn2_b64 exec, exec, s[2:3]
	s_cbranch_execnz .LBB25_243
; %bb.244:
	s_or_b64 exec, exec, s[2:3]
.LBB25_245:
	s_or_b64 exec, exec, s[4:5]
	v_mov_b32_e32 v58, 0
	ds_read_b64 v[58:59], v58
	s_waitcnt lgkmcnt(0)
	v_mul_f64 v[56:57], v[56:57], v[58:59]
	scratch_store_dwordx2 off, v[56:57], off
.LBB25_246:
	s_or_b64 exec, exec, s[0:1]
	s_mov_b64 s[0:1], 0
.LBB25_247:
	s_and_b64 vcc, exec, s[0:1]
	s_cbranch_vccz .LBB25_489
; %bb.248:
	scratch_load_dwordx2 v[56:57], off, off offset:8
	v_cmp_eq_u32_e64 s[2:3], 0, v0
	s_waitcnt vmcnt(0)
	ds_write_b64 v1, v[56:57]
	s_waitcnt lgkmcnt(0)
	; wave barrier
	s_and_saveexec_b64 s[0:1], s[2:3]
	s_cbranch_execz .LBB25_254
; %bb.249:
	s_and_b64 vcc, exec, s[6:7]
	s_cbranch_vccz .LBB25_251
; %bb.250:
	scratch_load_dwordx2 v[56:57], v21, off
	ds_read_b64 v[58:59], v1
	s_waitcnt vmcnt(0) lgkmcnt(0)
	v_mul_f64 v[56:57], v[56:57], v[58:59]
	s_cbranch_execz .LBB25_252
	s_branch .LBB25_253
.LBB25_251:
                                        ; implicit-def: $vgpr56_vgpr57
.LBB25_252:
	ds_read_b64 v[56:57], v1
.LBB25_253:
	v_mov_b32_e32 v58, 0
	ds_read_b64 v[58:59], v58 offset:8
	s_waitcnt lgkmcnt(0)
	v_mul_f64 v[56:57], v[56:57], v[58:59]
	scratch_store_dwordx2 off, v[56:57], off offset:8
.LBB25_254:
	s_or_b64 exec, exec, s[0:1]
	scratch_load_dwordx2 v[56:57], off, off offset:16
	v_cndmask_b32_e64 v58, 0, 1, s[6:7]
	v_cmp_gt_u32_e32 vcc, 2, v0
	v_cmp_ne_u32_e64 s[0:1], 1, v58
	s_waitcnt vmcnt(0)
	ds_write_b64 v1, v[56:57]
	s_waitcnt lgkmcnt(0)
	; wave barrier
	s_and_saveexec_b64 s[4:5], vcc
	s_cbranch_execz .LBB25_260
; %bb.255:
	s_and_b64 vcc, exec, s[0:1]
	s_cbranch_vccnz .LBB25_257
; %bb.256:
	scratch_load_dwordx2 v[56:57], v21, off
	ds_read_b64 v[58:59], v1
	s_waitcnt vmcnt(0) lgkmcnt(0)
	v_mul_f64 v[56:57], v[56:57], v[58:59]
	s_cbranch_execz .LBB25_258
	s_branch .LBB25_259
.LBB25_257:
                                        ; implicit-def: $vgpr56_vgpr57
.LBB25_258:
	ds_read_b64 v[56:57], v1
.LBB25_259:
	scratch_load_dwordx2 v[62:63], off, off offset:8
	v_mov_b32_e32 v58, 0
	ds_read2_b64 v[58:61], v58 offset0:2 offset1:27
	s_waitcnt vmcnt(0) lgkmcnt(0)
	v_fma_f64 v[60:61], v[62:63], v[60:61], v[56:57]
	v_cndmask_b32_e64 v57, v57, v61, s[2:3]
	v_cndmask_b32_e64 v56, v56, v60, s[2:3]
	v_mul_f64 v[56:57], v[56:57], v[58:59]
	scratch_store_dwordx2 off, v[56:57], off offset:16
.LBB25_260:
	s_or_b64 exec, exec, s[4:5]
	scratch_load_dwordx2 v[56:57], off, off offset:24
	v_cmp_gt_u32_e32 vcc, 3, v0
	s_waitcnt vmcnt(0)
	ds_write_b64 v1, v[56:57]
	s_waitcnt lgkmcnt(0)
	; wave barrier
	s_and_saveexec_b64 s[4:5], vcc
	s_cbranch_execz .LBB25_268
; %bb.261:
	s_and_b64 vcc, exec, s[0:1]
	s_cbranch_vccnz .LBB25_263
; %bb.262:
	scratch_load_dwordx2 v[56:57], v21, off
	ds_read_b64 v[58:59], v1
	s_waitcnt vmcnt(0) lgkmcnt(0)
	v_mul_f64 v[56:57], v[56:57], v[58:59]
	s_cbranch_execz .LBB25_264
	s_branch .LBB25_265
.LBB25_263:
                                        ; implicit-def: $vgpr56_vgpr57
.LBB25_264:
	ds_read_b64 v[56:57], v1
.LBB25_265:
	v_cmp_ne_u32_e32 vcc, 2, v0
	s_and_saveexec_b64 s[6:7], vcc
	s_cbranch_execz .LBB25_267
; %bb.266:
	scratch_load_dwordx2 v[58:59], v21, off offset:8
	scratch_load_dwordx2 v[60:61], off, off offset:16
	ds_read_b64 v[62:63], v1 offset:8
	v_mov_b32_e32 v64, 0
	ds_read_b64 v[64:65], v64 offset:224
	s_waitcnt vmcnt(1) lgkmcnt(1)
	v_fmac_f64_e32 v[56:57], v[58:59], v[62:63]
	s_waitcnt vmcnt(0) lgkmcnt(0)
	v_fma_f64 v[58:59], v[60:61], v[64:65], v[56:57]
	v_cndmask_b32_e64 v57, v57, v59, s[2:3]
	v_cndmask_b32_e64 v56, v56, v58, s[2:3]
.LBB25_267:
	s_or_b64 exec, exec, s[6:7]
	v_mov_b32_e32 v58, 0
	ds_read_b64 v[58:59], v58 offset:24
	s_waitcnt lgkmcnt(0)
	v_mul_f64 v[56:57], v[56:57], v[58:59]
	scratch_store_dwordx2 off, v[56:57], off offset:24
.LBB25_268:
	s_or_b64 exec, exec, s[4:5]
	scratch_load_dwordx2 v[56:57], off, off offset:32
	v_cmp_gt_u32_e32 vcc, 4, v0
	s_waitcnt vmcnt(0)
	ds_write_b64 v1, v[56:57]
	s_waitcnt lgkmcnt(0)
	; wave barrier
	s_and_saveexec_b64 s[2:3], vcc
	s_cbranch_execz .LBB25_278
; %bb.269:
	s_and_b64 vcc, exec, s[0:1]
	s_cbranch_vccnz .LBB25_271
; %bb.270:
	scratch_load_dwordx2 v[56:57], v21, off
	ds_read_b64 v[58:59], v1
	s_waitcnt vmcnt(0) lgkmcnt(0)
	v_mul_f64 v[56:57], v[56:57], v[58:59]
	s_cbranch_execz .LBB25_272
	s_branch .LBB25_273
.LBB25_271:
                                        ; implicit-def: $vgpr56_vgpr57
.LBB25_272:
	ds_read_b64 v[56:57], v1
.LBB25_273:
	v_cmp_ne_u32_e32 vcc, 3, v0
	s_and_saveexec_b64 s[4:5], vcc
	s_cbranch_execz .LBB25_277
; %bb.274:
	s_mov_b32 s6, 0
	v_add_u32_e32 v58, 0xd8, v20
	v_add3_u32 v59, v20, s6, 8
	s_mov_b64 s[6:7], 0
	v_mov_b32_e32 v60, v0
.LBB25_275:                             ; =>This Inner Loop Header: Depth=1
	scratch_load_dwordx2 v[62:63], v59, off
	ds_read_b64 v[64:65], v58
	v_add_u32_e32 v60, 1, v60
	v_cmp_lt_u32_e32 vcc, 2, v60
	v_add_u32_e32 v58, 8, v58
	v_add_u32_e32 v59, 8, v59
	s_or_b64 s[6:7], vcc, s[6:7]
	s_waitcnt vmcnt(0) lgkmcnt(0)
	v_fmac_f64_e32 v[56:57], v[62:63], v[64:65]
	s_andn2_b64 exec, exec, s[6:7]
	s_cbranch_execnz .LBB25_275
; %bb.276:
	s_or_b64 exec, exec, s[6:7]
.LBB25_277:
	s_or_b64 exec, exec, s[4:5]
	v_mov_b32_e32 v58, 0
	ds_read_b64 v[58:59], v58 offset:32
	s_waitcnt lgkmcnt(0)
	v_mul_f64 v[56:57], v[56:57], v[58:59]
	scratch_store_dwordx2 off, v[56:57], off offset:32
.LBB25_278:
	s_or_b64 exec, exec, s[2:3]
	scratch_load_dwordx2 v[56:57], off, off offset:40
	v_cmp_gt_u32_e32 vcc, 5, v0
	s_waitcnt vmcnt(0)
	ds_write_b64 v1, v[56:57]
	s_waitcnt lgkmcnt(0)
	; wave barrier
	s_and_saveexec_b64 s[2:3], vcc
	s_cbranch_execz .LBB25_288
; %bb.279:
	s_and_b64 vcc, exec, s[0:1]
	s_cbranch_vccnz .LBB25_281
; %bb.280:
	scratch_load_dwordx2 v[56:57], v21, off
	ds_read_b64 v[58:59], v1
	s_waitcnt vmcnt(0) lgkmcnt(0)
	v_mul_f64 v[56:57], v[56:57], v[58:59]
	s_cbranch_execz .LBB25_282
	s_branch .LBB25_283
.LBB25_281:
                                        ; implicit-def: $vgpr56_vgpr57
.LBB25_282:
	ds_read_b64 v[56:57], v1
.LBB25_283:
	v_cmp_ne_u32_e32 vcc, 4, v0
	s_and_saveexec_b64 s[4:5], vcc
	s_cbranch_execz .LBB25_287
; %bb.284:
	s_mov_b32 s6, 0
	v_add_u32_e32 v58, 0xd8, v20
	v_add3_u32 v59, v20, s6, 8
	s_mov_b64 s[6:7], 0
	v_mov_b32_e32 v60, v0
.LBB25_285:                             ; =>This Inner Loop Header: Depth=1
	scratch_load_dwordx2 v[62:63], v59, off
	ds_read_b64 v[64:65], v58
	v_add_u32_e32 v60, 1, v60
	v_cmp_lt_u32_e32 vcc, 3, v60
	v_add_u32_e32 v58, 8, v58
	v_add_u32_e32 v59, 8, v59
	s_or_b64 s[6:7], vcc, s[6:7]
	s_waitcnt vmcnt(0) lgkmcnt(0)
	v_fmac_f64_e32 v[56:57], v[62:63], v[64:65]
	s_andn2_b64 exec, exec, s[6:7]
	s_cbranch_execnz .LBB25_285
; %bb.286:
	s_or_b64 exec, exec, s[6:7]
.LBB25_287:
	s_or_b64 exec, exec, s[4:5]
	v_mov_b32_e32 v58, 0
	ds_read_b64 v[58:59], v58 offset:40
	s_waitcnt lgkmcnt(0)
	v_mul_f64 v[56:57], v[56:57], v[58:59]
	scratch_store_dwordx2 off, v[56:57], off offset:40
.LBB25_288:
	s_or_b64 exec, exec, s[2:3]
	scratch_load_dwordx2 v[56:57], off, off offset:48
	v_cmp_gt_u32_e32 vcc, 6, v0
	s_waitcnt vmcnt(0)
	ds_write_b64 v1, v[56:57]
	s_waitcnt lgkmcnt(0)
	; wave barrier
	s_and_saveexec_b64 s[2:3], vcc
	s_cbranch_execz .LBB25_298
; %bb.289:
	s_and_b64 vcc, exec, s[0:1]
	s_cbranch_vccnz .LBB25_291
; %bb.290:
	scratch_load_dwordx2 v[56:57], v21, off
	ds_read_b64 v[58:59], v1
	s_waitcnt vmcnt(0) lgkmcnt(0)
	v_mul_f64 v[56:57], v[56:57], v[58:59]
	s_cbranch_execz .LBB25_292
	s_branch .LBB25_293
.LBB25_291:
                                        ; implicit-def: $vgpr56_vgpr57
.LBB25_292:
	ds_read_b64 v[56:57], v1
.LBB25_293:
	v_cmp_ne_u32_e32 vcc, 5, v0
	s_and_saveexec_b64 s[4:5], vcc
	s_cbranch_execz .LBB25_297
; %bb.294:
	s_mov_b32 s6, 0
	v_add_u32_e32 v58, 0xd8, v20
	v_add3_u32 v59, v20, s6, 8
	s_mov_b64 s[6:7], 0
	v_mov_b32_e32 v60, v0
.LBB25_295:                             ; =>This Inner Loop Header: Depth=1
	scratch_load_dwordx2 v[62:63], v59, off
	ds_read_b64 v[64:65], v58
	v_add_u32_e32 v60, 1, v60
	v_cmp_lt_u32_e32 vcc, 4, v60
	v_add_u32_e32 v58, 8, v58
	v_add_u32_e32 v59, 8, v59
	s_or_b64 s[6:7], vcc, s[6:7]
	s_waitcnt vmcnt(0) lgkmcnt(0)
	v_fmac_f64_e32 v[56:57], v[62:63], v[64:65]
	s_andn2_b64 exec, exec, s[6:7]
	s_cbranch_execnz .LBB25_295
; %bb.296:
	s_or_b64 exec, exec, s[6:7]
.LBB25_297:
	s_or_b64 exec, exec, s[4:5]
	v_mov_b32_e32 v58, 0
	ds_read_b64 v[58:59], v58 offset:48
	s_waitcnt lgkmcnt(0)
	v_mul_f64 v[56:57], v[56:57], v[58:59]
	scratch_store_dwordx2 off, v[56:57], off offset:48
.LBB25_298:
	s_or_b64 exec, exec, s[2:3]
	scratch_load_dwordx2 v[56:57], off, off offset:56
	v_cmp_gt_u32_e32 vcc, 7, v0
	s_waitcnt vmcnt(0)
	ds_write_b64 v1, v[56:57]
	s_waitcnt lgkmcnt(0)
	; wave barrier
	s_and_saveexec_b64 s[2:3], vcc
	s_cbranch_execz .LBB25_308
; %bb.299:
	s_and_b64 vcc, exec, s[0:1]
	s_cbranch_vccnz .LBB25_301
; %bb.300:
	scratch_load_dwordx2 v[56:57], v21, off
	ds_read_b64 v[58:59], v1
	s_waitcnt vmcnt(0) lgkmcnt(0)
	v_mul_f64 v[56:57], v[56:57], v[58:59]
	s_cbranch_execz .LBB25_302
	s_branch .LBB25_303
.LBB25_301:
                                        ; implicit-def: $vgpr56_vgpr57
.LBB25_302:
	ds_read_b64 v[56:57], v1
.LBB25_303:
	v_cmp_ne_u32_e32 vcc, 6, v0
	s_and_saveexec_b64 s[4:5], vcc
	s_cbranch_execz .LBB25_307
; %bb.304:
	s_mov_b32 s6, 0
	v_add_u32_e32 v58, 0xd8, v20
	v_add3_u32 v59, v20, s6, 8
	s_mov_b64 s[6:7], 0
	v_mov_b32_e32 v60, v0
.LBB25_305:                             ; =>This Inner Loop Header: Depth=1
	scratch_load_dwordx2 v[62:63], v59, off
	ds_read_b64 v[64:65], v58
	v_add_u32_e32 v60, 1, v60
	v_cmp_lt_u32_e32 vcc, 5, v60
	v_add_u32_e32 v58, 8, v58
	v_add_u32_e32 v59, 8, v59
	s_or_b64 s[6:7], vcc, s[6:7]
	s_waitcnt vmcnt(0) lgkmcnt(0)
	v_fmac_f64_e32 v[56:57], v[62:63], v[64:65]
	s_andn2_b64 exec, exec, s[6:7]
	s_cbranch_execnz .LBB25_305
; %bb.306:
	s_or_b64 exec, exec, s[6:7]
.LBB25_307:
	s_or_b64 exec, exec, s[4:5]
	v_mov_b32_e32 v58, 0
	ds_read_b64 v[58:59], v58 offset:56
	s_waitcnt lgkmcnt(0)
	v_mul_f64 v[56:57], v[56:57], v[58:59]
	scratch_store_dwordx2 off, v[56:57], off offset:56
.LBB25_308:
	s_or_b64 exec, exec, s[2:3]
	scratch_load_dwordx2 v[56:57], off, off offset:64
	v_cmp_gt_u32_e32 vcc, 8, v0
	s_waitcnt vmcnt(0)
	ds_write_b64 v1, v[56:57]
	s_waitcnt lgkmcnt(0)
	; wave barrier
	s_and_saveexec_b64 s[2:3], vcc
	s_cbranch_execz .LBB25_318
; %bb.309:
	s_and_b64 vcc, exec, s[0:1]
	s_cbranch_vccnz .LBB25_311
; %bb.310:
	scratch_load_dwordx2 v[56:57], v21, off
	ds_read_b64 v[58:59], v1
	s_waitcnt vmcnt(0) lgkmcnt(0)
	v_mul_f64 v[56:57], v[56:57], v[58:59]
	s_cbranch_execz .LBB25_312
	s_branch .LBB25_313
.LBB25_311:
                                        ; implicit-def: $vgpr56_vgpr57
.LBB25_312:
	ds_read_b64 v[56:57], v1
.LBB25_313:
	v_cmp_ne_u32_e32 vcc, 7, v0
	s_and_saveexec_b64 s[4:5], vcc
	s_cbranch_execz .LBB25_317
; %bb.314:
	s_mov_b32 s6, 0
	v_add_u32_e32 v58, 0xd8, v20
	v_add3_u32 v59, v20, s6, 8
	s_mov_b64 s[6:7], 0
	v_mov_b32_e32 v60, v0
.LBB25_315:                             ; =>This Inner Loop Header: Depth=1
	scratch_load_dwordx2 v[62:63], v59, off
	ds_read_b64 v[64:65], v58
	v_add_u32_e32 v60, 1, v60
	v_cmp_lt_u32_e32 vcc, 6, v60
	v_add_u32_e32 v58, 8, v58
	v_add_u32_e32 v59, 8, v59
	s_or_b64 s[6:7], vcc, s[6:7]
	s_waitcnt vmcnt(0) lgkmcnt(0)
	v_fmac_f64_e32 v[56:57], v[62:63], v[64:65]
	s_andn2_b64 exec, exec, s[6:7]
	s_cbranch_execnz .LBB25_315
; %bb.316:
	s_or_b64 exec, exec, s[6:7]
.LBB25_317:
	s_or_b64 exec, exec, s[4:5]
	v_mov_b32_e32 v58, 0
	ds_read_b64 v[58:59], v58 offset:64
	s_waitcnt lgkmcnt(0)
	v_mul_f64 v[56:57], v[56:57], v[58:59]
	scratch_store_dwordx2 off, v[56:57], off offset:64
.LBB25_318:
	s_or_b64 exec, exec, s[2:3]
	scratch_load_dwordx2 v[56:57], off, off offset:72
	v_cmp_gt_u32_e32 vcc, 9, v0
	s_waitcnt vmcnt(0)
	ds_write_b64 v1, v[56:57]
	s_waitcnt lgkmcnt(0)
	; wave barrier
	s_and_saveexec_b64 s[2:3], vcc
	s_cbranch_execz .LBB25_328
; %bb.319:
	s_and_b64 vcc, exec, s[0:1]
	s_cbranch_vccnz .LBB25_321
; %bb.320:
	scratch_load_dwordx2 v[56:57], v21, off
	ds_read_b64 v[58:59], v1
	s_waitcnt vmcnt(0) lgkmcnt(0)
	v_mul_f64 v[56:57], v[56:57], v[58:59]
	s_cbranch_execz .LBB25_322
	s_branch .LBB25_323
.LBB25_321:
                                        ; implicit-def: $vgpr56_vgpr57
.LBB25_322:
	ds_read_b64 v[56:57], v1
.LBB25_323:
	v_cmp_ne_u32_e32 vcc, 8, v0
	s_and_saveexec_b64 s[4:5], vcc
	s_cbranch_execz .LBB25_327
; %bb.324:
	s_mov_b32 s6, 0
	v_add_u32_e32 v58, 0xd8, v20
	v_add3_u32 v59, v20, s6, 8
	s_mov_b64 s[6:7], 0
	v_mov_b32_e32 v60, v0
.LBB25_325:                             ; =>This Inner Loop Header: Depth=1
	scratch_load_dwordx2 v[62:63], v59, off
	ds_read_b64 v[64:65], v58
	v_add_u32_e32 v60, 1, v60
	v_cmp_lt_u32_e32 vcc, 7, v60
	v_add_u32_e32 v58, 8, v58
	v_add_u32_e32 v59, 8, v59
	s_or_b64 s[6:7], vcc, s[6:7]
	s_waitcnt vmcnt(0) lgkmcnt(0)
	v_fmac_f64_e32 v[56:57], v[62:63], v[64:65]
	s_andn2_b64 exec, exec, s[6:7]
	s_cbranch_execnz .LBB25_325
; %bb.326:
	s_or_b64 exec, exec, s[6:7]
.LBB25_327:
	s_or_b64 exec, exec, s[4:5]
	v_mov_b32_e32 v58, 0
	ds_read_b64 v[58:59], v58 offset:72
	s_waitcnt lgkmcnt(0)
	v_mul_f64 v[56:57], v[56:57], v[58:59]
	scratch_store_dwordx2 off, v[56:57], off offset:72
.LBB25_328:
	s_or_b64 exec, exec, s[2:3]
	scratch_load_dwordx2 v[56:57], off, off offset:80
	v_cmp_gt_u32_e32 vcc, 10, v0
	s_waitcnt vmcnt(0)
	ds_write_b64 v1, v[56:57]
	s_waitcnt lgkmcnt(0)
	; wave barrier
	s_and_saveexec_b64 s[2:3], vcc
	s_cbranch_execz .LBB25_338
; %bb.329:
	s_and_b64 vcc, exec, s[0:1]
	s_cbranch_vccnz .LBB25_331
; %bb.330:
	scratch_load_dwordx2 v[56:57], v21, off
	ds_read_b64 v[58:59], v1
	s_waitcnt vmcnt(0) lgkmcnt(0)
	v_mul_f64 v[56:57], v[56:57], v[58:59]
	s_cbranch_execz .LBB25_332
	s_branch .LBB25_333
.LBB25_331:
                                        ; implicit-def: $vgpr56_vgpr57
.LBB25_332:
	ds_read_b64 v[56:57], v1
.LBB25_333:
	v_cmp_ne_u32_e32 vcc, 9, v0
	s_and_saveexec_b64 s[4:5], vcc
	s_cbranch_execz .LBB25_337
; %bb.334:
	s_mov_b32 s6, 0
	v_add_u32_e32 v58, 0xd8, v20
	v_add3_u32 v59, v20, s6, 8
	s_mov_b64 s[6:7], 0
	v_mov_b32_e32 v60, v0
.LBB25_335:                             ; =>This Inner Loop Header: Depth=1
	scratch_load_dwordx2 v[62:63], v59, off
	ds_read_b64 v[64:65], v58
	v_add_u32_e32 v60, 1, v60
	v_cmp_lt_u32_e32 vcc, 8, v60
	v_add_u32_e32 v58, 8, v58
	v_add_u32_e32 v59, 8, v59
	s_or_b64 s[6:7], vcc, s[6:7]
	s_waitcnt vmcnt(0) lgkmcnt(0)
	v_fmac_f64_e32 v[56:57], v[62:63], v[64:65]
	s_andn2_b64 exec, exec, s[6:7]
	s_cbranch_execnz .LBB25_335
; %bb.336:
	s_or_b64 exec, exec, s[6:7]
.LBB25_337:
	s_or_b64 exec, exec, s[4:5]
	v_mov_b32_e32 v58, 0
	ds_read_b64 v[58:59], v58 offset:80
	s_waitcnt lgkmcnt(0)
	v_mul_f64 v[56:57], v[56:57], v[58:59]
	scratch_store_dwordx2 off, v[56:57], off offset:80
.LBB25_338:
	s_or_b64 exec, exec, s[2:3]
	scratch_load_dwordx2 v[56:57], off, off offset:88
	v_cmp_gt_u32_e32 vcc, 11, v0
	s_waitcnt vmcnt(0)
	ds_write_b64 v1, v[56:57]
	s_waitcnt lgkmcnt(0)
	; wave barrier
	s_and_saveexec_b64 s[2:3], vcc
	s_cbranch_execz .LBB25_348
; %bb.339:
	s_and_b64 vcc, exec, s[0:1]
	s_cbranch_vccnz .LBB25_341
; %bb.340:
	scratch_load_dwordx2 v[56:57], v21, off
	ds_read_b64 v[58:59], v1
	s_waitcnt vmcnt(0) lgkmcnt(0)
	v_mul_f64 v[56:57], v[56:57], v[58:59]
	s_cbranch_execz .LBB25_342
	s_branch .LBB25_343
.LBB25_341:
                                        ; implicit-def: $vgpr56_vgpr57
.LBB25_342:
	ds_read_b64 v[56:57], v1
.LBB25_343:
	v_cmp_ne_u32_e32 vcc, 10, v0
	s_and_saveexec_b64 s[4:5], vcc
	s_cbranch_execz .LBB25_347
; %bb.344:
	s_mov_b32 s6, 0
	v_add_u32_e32 v58, 0xd8, v20
	v_add3_u32 v59, v20, s6, 8
	s_mov_b64 s[6:7], 0
	v_mov_b32_e32 v60, v0
.LBB25_345:                             ; =>This Inner Loop Header: Depth=1
	scratch_load_dwordx2 v[62:63], v59, off
	ds_read_b64 v[64:65], v58
	v_add_u32_e32 v60, 1, v60
	v_cmp_lt_u32_e32 vcc, 9, v60
	v_add_u32_e32 v58, 8, v58
	v_add_u32_e32 v59, 8, v59
	s_or_b64 s[6:7], vcc, s[6:7]
	s_waitcnt vmcnt(0) lgkmcnt(0)
	v_fmac_f64_e32 v[56:57], v[62:63], v[64:65]
	s_andn2_b64 exec, exec, s[6:7]
	s_cbranch_execnz .LBB25_345
; %bb.346:
	s_or_b64 exec, exec, s[6:7]
.LBB25_347:
	s_or_b64 exec, exec, s[4:5]
	v_mov_b32_e32 v58, 0
	ds_read_b64 v[58:59], v58 offset:88
	s_waitcnt lgkmcnt(0)
	v_mul_f64 v[56:57], v[56:57], v[58:59]
	scratch_store_dwordx2 off, v[56:57], off offset:88
.LBB25_348:
	s_or_b64 exec, exec, s[2:3]
	scratch_load_dwordx2 v[56:57], off, off offset:96
	v_cmp_gt_u32_e32 vcc, 12, v0
	s_waitcnt vmcnt(0)
	ds_write_b64 v1, v[56:57]
	s_waitcnt lgkmcnt(0)
	; wave barrier
	s_and_saveexec_b64 s[2:3], vcc
	s_cbranch_execz .LBB25_358
; %bb.349:
	s_and_b64 vcc, exec, s[0:1]
	s_cbranch_vccnz .LBB25_351
; %bb.350:
	scratch_load_dwordx2 v[56:57], v21, off
	ds_read_b64 v[58:59], v1
	s_waitcnt vmcnt(0) lgkmcnt(0)
	v_mul_f64 v[56:57], v[56:57], v[58:59]
	s_cbranch_execz .LBB25_352
	s_branch .LBB25_353
.LBB25_351:
                                        ; implicit-def: $vgpr56_vgpr57
.LBB25_352:
	ds_read_b64 v[56:57], v1
.LBB25_353:
	v_cmp_ne_u32_e32 vcc, 11, v0
	s_and_saveexec_b64 s[4:5], vcc
	s_cbranch_execz .LBB25_357
; %bb.354:
	s_mov_b32 s6, 0
	v_add_u32_e32 v58, 0xd8, v20
	v_add3_u32 v59, v20, s6, 8
	s_mov_b64 s[6:7], 0
	v_mov_b32_e32 v60, v0
.LBB25_355:                             ; =>This Inner Loop Header: Depth=1
	scratch_load_dwordx2 v[62:63], v59, off
	ds_read_b64 v[64:65], v58
	v_add_u32_e32 v60, 1, v60
	v_cmp_lt_u32_e32 vcc, 10, v60
	v_add_u32_e32 v58, 8, v58
	v_add_u32_e32 v59, 8, v59
	s_or_b64 s[6:7], vcc, s[6:7]
	s_waitcnt vmcnt(0) lgkmcnt(0)
	v_fmac_f64_e32 v[56:57], v[62:63], v[64:65]
	s_andn2_b64 exec, exec, s[6:7]
	s_cbranch_execnz .LBB25_355
; %bb.356:
	s_or_b64 exec, exec, s[6:7]
.LBB25_357:
	s_or_b64 exec, exec, s[4:5]
	v_mov_b32_e32 v58, 0
	ds_read_b64 v[58:59], v58 offset:96
	s_waitcnt lgkmcnt(0)
	v_mul_f64 v[56:57], v[56:57], v[58:59]
	scratch_store_dwordx2 off, v[56:57], off offset:96
.LBB25_358:
	s_or_b64 exec, exec, s[2:3]
	scratch_load_dwordx2 v[56:57], off, off offset:104
	v_cmp_gt_u32_e32 vcc, 13, v0
	s_waitcnt vmcnt(0)
	ds_write_b64 v1, v[56:57]
	s_waitcnt lgkmcnt(0)
	; wave barrier
	s_and_saveexec_b64 s[2:3], vcc
	s_cbranch_execz .LBB25_368
; %bb.359:
	s_and_b64 vcc, exec, s[0:1]
	s_cbranch_vccnz .LBB25_361
; %bb.360:
	scratch_load_dwordx2 v[56:57], v21, off
	ds_read_b64 v[58:59], v1
	s_waitcnt vmcnt(0) lgkmcnt(0)
	v_mul_f64 v[56:57], v[56:57], v[58:59]
	s_cbranch_execz .LBB25_362
	s_branch .LBB25_363
.LBB25_361:
                                        ; implicit-def: $vgpr56_vgpr57
.LBB25_362:
	ds_read_b64 v[56:57], v1
.LBB25_363:
	v_cmp_ne_u32_e32 vcc, 12, v0
	s_and_saveexec_b64 s[4:5], vcc
	s_cbranch_execz .LBB25_367
; %bb.364:
	s_mov_b32 s6, 0
	v_add_u32_e32 v58, 0xd8, v20
	v_add3_u32 v59, v20, s6, 8
	s_mov_b64 s[6:7], 0
	v_mov_b32_e32 v60, v0
.LBB25_365:                             ; =>This Inner Loop Header: Depth=1
	scratch_load_dwordx2 v[62:63], v59, off
	ds_read_b64 v[64:65], v58
	v_add_u32_e32 v60, 1, v60
	v_cmp_lt_u32_e32 vcc, 11, v60
	v_add_u32_e32 v58, 8, v58
	v_add_u32_e32 v59, 8, v59
	s_or_b64 s[6:7], vcc, s[6:7]
	s_waitcnt vmcnt(0) lgkmcnt(0)
	v_fmac_f64_e32 v[56:57], v[62:63], v[64:65]
	s_andn2_b64 exec, exec, s[6:7]
	s_cbranch_execnz .LBB25_365
; %bb.366:
	s_or_b64 exec, exec, s[6:7]
.LBB25_367:
	s_or_b64 exec, exec, s[4:5]
	v_mov_b32_e32 v58, 0
	ds_read_b64 v[58:59], v58 offset:104
	s_waitcnt lgkmcnt(0)
	v_mul_f64 v[56:57], v[56:57], v[58:59]
	scratch_store_dwordx2 off, v[56:57], off offset:104
.LBB25_368:
	s_or_b64 exec, exec, s[2:3]
	scratch_load_dwordx2 v[56:57], off, off offset:112
	v_cmp_gt_u32_e32 vcc, 14, v0
	s_waitcnt vmcnt(0)
	ds_write_b64 v1, v[56:57]
	s_waitcnt lgkmcnt(0)
	; wave barrier
	s_and_saveexec_b64 s[2:3], vcc
	s_cbranch_execz .LBB25_378
; %bb.369:
	s_and_b64 vcc, exec, s[0:1]
	s_cbranch_vccnz .LBB25_371
; %bb.370:
	scratch_load_dwordx2 v[56:57], v21, off
	ds_read_b64 v[58:59], v1
	s_waitcnt vmcnt(0) lgkmcnt(0)
	v_mul_f64 v[56:57], v[56:57], v[58:59]
	s_cbranch_execz .LBB25_372
	s_branch .LBB25_373
.LBB25_371:
                                        ; implicit-def: $vgpr56_vgpr57
.LBB25_372:
	ds_read_b64 v[56:57], v1
.LBB25_373:
	v_cmp_ne_u32_e32 vcc, 13, v0
	s_and_saveexec_b64 s[4:5], vcc
	s_cbranch_execz .LBB25_377
; %bb.374:
	s_mov_b32 s6, 0
	v_add_u32_e32 v58, 0xd8, v20
	v_add3_u32 v59, v20, s6, 8
	s_mov_b64 s[6:7], 0
	v_mov_b32_e32 v60, v0
.LBB25_375:                             ; =>This Inner Loop Header: Depth=1
	scratch_load_dwordx2 v[62:63], v59, off
	ds_read_b64 v[64:65], v58
	v_add_u32_e32 v60, 1, v60
	v_cmp_lt_u32_e32 vcc, 12, v60
	v_add_u32_e32 v58, 8, v58
	v_add_u32_e32 v59, 8, v59
	s_or_b64 s[6:7], vcc, s[6:7]
	s_waitcnt vmcnt(0) lgkmcnt(0)
	v_fmac_f64_e32 v[56:57], v[62:63], v[64:65]
	s_andn2_b64 exec, exec, s[6:7]
	s_cbranch_execnz .LBB25_375
; %bb.376:
	s_or_b64 exec, exec, s[6:7]
.LBB25_377:
	s_or_b64 exec, exec, s[4:5]
	v_mov_b32_e32 v58, 0
	ds_read_b64 v[58:59], v58 offset:112
	s_waitcnt lgkmcnt(0)
	v_mul_f64 v[56:57], v[56:57], v[58:59]
	scratch_store_dwordx2 off, v[56:57], off offset:112
.LBB25_378:
	s_or_b64 exec, exec, s[2:3]
	scratch_load_dwordx2 v[56:57], off, off offset:120
	v_cmp_gt_u32_e32 vcc, 15, v0
	s_waitcnt vmcnt(0)
	ds_write_b64 v1, v[56:57]
	s_waitcnt lgkmcnt(0)
	; wave barrier
	s_and_saveexec_b64 s[2:3], vcc
	s_cbranch_execz .LBB25_388
; %bb.379:
	s_and_b64 vcc, exec, s[0:1]
	s_cbranch_vccnz .LBB25_381
; %bb.380:
	scratch_load_dwordx2 v[56:57], v21, off
	ds_read_b64 v[58:59], v1
	s_waitcnt vmcnt(0) lgkmcnt(0)
	v_mul_f64 v[56:57], v[56:57], v[58:59]
	s_cbranch_execz .LBB25_382
	s_branch .LBB25_383
.LBB25_381:
                                        ; implicit-def: $vgpr56_vgpr57
.LBB25_382:
	ds_read_b64 v[56:57], v1
.LBB25_383:
	v_cmp_ne_u32_e32 vcc, 14, v0
	s_and_saveexec_b64 s[4:5], vcc
	s_cbranch_execz .LBB25_387
; %bb.384:
	s_mov_b32 s6, 0
	v_add_u32_e32 v58, 0xd8, v20
	v_add3_u32 v59, v20, s6, 8
	s_mov_b64 s[6:7], 0
	v_mov_b32_e32 v60, v0
.LBB25_385:                             ; =>This Inner Loop Header: Depth=1
	scratch_load_dwordx2 v[62:63], v59, off
	ds_read_b64 v[64:65], v58
	v_add_u32_e32 v60, 1, v60
	v_cmp_lt_u32_e32 vcc, 13, v60
	v_add_u32_e32 v58, 8, v58
	v_add_u32_e32 v59, 8, v59
	s_or_b64 s[6:7], vcc, s[6:7]
	s_waitcnt vmcnt(0) lgkmcnt(0)
	v_fmac_f64_e32 v[56:57], v[62:63], v[64:65]
	s_andn2_b64 exec, exec, s[6:7]
	s_cbranch_execnz .LBB25_385
; %bb.386:
	s_or_b64 exec, exec, s[6:7]
.LBB25_387:
	s_or_b64 exec, exec, s[4:5]
	v_mov_b32_e32 v58, 0
	ds_read_b64 v[58:59], v58 offset:120
	s_waitcnt lgkmcnt(0)
	v_mul_f64 v[56:57], v[56:57], v[58:59]
	scratch_store_dwordx2 off, v[56:57], off offset:120
.LBB25_388:
	s_or_b64 exec, exec, s[2:3]
	scratch_load_dwordx2 v[56:57], off, off offset:128
	v_cmp_gt_u32_e32 vcc, 16, v0
	s_waitcnt vmcnt(0)
	ds_write_b64 v1, v[56:57]
	s_waitcnt lgkmcnt(0)
	; wave barrier
	s_and_saveexec_b64 s[2:3], vcc
	s_cbranch_execz .LBB25_398
; %bb.389:
	s_and_b64 vcc, exec, s[0:1]
	s_cbranch_vccnz .LBB25_391
; %bb.390:
	scratch_load_dwordx2 v[56:57], v21, off
	ds_read_b64 v[58:59], v1
	s_waitcnt vmcnt(0) lgkmcnt(0)
	v_mul_f64 v[56:57], v[56:57], v[58:59]
	s_cbranch_execz .LBB25_392
	s_branch .LBB25_393
.LBB25_391:
                                        ; implicit-def: $vgpr56_vgpr57
.LBB25_392:
	ds_read_b64 v[56:57], v1
.LBB25_393:
	v_cmp_ne_u32_e32 vcc, 15, v0
	s_and_saveexec_b64 s[4:5], vcc
	s_cbranch_execz .LBB25_397
; %bb.394:
	s_mov_b32 s6, 0
	v_add_u32_e32 v58, 0xd8, v20
	v_add3_u32 v59, v20, s6, 8
	s_mov_b64 s[6:7], 0
	v_mov_b32_e32 v60, v0
.LBB25_395:                             ; =>This Inner Loop Header: Depth=1
	scratch_load_dwordx2 v[62:63], v59, off
	ds_read_b64 v[64:65], v58
	v_add_u32_e32 v60, 1, v60
	v_cmp_lt_u32_e32 vcc, 14, v60
	v_add_u32_e32 v58, 8, v58
	v_add_u32_e32 v59, 8, v59
	s_or_b64 s[6:7], vcc, s[6:7]
	s_waitcnt vmcnt(0) lgkmcnt(0)
	v_fmac_f64_e32 v[56:57], v[62:63], v[64:65]
	s_andn2_b64 exec, exec, s[6:7]
	s_cbranch_execnz .LBB25_395
; %bb.396:
	s_or_b64 exec, exec, s[6:7]
.LBB25_397:
	s_or_b64 exec, exec, s[4:5]
	v_mov_b32_e32 v58, 0
	ds_read_b64 v[58:59], v58 offset:128
	s_waitcnt lgkmcnt(0)
	v_mul_f64 v[56:57], v[56:57], v[58:59]
	scratch_store_dwordx2 off, v[56:57], off offset:128
.LBB25_398:
	s_or_b64 exec, exec, s[2:3]
	scratch_load_dwordx2 v[56:57], off, off offset:136
	v_cmp_gt_u32_e32 vcc, 17, v0
	s_waitcnt vmcnt(0)
	ds_write_b64 v1, v[56:57]
	s_waitcnt lgkmcnt(0)
	; wave barrier
	s_and_saveexec_b64 s[2:3], vcc
	s_cbranch_execz .LBB25_408
; %bb.399:
	s_and_b64 vcc, exec, s[0:1]
	s_cbranch_vccnz .LBB25_401
; %bb.400:
	scratch_load_dwordx2 v[56:57], v21, off
	ds_read_b64 v[58:59], v1
	s_waitcnt vmcnt(0) lgkmcnt(0)
	v_mul_f64 v[56:57], v[56:57], v[58:59]
	s_cbranch_execz .LBB25_402
	s_branch .LBB25_403
.LBB25_401:
                                        ; implicit-def: $vgpr56_vgpr57
.LBB25_402:
	ds_read_b64 v[56:57], v1
.LBB25_403:
	v_cmp_ne_u32_e32 vcc, 16, v0
	s_and_saveexec_b64 s[4:5], vcc
	s_cbranch_execz .LBB25_407
; %bb.404:
	s_mov_b32 s6, 0
	v_add_u32_e32 v58, 0xd8, v20
	v_add3_u32 v59, v20, s6, 8
	s_mov_b64 s[6:7], 0
	v_mov_b32_e32 v60, v0
.LBB25_405:                             ; =>This Inner Loop Header: Depth=1
	scratch_load_dwordx2 v[62:63], v59, off
	ds_read_b64 v[64:65], v58
	v_add_u32_e32 v60, 1, v60
	v_cmp_lt_u32_e32 vcc, 15, v60
	v_add_u32_e32 v58, 8, v58
	v_add_u32_e32 v59, 8, v59
	s_or_b64 s[6:7], vcc, s[6:7]
	s_waitcnt vmcnt(0) lgkmcnt(0)
	v_fmac_f64_e32 v[56:57], v[62:63], v[64:65]
	s_andn2_b64 exec, exec, s[6:7]
	s_cbranch_execnz .LBB25_405
; %bb.406:
	s_or_b64 exec, exec, s[6:7]
.LBB25_407:
	s_or_b64 exec, exec, s[4:5]
	v_mov_b32_e32 v58, 0
	ds_read_b64 v[58:59], v58 offset:136
	s_waitcnt lgkmcnt(0)
	v_mul_f64 v[56:57], v[56:57], v[58:59]
	scratch_store_dwordx2 off, v[56:57], off offset:136
.LBB25_408:
	s_or_b64 exec, exec, s[2:3]
	scratch_load_dwordx2 v[56:57], off, off offset:144
	v_cmp_gt_u32_e32 vcc, 18, v0
	s_waitcnt vmcnt(0)
	ds_write_b64 v1, v[56:57]
	s_waitcnt lgkmcnt(0)
	; wave barrier
	s_and_saveexec_b64 s[2:3], vcc
	s_cbranch_execz .LBB25_418
; %bb.409:
	s_and_b64 vcc, exec, s[0:1]
	s_cbranch_vccnz .LBB25_411
; %bb.410:
	scratch_load_dwordx2 v[56:57], v21, off
	ds_read_b64 v[58:59], v1
	s_waitcnt vmcnt(0) lgkmcnt(0)
	v_mul_f64 v[56:57], v[56:57], v[58:59]
	s_cbranch_execz .LBB25_412
	s_branch .LBB25_413
.LBB25_411:
                                        ; implicit-def: $vgpr56_vgpr57
.LBB25_412:
	ds_read_b64 v[56:57], v1
.LBB25_413:
	v_cmp_ne_u32_e32 vcc, 17, v0
	s_and_saveexec_b64 s[4:5], vcc
	s_cbranch_execz .LBB25_417
; %bb.414:
	s_mov_b32 s6, 0
	v_add_u32_e32 v58, 0xd8, v20
	v_add3_u32 v59, v20, s6, 8
	s_mov_b64 s[6:7], 0
	v_mov_b32_e32 v60, v0
.LBB25_415:                             ; =>This Inner Loop Header: Depth=1
	scratch_load_dwordx2 v[62:63], v59, off
	ds_read_b64 v[64:65], v58
	v_add_u32_e32 v60, 1, v60
	v_cmp_lt_u32_e32 vcc, 16, v60
	v_add_u32_e32 v58, 8, v58
	v_add_u32_e32 v59, 8, v59
	s_or_b64 s[6:7], vcc, s[6:7]
	s_waitcnt vmcnt(0) lgkmcnt(0)
	v_fmac_f64_e32 v[56:57], v[62:63], v[64:65]
	s_andn2_b64 exec, exec, s[6:7]
	s_cbranch_execnz .LBB25_415
; %bb.416:
	s_or_b64 exec, exec, s[6:7]
.LBB25_417:
	s_or_b64 exec, exec, s[4:5]
	v_mov_b32_e32 v58, 0
	ds_read_b64 v[58:59], v58 offset:144
	s_waitcnt lgkmcnt(0)
	v_mul_f64 v[56:57], v[56:57], v[58:59]
	scratch_store_dwordx2 off, v[56:57], off offset:144
.LBB25_418:
	s_or_b64 exec, exec, s[2:3]
	scratch_load_dwordx2 v[56:57], off, off offset:152
	v_cmp_gt_u32_e32 vcc, 19, v0
	s_waitcnt vmcnt(0)
	ds_write_b64 v1, v[56:57]
	s_waitcnt lgkmcnt(0)
	; wave barrier
	s_and_saveexec_b64 s[2:3], vcc
	s_cbranch_execz .LBB25_428
; %bb.419:
	s_and_b64 vcc, exec, s[0:1]
	s_cbranch_vccnz .LBB25_421
; %bb.420:
	scratch_load_dwordx2 v[56:57], v21, off
	ds_read_b64 v[58:59], v1
	s_waitcnt vmcnt(0) lgkmcnt(0)
	v_mul_f64 v[56:57], v[56:57], v[58:59]
	s_cbranch_execz .LBB25_422
	s_branch .LBB25_423
.LBB25_421:
                                        ; implicit-def: $vgpr56_vgpr57
.LBB25_422:
	ds_read_b64 v[56:57], v1
.LBB25_423:
	v_cmp_ne_u32_e32 vcc, 18, v0
	s_and_saveexec_b64 s[4:5], vcc
	s_cbranch_execz .LBB25_427
; %bb.424:
	s_mov_b32 s6, 0
	v_add_u32_e32 v58, 0xd8, v20
	v_add3_u32 v59, v20, s6, 8
	s_mov_b64 s[6:7], 0
	v_mov_b32_e32 v60, v0
.LBB25_425:                             ; =>This Inner Loop Header: Depth=1
	scratch_load_dwordx2 v[62:63], v59, off
	ds_read_b64 v[64:65], v58
	v_add_u32_e32 v60, 1, v60
	v_cmp_lt_u32_e32 vcc, 17, v60
	v_add_u32_e32 v58, 8, v58
	v_add_u32_e32 v59, 8, v59
	s_or_b64 s[6:7], vcc, s[6:7]
	s_waitcnt vmcnt(0) lgkmcnt(0)
	v_fmac_f64_e32 v[56:57], v[62:63], v[64:65]
	s_andn2_b64 exec, exec, s[6:7]
	s_cbranch_execnz .LBB25_425
; %bb.426:
	s_or_b64 exec, exec, s[6:7]
.LBB25_427:
	s_or_b64 exec, exec, s[4:5]
	v_mov_b32_e32 v58, 0
	ds_read_b64 v[58:59], v58 offset:152
	s_waitcnt lgkmcnt(0)
	v_mul_f64 v[56:57], v[56:57], v[58:59]
	scratch_store_dwordx2 off, v[56:57], off offset:152
.LBB25_428:
	s_or_b64 exec, exec, s[2:3]
	scratch_load_dwordx2 v[56:57], off, off offset:160
	v_cmp_gt_u32_e32 vcc, 20, v0
	s_waitcnt vmcnt(0)
	ds_write_b64 v1, v[56:57]
	s_waitcnt lgkmcnt(0)
	; wave barrier
	s_and_saveexec_b64 s[2:3], vcc
	s_cbranch_execz .LBB25_438
; %bb.429:
	s_and_b64 vcc, exec, s[0:1]
	s_cbranch_vccnz .LBB25_431
; %bb.430:
	scratch_load_dwordx2 v[56:57], v21, off
	ds_read_b64 v[58:59], v1
	s_waitcnt vmcnt(0) lgkmcnt(0)
	v_mul_f64 v[56:57], v[56:57], v[58:59]
	s_cbranch_execz .LBB25_432
	s_branch .LBB25_433
.LBB25_431:
                                        ; implicit-def: $vgpr56_vgpr57
.LBB25_432:
	ds_read_b64 v[56:57], v1
.LBB25_433:
	v_cmp_ne_u32_e32 vcc, 19, v0
	s_and_saveexec_b64 s[4:5], vcc
	s_cbranch_execz .LBB25_437
; %bb.434:
	s_mov_b32 s6, 0
	v_add_u32_e32 v58, 0xd8, v20
	v_add3_u32 v59, v20, s6, 8
	s_mov_b64 s[6:7], 0
	v_mov_b32_e32 v60, v0
.LBB25_435:                             ; =>This Inner Loop Header: Depth=1
	scratch_load_dwordx2 v[62:63], v59, off
	ds_read_b64 v[64:65], v58
	v_add_u32_e32 v60, 1, v60
	v_cmp_lt_u32_e32 vcc, 18, v60
	v_add_u32_e32 v58, 8, v58
	v_add_u32_e32 v59, 8, v59
	s_or_b64 s[6:7], vcc, s[6:7]
	s_waitcnt vmcnt(0) lgkmcnt(0)
	v_fmac_f64_e32 v[56:57], v[62:63], v[64:65]
	s_andn2_b64 exec, exec, s[6:7]
	s_cbranch_execnz .LBB25_435
; %bb.436:
	s_or_b64 exec, exec, s[6:7]
.LBB25_437:
	s_or_b64 exec, exec, s[4:5]
	v_mov_b32_e32 v58, 0
	ds_read_b64 v[58:59], v58 offset:160
	s_waitcnt lgkmcnt(0)
	v_mul_f64 v[56:57], v[56:57], v[58:59]
	scratch_store_dwordx2 off, v[56:57], off offset:160
.LBB25_438:
	s_or_b64 exec, exec, s[2:3]
	scratch_load_dwordx2 v[56:57], off, off offset:168
	v_cmp_gt_u32_e32 vcc, 21, v0
	s_waitcnt vmcnt(0)
	ds_write_b64 v1, v[56:57]
	s_waitcnt lgkmcnt(0)
	; wave barrier
	s_and_saveexec_b64 s[2:3], vcc
	s_cbranch_execz .LBB25_448
; %bb.439:
	s_and_b64 vcc, exec, s[0:1]
	s_cbranch_vccnz .LBB25_441
; %bb.440:
	scratch_load_dwordx2 v[56:57], v21, off
	ds_read_b64 v[58:59], v1
	s_waitcnt vmcnt(0) lgkmcnt(0)
	v_mul_f64 v[56:57], v[56:57], v[58:59]
	s_cbranch_execz .LBB25_442
	s_branch .LBB25_443
.LBB25_441:
                                        ; implicit-def: $vgpr56_vgpr57
.LBB25_442:
	ds_read_b64 v[56:57], v1
.LBB25_443:
	v_cmp_ne_u32_e32 vcc, 20, v0
	s_and_saveexec_b64 s[4:5], vcc
	s_cbranch_execz .LBB25_447
; %bb.444:
	s_mov_b32 s6, 0
	v_add_u32_e32 v58, 0xd8, v20
	v_add3_u32 v59, v20, s6, 8
	s_mov_b64 s[6:7], 0
	v_mov_b32_e32 v60, v0
.LBB25_445:                             ; =>This Inner Loop Header: Depth=1
	scratch_load_dwordx2 v[62:63], v59, off
	ds_read_b64 v[64:65], v58
	v_add_u32_e32 v60, 1, v60
	v_cmp_lt_u32_e32 vcc, 19, v60
	v_add_u32_e32 v58, 8, v58
	v_add_u32_e32 v59, 8, v59
	s_or_b64 s[6:7], vcc, s[6:7]
	s_waitcnt vmcnt(0) lgkmcnt(0)
	v_fmac_f64_e32 v[56:57], v[62:63], v[64:65]
	s_andn2_b64 exec, exec, s[6:7]
	s_cbranch_execnz .LBB25_445
; %bb.446:
	s_or_b64 exec, exec, s[6:7]
.LBB25_447:
	s_or_b64 exec, exec, s[4:5]
	v_mov_b32_e32 v58, 0
	ds_read_b64 v[58:59], v58 offset:168
	s_waitcnt lgkmcnt(0)
	v_mul_f64 v[56:57], v[56:57], v[58:59]
	scratch_store_dwordx2 off, v[56:57], off offset:168
.LBB25_448:
	s_or_b64 exec, exec, s[2:3]
	scratch_load_dwordx2 v[56:57], off, off offset:176
	v_cmp_gt_u32_e32 vcc, 22, v0
	s_waitcnt vmcnt(0)
	ds_write_b64 v1, v[56:57]
	s_waitcnt lgkmcnt(0)
	; wave barrier
	s_and_saveexec_b64 s[2:3], vcc
	s_cbranch_execz .LBB25_458
; %bb.449:
	s_and_b64 vcc, exec, s[0:1]
	s_cbranch_vccnz .LBB25_451
; %bb.450:
	scratch_load_dwordx2 v[56:57], v21, off
	ds_read_b64 v[58:59], v1
	s_waitcnt vmcnt(0) lgkmcnt(0)
	v_mul_f64 v[56:57], v[56:57], v[58:59]
	s_cbranch_execz .LBB25_452
	s_branch .LBB25_453
.LBB25_451:
                                        ; implicit-def: $vgpr56_vgpr57
.LBB25_452:
	ds_read_b64 v[56:57], v1
.LBB25_453:
	v_cmp_ne_u32_e32 vcc, 21, v0
	s_and_saveexec_b64 s[4:5], vcc
	s_cbranch_execz .LBB25_457
; %bb.454:
	s_mov_b32 s6, 0
	v_add_u32_e32 v58, 0xd8, v20
	v_add3_u32 v59, v20, s6, 8
	s_mov_b64 s[6:7], 0
	v_mov_b32_e32 v60, v0
.LBB25_455:                             ; =>This Inner Loop Header: Depth=1
	scratch_load_dwordx2 v[62:63], v59, off
	ds_read_b64 v[64:65], v58
	v_add_u32_e32 v60, 1, v60
	v_cmp_lt_u32_e32 vcc, 20, v60
	v_add_u32_e32 v58, 8, v58
	v_add_u32_e32 v59, 8, v59
	s_or_b64 s[6:7], vcc, s[6:7]
	s_waitcnt vmcnt(0) lgkmcnt(0)
	v_fmac_f64_e32 v[56:57], v[62:63], v[64:65]
	s_andn2_b64 exec, exec, s[6:7]
	s_cbranch_execnz .LBB25_455
; %bb.456:
	s_or_b64 exec, exec, s[6:7]
.LBB25_457:
	s_or_b64 exec, exec, s[4:5]
	v_mov_b32_e32 v58, 0
	ds_read_b64 v[58:59], v58 offset:176
	s_waitcnt lgkmcnt(0)
	v_mul_f64 v[56:57], v[56:57], v[58:59]
	scratch_store_dwordx2 off, v[56:57], off offset:176
.LBB25_458:
	s_or_b64 exec, exec, s[2:3]
	scratch_load_dwordx2 v[56:57], off, off offset:184
	v_cmp_gt_u32_e32 vcc, 23, v0
	s_waitcnt vmcnt(0)
	ds_write_b64 v1, v[56:57]
	s_waitcnt lgkmcnt(0)
	; wave barrier
	s_and_saveexec_b64 s[2:3], vcc
	s_cbranch_execz .LBB25_468
; %bb.459:
	s_and_b64 vcc, exec, s[0:1]
	s_cbranch_vccnz .LBB25_461
; %bb.460:
	scratch_load_dwordx2 v[56:57], v21, off
	ds_read_b64 v[58:59], v1
	s_waitcnt vmcnt(0) lgkmcnt(0)
	v_mul_f64 v[56:57], v[56:57], v[58:59]
	s_cbranch_execz .LBB25_462
	s_branch .LBB25_463
.LBB25_461:
                                        ; implicit-def: $vgpr56_vgpr57
.LBB25_462:
	ds_read_b64 v[56:57], v1
.LBB25_463:
	v_cmp_ne_u32_e32 vcc, 22, v0
	s_and_saveexec_b64 s[4:5], vcc
	s_cbranch_execz .LBB25_467
; %bb.464:
	s_mov_b32 s6, 0
	v_add_u32_e32 v58, 0xd8, v20
	v_add3_u32 v59, v20, s6, 8
	s_mov_b64 s[6:7], 0
	v_mov_b32_e32 v60, v0
.LBB25_465:                             ; =>This Inner Loop Header: Depth=1
	scratch_load_dwordx2 v[62:63], v59, off
	ds_read_b64 v[64:65], v58
	v_add_u32_e32 v60, 1, v60
	v_cmp_lt_u32_e32 vcc, 21, v60
	v_add_u32_e32 v58, 8, v58
	v_add_u32_e32 v59, 8, v59
	s_or_b64 s[6:7], vcc, s[6:7]
	s_waitcnt vmcnt(0) lgkmcnt(0)
	v_fmac_f64_e32 v[56:57], v[62:63], v[64:65]
	s_andn2_b64 exec, exec, s[6:7]
	s_cbranch_execnz .LBB25_465
; %bb.466:
	s_or_b64 exec, exec, s[6:7]
.LBB25_467:
	s_or_b64 exec, exec, s[4:5]
	v_mov_b32_e32 v58, 0
	ds_read_b64 v[58:59], v58 offset:184
	s_waitcnt lgkmcnt(0)
	v_mul_f64 v[56:57], v[56:57], v[58:59]
	scratch_store_dwordx2 off, v[56:57], off offset:184
.LBB25_468:
	s_or_b64 exec, exec, s[2:3]
	scratch_load_dwordx2 v[56:57], off, off offset:192
	v_cmp_gt_u32_e64 s[2:3], 24, v0
	s_waitcnt vmcnt(0)
	ds_write_b64 v1, v[56:57]
	s_waitcnt lgkmcnt(0)
	; wave barrier
	s_and_saveexec_b64 s[4:5], s[2:3]
	s_cbranch_execz .LBB25_478
; %bb.469:
	s_and_b64 vcc, exec, s[0:1]
	s_cbranch_vccnz .LBB25_471
; %bb.470:
	scratch_load_dwordx2 v[56:57], v21, off
	ds_read_b64 v[58:59], v1
	s_waitcnt vmcnt(0) lgkmcnt(0)
	v_mul_f64 v[56:57], v[56:57], v[58:59]
	s_cbranch_execz .LBB25_472
	s_branch .LBB25_473
.LBB25_471:
                                        ; implicit-def: $vgpr56_vgpr57
.LBB25_472:
	ds_read_b64 v[56:57], v1
.LBB25_473:
	v_cmp_ne_u32_e32 vcc, 23, v0
	s_and_saveexec_b64 s[6:7], vcc
	s_cbranch_execz .LBB25_477
; %bb.474:
	s_mov_b32 s8, 0
	v_add_u32_e32 v58, 0xd8, v20
	v_add3_u32 v59, v20, s8, 8
	s_mov_b64 s[8:9], 0
	v_mov_b32_e32 v60, v0
.LBB25_475:                             ; =>This Inner Loop Header: Depth=1
	scratch_load_dwordx2 v[62:63], v59, off
	ds_read_b64 v[64:65], v58
	v_add_u32_e32 v60, 1, v60
	v_cmp_lt_u32_e32 vcc, 22, v60
	v_add_u32_e32 v58, 8, v58
	v_add_u32_e32 v59, 8, v59
	s_or_b64 s[8:9], vcc, s[8:9]
	s_waitcnt vmcnt(0) lgkmcnt(0)
	v_fmac_f64_e32 v[56:57], v[62:63], v[64:65]
	s_andn2_b64 exec, exec, s[8:9]
	s_cbranch_execnz .LBB25_475
; %bb.476:
	s_or_b64 exec, exec, s[8:9]
.LBB25_477:
	s_or_b64 exec, exec, s[6:7]
	v_mov_b32_e32 v58, 0
	ds_read_b64 v[58:59], v58 offset:192
	s_waitcnt lgkmcnt(0)
	v_mul_f64 v[56:57], v[56:57], v[58:59]
	scratch_store_dwordx2 off, v[56:57], off offset:192
.LBB25_478:
	s_or_b64 exec, exec, s[4:5]
	scratch_load_dwordx2 v[56:57], off, off offset:200
	v_cmp_ne_u32_e32 vcc, 25, v0
	s_waitcnt vmcnt(0)
	ds_write_b64 v1, v[56:57]
	s_waitcnt lgkmcnt(0)
	; wave barrier
	s_and_saveexec_b64 s[4:5], vcc
	s_cbranch_execz .LBB25_488
; %bb.479:
	s_and_b64 vcc, exec, s[0:1]
	s_cbranch_vccnz .LBB25_481
; %bb.480:
	scratch_load_dwordx2 v[56:57], v21, off
	ds_read_b64 v[58:59], v1
	s_waitcnt vmcnt(0) lgkmcnt(0)
	v_mul_f64 v[56:57], v[56:57], v[58:59]
	s_cbranch_execz .LBB25_482
	s_branch .LBB25_483
.LBB25_481:
                                        ; implicit-def: $vgpr56_vgpr57
.LBB25_482:
	ds_read_b64 v[56:57], v1
.LBB25_483:
	s_and_saveexec_b64 s[0:1], s[2:3]
	s_cbranch_execz .LBB25_487
; %bb.484:
	s_mov_b32 s2, 0
	v_add_u32_e32 v1, 0xd8, v20
	v_add3_u32 v20, v20, s2, 8
	s_mov_b64 s[2:3], 0
.LBB25_485:                             ; =>This Inner Loop Header: Depth=1
	scratch_load_dwordx2 v[58:59], v20, off
	ds_read_b64 v[60:61], v1
	v_add_u32_e32 v0, 1, v0
	v_cmp_lt_u32_e32 vcc, 23, v0
	v_add_u32_e32 v1, 8, v1
	v_add_u32_e32 v20, 8, v20
	s_or_b64 s[2:3], vcc, s[2:3]
	s_waitcnt vmcnt(0) lgkmcnt(0)
	v_fmac_f64_e32 v[56:57], v[58:59], v[60:61]
	s_andn2_b64 exec, exec, s[2:3]
	s_cbranch_execnz .LBB25_485
; %bb.486:
	s_or_b64 exec, exec, s[2:3]
.LBB25_487:
	s_or_b64 exec, exec, s[0:1]
	v_mov_b32_e32 v0, 0
	ds_read_b64 v[0:1], v0 offset:200
	s_waitcnt lgkmcnt(0)
	v_mul_f64 v[0:1], v[56:57], v[0:1]
	scratch_store_dwordx2 off, v[0:1], off offset:200
.LBB25_488:
	s_or_b64 exec, exec, s[4:5]
.LBB25_489:
	scratch_load_dwordx4 v[56:59], off, off
	s_waitcnt vmcnt(0)
	global_store_dwordx2 v[2:3], v[56:57], off
	global_store_dwordx2 v[4:5], v[58:59], off
	scratch_load_dwordx4 v[0:3], off, off offset:16
	s_waitcnt vmcnt(0)
	global_store_dwordx2 v[6:7], v[0:1], off
	global_store_dwordx2 v[8:9], v[2:3], off
	scratch_load_dwordx4 v[0:3], off, off offset:32
	;; [unrolled: 4-line block ×12, first 2 shown]
	s_waitcnt vmcnt(0)
	global_store_dwordx2 v[44:45], v[0:1], off
	global_store_dwordx2 v[48:49], v[2:3], off
.LBB25_490:
	s_endpgm
	.section	.rodata,"a",@progbits
	.p2align	6, 0x0
	.amdhsa_kernel _ZN9rocsolver6v33100L18trti2_kernel_smallILi26EdPdEEv13rocblas_fill_17rocblas_diagonal_T1_iil
		.amdhsa_group_segment_fixed_size 416
		.amdhsa_private_segment_fixed_size 224
		.amdhsa_kernarg_size 32
		.amdhsa_user_sgpr_count 2
		.amdhsa_user_sgpr_dispatch_ptr 0
		.amdhsa_user_sgpr_queue_ptr 0
		.amdhsa_user_sgpr_kernarg_segment_ptr 1
		.amdhsa_user_sgpr_dispatch_id 0
		.amdhsa_user_sgpr_kernarg_preload_length 0
		.amdhsa_user_sgpr_kernarg_preload_offset 0
		.amdhsa_user_sgpr_private_segment_size 0
		.amdhsa_uses_dynamic_stack 0
		.amdhsa_enable_private_segment 1
		.amdhsa_system_sgpr_workgroup_id_x 1
		.amdhsa_system_sgpr_workgroup_id_y 0
		.amdhsa_system_sgpr_workgroup_id_z 0
		.amdhsa_system_sgpr_workgroup_info 0
		.amdhsa_system_vgpr_workitem_id 0
		.amdhsa_next_free_vgpr 66
		.amdhsa_next_free_sgpr 23
		.amdhsa_accum_offset 68
		.amdhsa_reserve_vcc 1
		.amdhsa_float_round_mode_32 0
		.amdhsa_float_round_mode_16_64 0
		.amdhsa_float_denorm_mode_32 3
		.amdhsa_float_denorm_mode_16_64 3
		.amdhsa_dx10_clamp 1
		.amdhsa_ieee_mode 1
		.amdhsa_fp16_overflow 0
		.amdhsa_tg_split 0
		.amdhsa_exception_fp_ieee_invalid_op 0
		.amdhsa_exception_fp_denorm_src 0
		.amdhsa_exception_fp_ieee_div_zero 0
		.amdhsa_exception_fp_ieee_overflow 0
		.amdhsa_exception_fp_ieee_underflow 0
		.amdhsa_exception_fp_ieee_inexact 0
		.amdhsa_exception_int_div_zero 0
	.end_amdhsa_kernel
	.section	.text._ZN9rocsolver6v33100L18trti2_kernel_smallILi26EdPdEEv13rocblas_fill_17rocblas_diagonal_T1_iil,"axG",@progbits,_ZN9rocsolver6v33100L18trti2_kernel_smallILi26EdPdEEv13rocblas_fill_17rocblas_diagonal_T1_iil,comdat
.Lfunc_end25:
	.size	_ZN9rocsolver6v33100L18trti2_kernel_smallILi26EdPdEEv13rocblas_fill_17rocblas_diagonal_T1_iil, .Lfunc_end25-_ZN9rocsolver6v33100L18trti2_kernel_smallILi26EdPdEEv13rocblas_fill_17rocblas_diagonal_T1_iil
                                        ; -- End function
	.set _ZN9rocsolver6v33100L18trti2_kernel_smallILi26EdPdEEv13rocblas_fill_17rocblas_diagonal_T1_iil.num_vgpr, 66
	.set _ZN9rocsolver6v33100L18trti2_kernel_smallILi26EdPdEEv13rocblas_fill_17rocblas_diagonal_T1_iil.num_agpr, 0
	.set _ZN9rocsolver6v33100L18trti2_kernel_smallILi26EdPdEEv13rocblas_fill_17rocblas_diagonal_T1_iil.numbered_sgpr, 23
	.set _ZN9rocsolver6v33100L18trti2_kernel_smallILi26EdPdEEv13rocblas_fill_17rocblas_diagonal_T1_iil.num_named_barrier, 0
	.set _ZN9rocsolver6v33100L18trti2_kernel_smallILi26EdPdEEv13rocblas_fill_17rocblas_diagonal_T1_iil.private_seg_size, 224
	.set _ZN9rocsolver6v33100L18trti2_kernel_smallILi26EdPdEEv13rocblas_fill_17rocblas_diagonal_T1_iil.uses_vcc, 1
	.set _ZN9rocsolver6v33100L18trti2_kernel_smallILi26EdPdEEv13rocblas_fill_17rocblas_diagonal_T1_iil.uses_flat_scratch, 0
	.set _ZN9rocsolver6v33100L18trti2_kernel_smallILi26EdPdEEv13rocblas_fill_17rocblas_diagonal_T1_iil.has_dyn_sized_stack, 0
	.set _ZN9rocsolver6v33100L18trti2_kernel_smallILi26EdPdEEv13rocblas_fill_17rocblas_diagonal_T1_iil.has_recursion, 0
	.set _ZN9rocsolver6v33100L18trti2_kernel_smallILi26EdPdEEv13rocblas_fill_17rocblas_diagonal_T1_iil.has_indirect_call, 0
	.section	.AMDGPU.csdata,"",@progbits
; Kernel info:
; codeLenInByte = 12152
; TotalNumSgprs: 29
; NumVgprs: 66
; NumAgprs: 0
; TotalNumVgprs: 66
; ScratchSize: 224
; MemoryBound: 0
; FloatMode: 240
; IeeeMode: 1
; LDSByteSize: 416 bytes/workgroup (compile time only)
; SGPRBlocks: 3
; VGPRBlocks: 8
; NumSGPRsForWavesPerEU: 29
; NumVGPRsForWavesPerEU: 66
; AccumOffset: 68
; Occupancy: 7
; WaveLimiterHint : 0
; COMPUTE_PGM_RSRC2:SCRATCH_EN: 1
; COMPUTE_PGM_RSRC2:USER_SGPR: 2
; COMPUTE_PGM_RSRC2:TRAP_HANDLER: 0
; COMPUTE_PGM_RSRC2:TGID_X_EN: 1
; COMPUTE_PGM_RSRC2:TGID_Y_EN: 0
; COMPUTE_PGM_RSRC2:TGID_Z_EN: 0
; COMPUTE_PGM_RSRC2:TIDIG_COMP_CNT: 0
; COMPUTE_PGM_RSRC3_GFX90A:ACCUM_OFFSET: 16
; COMPUTE_PGM_RSRC3_GFX90A:TG_SPLIT: 0
	.section	.text._ZN9rocsolver6v33100L18trti2_kernel_smallILi27EdPdEEv13rocblas_fill_17rocblas_diagonal_T1_iil,"axG",@progbits,_ZN9rocsolver6v33100L18trti2_kernel_smallILi27EdPdEEv13rocblas_fill_17rocblas_diagonal_T1_iil,comdat
	.globl	_ZN9rocsolver6v33100L18trti2_kernel_smallILi27EdPdEEv13rocblas_fill_17rocblas_diagonal_T1_iil ; -- Begin function _ZN9rocsolver6v33100L18trti2_kernel_smallILi27EdPdEEv13rocblas_fill_17rocblas_diagonal_T1_iil
	.p2align	8
	.type	_ZN9rocsolver6v33100L18trti2_kernel_smallILi27EdPdEEv13rocblas_fill_17rocblas_diagonal_T1_iil,@function
_ZN9rocsolver6v33100L18trti2_kernel_smallILi27EdPdEEv13rocblas_fill_17rocblas_diagonal_T1_iil: ; @_ZN9rocsolver6v33100L18trti2_kernel_smallILi27EdPdEEv13rocblas_fill_17rocblas_diagonal_T1_iil
; %bb.0:
	v_cmp_gt_u32_e32 vcc, 27, v0
	s_and_saveexec_b64 s[4:5], vcc
	s_cbranch_execz .LBB26_510
; %bb.1:
	s_load_dwordx8 s[4:11], s[0:1], 0x0
	s_ashr_i32 s3, s2, 31
	v_lshlrev_b32_e32 v16, 3, v0
	v_mov_b32_e32 v17, 0
	s_waitcnt lgkmcnt(0)
	s_ashr_i32 s1, s8, 31
	s_mov_b32 s0, s8
	s_mul_hi_u32 s8, s10, s2
	s_mul_i32 s3, s10, s3
	s_add_i32 s3, s8, s3
	s_mul_i32 s8, s11, s2
	s_add_i32 s3, s3, s8
	s_mul_i32 s2, s10, s2
	s_lshl_b64 s[2:3], s[2:3], 3
	s_add_u32 s2, s6, s2
	s_addc_u32 s3, s7, s3
	s_lshl_b64 s[0:1], s[0:1], 3
	s_add_u32 s0, s2, s0
	s_addc_u32 s1, s3, s1
	v_lshl_add_u64 v[2:3], s[0:1], 0, v[16:17]
	s_ashr_i32 s3, s9, 31
	s_mov_b32 s2, s9
	v_lshl_add_u64 v[4:5], s[2:3], 3, v[2:3]
	global_load_dwordx2 v[6:7], v16, s[0:1]
	global_load_dwordx2 v[8:9], v[4:5], off
	s_add_i32 s2, s9, s9
	s_cmpk_lg_i32 s5, 0x84
	s_cselect_b64 s[6:7], -1, 0
	s_cmpk_eq_i32 s5, 0x84
	s_waitcnt vmcnt(0)
	scratch_store_dwordx4 off, v[6:9], off
	s_nop 1
	v_add_u32_e32 v8, s2, v0
	v_add_u32_e32 v10, s9, v8
	v_ashrrev_i32_e32 v9, 31, v8
	v_ashrrev_i32_e32 v11, 31, v10
	v_lshl_add_u64 v[6:7], v[8:9], 3, s[0:1]
	v_lshl_add_u64 v[8:9], v[10:11], 3, s[0:1]
	global_load_dwordx2 v[12:13], v[6:7], off
	global_load_dwordx2 v[14:15], v[8:9], off
	s_waitcnt vmcnt(0)
	scratch_store_dwordx4 off, v[12:15], off offset:16
	s_nop 1
	v_add_u32_e32 v12, s9, v10
	v_add_u32_e32 v14, s9, v12
	v_ashrrev_i32_e32 v13, 31, v12
	v_ashrrev_i32_e32 v15, 31, v14
	v_lshl_add_u64 v[10:11], v[12:13], 3, s[0:1]
	v_lshl_add_u64 v[12:13], v[14:15], 3, s[0:1]
	global_load_dwordx2 v[18:19], v[10:11], off
	global_load_dwordx2 v[20:21], v[12:13], off
	s_waitcnt vmcnt(0)
	scratch_store_dwordx4 off, v[18:21], off offset:32
	;; [unrolled: 11-line block ×10, first 2 shown]
	s_nop 1
	v_add_u32_e32 v50, s9, v48
	v_ashrrev_i32_e32 v51, 31, v50
	v_lshl_add_u64 v[48:49], v[50:51], 3, s[0:1]
	v_add_u32_e32 v50, s9, v50
	v_ashrrev_i32_e32 v51, 31, v50
	v_lshl_add_u64 v[52:53], v[50:51], 3, s[0:1]
	global_load_dwordx2 v[54:55], v[48:49], off
	global_load_dwordx2 v[56:57], v[52:53], off
	v_add_u32_e32 v50, s9, v50
	v_ashrrev_i32_e32 v51, 31, v50
	s_waitcnt vmcnt(0)
	scratch_store_dwordx4 off, v[54:57], off offset:176
	s_nop 1
	v_lshl_add_u64 v[54:55], v[50:51], 3, s[0:1]
	v_add_u32_e32 v50, s9, v50
	v_ashrrev_i32_e32 v51, 31, v50
	v_lshl_add_u64 v[56:57], v[50:51], 3, s[0:1]
	global_load_dwordx2 v[58:59], v[54:55], off
	global_load_dwordx2 v[60:61], v[56:57], off
	v_add_u32_e32 v50, s9, v50
	v_ashrrev_i32_e32 v51, 31, v50
	v_lshl_add_u64 v[50:51], v[50:51], 3, s[0:1]
	s_waitcnt vmcnt(0)
	scratch_store_dwordx4 off, v[58:61], off offset:192
	global_load_dwordx2 v[58:59], v[50:51], off
	s_waitcnt vmcnt(0)
	scratch_store_dwordx2 off, v[58:59], off offset:208
	v_mov_b64_e32 v[58:59], -1.0
	s_cbranch_scc1 .LBB26_3
; %bb.2:
	scratch_load_dwordx2 v[58:59], v16, off
	s_waitcnt vmcnt(0)
	v_div_scale_f64 v[60:61], s[0:1], v[58:59], v[58:59], 1.0
	v_rcp_f64_e32 v[62:63], v[60:61]
	v_div_scale_f64 v[64:65], vcc, 1.0, v[58:59], 1.0
	v_fma_f64 v[66:67], -v[60:61], v[62:63], 1.0
	v_fmac_f64_e32 v[62:63], v[62:63], v[66:67]
	v_fma_f64 v[66:67], -v[60:61], v[62:63], 1.0
	v_fmac_f64_e32 v[62:63], v[62:63], v[66:67]
	v_mul_f64 v[66:67], v[64:65], v[62:63]
	v_fma_f64 v[60:61], -v[60:61], v[66:67], v[64:65]
	v_div_fmas_f64 v[60:61], v[60:61], v[62:63], v[66:67]
	v_div_fixup_f64 v[58:59], v[60:61], v[58:59], 1.0
	scratch_store_dwordx2 v16, v[58:59], off
	v_xor_b32_e32 v59, 0x80000000, v59
.LBB26_3:
	s_cmpk_eq_i32 s4, 0x79
	v_add_u32_e32 v1, 0xe0, v16
	v_mov_b32_e32 v17, v16
	s_mov_b64 s[0:1], -1
	ds_write_b64 v16, v[58:59]
	s_cbranch_scc1 .LBB26_257
; %bb.4:
	scratch_load_dwordx2 v[58:59], off, off offset:200
	s_movk_i32 s8, 0x50
	s_movk_i32 s9, 0x60
	s_movk_i32 s16, 0x70
	s_movk_i32 s17, 0x80
	s_movk_i32 s18, 0x90
	s_movk_i32 s19, 0xa0
	s_movk_i32 s20, 0xb0
	s_movk_i32 s21, 0xc0
	v_cmp_eq_u32_e64 s[0:1], 26, v0
	s_waitcnt vmcnt(0)
	ds_write_b64 v1, v[58:59]
	s_waitcnt lgkmcnt(0)
	; wave barrier
	s_and_saveexec_b64 s[2:3], s[0:1]
	s_cbranch_execz .LBB26_10
; %bb.5:
	s_and_b64 vcc, exec, s[6:7]
	s_cbranch_vccz .LBB26_7
; %bb.6:
	scratch_load_dwordx2 v[58:59], v17, off
	ds_read_b64 v[60:61], v1
	s_waitcnt vmcnt(0) lgkmcnt(0)
	v_mul_f64 v[58:59], v[58:59], v[60:61]
	s_cbranch_execz .LBB26_8
	s_branch .LBB26_9
.LBB26_7:
                                        ; implicit-def: $vgpr58_vgpr59
.LBB26_8:
	ds_read_b64 v[58:59], v1
.LBB26_9:
	v_mov_b32_e32 v60, 0
	ds_read_b64 v[60:61], v60 offset:200
	s_waitcnt lgkmcnt(0)
	v_mul_f64 v[58:59], v[58:59], v[60:61]
	scratch_store_dwordx2 off, v[58:59], off offset:200
.LBB26_10:
	s_or_b64 exec, exec, s[2:3]
	scratch_load_dwordx2 v[58:59], off, off offset:192
	s_mov_b32 s10, 16
	s_mov_b32 s11, 32
	s_mov_b32 s12, 48
	s_mov_b32 s13, 64
	s_mov_b32 s14, s8
	s_mov_b32 s15, s9
	v_cmp_lt_u32_e64 s[4:5], 24, v0
	s_waitcnt vmcnt(0)
	ds_write_b64 v1, v[58:59]
	s_waitcnt lgkmcnt(0)
	; wave barrier
	s_and_saveexec_b64 s[2:3], s[4:5]
	s_cbranch_execz .LBB26_16
; %bb.11:
	s_andn2_b64 vcc, exec, s[6:7]
	s_cbranch_vccnz .LBB26_13
; %bb.12:
	scratch_load_dwordx2 v[58:59], v17, off
	ds_read_b64 v[60:61], v1
	s_waitcnt vmcnt(0) lgkmcnt(0)
	v_mul_f64 v[58:59], v[58:59], v[60:61]
	s_cbranch_execz .LBB26_14
	s_branch .LBB26_15
.LBB26_13:
                                        ; implicit-def: $vgpr58_vgpr59
.LBB26_14:
	ds_read_b64 v[58:59], v1
.LBB26_15:
	scratch_load_dwordx2 v[64:65], off, off offset:200
	v_mov_b32_e32 v60, 0
	ds_read2_b64 v[60:63], v60 offset0:24 offset1:53
	s_waitcnt vmcnt(0) lgkmcnt(0)
	v_fma_f64 v[62:63], v[64:65], v[62:63], v[58:59]
	v_cndmask_b32_e64 v59, v59, v63, s[0:1]
	v_cndmask_b32_e64 v58, v58, v62, s[0:1]
	v_mul_f64 v[58:59], v[58:59], v[60:61]
	scratch_store_dwordx2 off, v[58:59], off offset:192
.LBB26_16:
	s_or_b64 exec, exec, s[2:3]
	scratch_load_dwordx2 v[58:59], off, off offset:184
	v_cmp_lt_u32_e64 s[2:3], 23, v0
	s_waitcnt vmcnt(0)
	ds_write_b64 v1, v[58:59]
	s_waitcnt lgkmcnt(0)
	; wave barrier
	s_and_saveexec_b64 s[0:1], s[2:3]
	s_cbranch_execz .LBB26_26
; %bb.17:
	s_andn2_b64 vcc, exec, s[6:7]
	s_cbranch_vccnz .LBB26_19
; %bb.18:
	scratch_load_dwordx2 v[58:59], v17, off
	ds_read_b64 v[60:61], v1
	s_waitcnt vmcnt(0) lgkmcnt(0)
	v_mul_f64 v[58:59], v[58:59], v[60:61]
	s_cbranch_execz .LBB26_20
	s_branch .LBB26_21
.LBB26_19:
                                        ; implicit-def: $vgpr58_vgpr59
.LBB26_20:
	ds_read_b64 v[58:59], v1
.LBB26_21:
	s_and_saveexec_b64 s[8:9], s[4:5]
	s_cbranch_execz .LBB26_25
; %bb.22:
	v_subrev_u32_e32 v60, 24, v0
	s_movk_i32 s22, 0x1a0
	s_mov_b64 s[4:5], 0
.LBB26_23:                              ; =>This Inner Loop Header: Depth=1
	scratch_load_dwordx2 v[62:63], off, s21
	v_mov_b32_e32 v61, s22
	ds_read_b64 v[64:65], v61
	v_add_u32_e32 v60, -1, v60
	s_add_i32 s22, s22, 8
	s_add_i32 s21, s21, 8
	v_cmp_eq_u32_e32 vcc, 0, v60
	s_or_b64 s[4:5], vcc, s[4:5]
	s_waitcnt vmcnt(0) lgkmcnt(0)
	v_fmac_f64_e32 v[58:59], v[62:63], v[64:65]
	s_andn2_b64 exec, exec, s[4:5]
	s_cbranch_execnz .LBB26_23
; %bb.24:
	s_or_b64 exec, exec, s[4:5]
.LBB26_25:
	s_or_b64 exec, exec, s[8:9]
	v_mov_b32_e32 v60, 0
	ds_read_b64 v[60:61], v60 offset:184
	s_waitcnt lgkmcnt(0)
	v_mul_f64 v[58:59], v[58:59], v[60:61]
	scratch_store_dwordx2 off, v[58:59], off offset:184
.LBB26_26:
	s_or_b64 exec, exec, s[0:1]
	scratch_load_dwordx2 v[58:59], off, off offset:176
	v_cmp_lt_u32_e64 s[0:1], 22, v0
	s_waitcnt vmcnt(0)
	ds_write_b64 v1, v[58:59]
	s_waitcnt lgkmcnt(0)
	; wave barrier
	s_and_saveexec_b64 s[4:5], s[0:1]
	s_cbranch_execz .LBB26_36
; %bb.27:
	s_andn2_b64 vcc, exec, s[6:7]
	s_cbranch_vccnz .LBB26_29
; %bb.28:
	scratch_load_dwordx2 v[58:59], v17, off
	ds_read_b64 v[60:61], v1
	s_waitcnt vmcnt(0) lgkmcnt(0)
	v_mul_f64 v[58:59], v[58:59], v[60:61]
	s_cbranch_execz .LBB26_30
	s_branch .LBB26_31
.LBB26_29:
                                        ; implicit-def: $vgpr58_vgpr59
.LBB26_30:
	ds_read_b64 v[58:59], v1
.LBB26_31:
	s_and_saveexec_b64 s[8:9], s[2:3]
	s_cbranch_execz .LBB26_35
; %bb.32:
	s_movk_i32 s21, 0xb8
	v_subrev_u32_e32 v60, 23, v0
	s_movk_i32 s22, 0x198
	s_mov_b64 s[2:3], 0
.LBB26_33:                              ; =>This Inner Loop Header: Depth=1
	scratch_load_dwordx2 v[62:63], off, s21
	v_mov_b32_e32 v61, s22
	ds_read_b64 v[64:65], v61
	v_add_u32_e32 v60, -1, v60
	s_add_i32 s22, s22, 8
	s_add_i32 s21, s21, 8
	v_cmp_eq_u32_e32 vcc, 0, v60
	s_or_b64 s[2:3], vcc, s[2:3]
	s_waitcnt vmcnt(0) lgkmcnt(0)
	v_fmac_f64_e32 v[58:59], v[62:63], v[64:65]
	s_andn2_b64 exec, exec, s[2:3]
	s_cbranch_execnz .LBB26_33
; %bb.34:
	s_or_b64 exec, exec, s[2:3]
.LBB26_35:
	s_or_b64 exec, exec, s[8:9]
	v_mov_b32_e32 v60, 0
	ds_read_b64 v[60:61], v60 offset:176
	s_waitcnt lgkmcnt(0)
	v_mul_f64 v[58:59], v[58:59], v[60:61]
	scratch_store_dwordx2 off, v[58:59], off offset:176
.LBB26_36:
	s_or_b64 exec, exec, s[4:5]
	scratch_load_dwordx2 v[58:59], off, off offset:168
	v_cmp_lt_u32_e64 s[2:3], 21, v0
	s_waitcnt vmcnt(0)
	ds_write_b64 v1, v[58:59]
	s_waitcnt lgkmcnt(0)
	; wave barrier
	s_and_saveexec_b64 s[4:5], s[2:3]
	s_cbranch_execz .LBB26_46
; %bb.37:
	s_andn2_b64 vcc, exec, s[6:7]
	s_cbranch_vccnz .LBB26_39
; %bb.38:
	scratch_load_dwordx2 v[58:59], v17, off
	ds_read_b64 v[60:61], v1
	s_waitcnt vmcnt(0) lgkmcnt(0)
	v_mul_f64 v[58:59], v[58:59], v[60:61]
	s_cbranch_execz .LBB26_40
	s_branch .LBB26_41
.LBB26_39:
                                        ; implicit-def: $vgpr58_vgpr59
.LBB26_40:
	ds_read_b64 v[58:59], v1
.LBB26_41:
	s_and_saveexec_b64 s[8:9], s[0:1]
	s_cbranch_execz .LBB26_45
; %bb.42:
	v_subrev_u32_e32 v60, 22, v0
	s_movk_i32 s21, 0x190
	s_mov_b64 s[0:1], 0
.LBB26_43:                              ; =>This Inner Loop Header: Depth=1
	scratch_load_dwordx2 v[62:63], off, s20
	v_mov_b32_e32 v61, s21
	ds_read_b64 v[64:65], v61
	v_add_u32_e32 v60, -1, v60
	s_add_i32 s21, s21, 8
	s_add_i32 s20, s20, 8
	v_cmp_eq_u32_e32 vcc, 0, v60
	s_or_b64 s[0:1], vcc, s[0:1]
	s_waitcnt vmcnt(0) lgkmcnt(0)
	v_fmac_f64_e32 v[58:59], v[62:63], v[64:65]
	s_andn2_b64 exec, exec, s[0:1]
	s_cbranch_execnz .LBB26_43
; %bb.44:
	s_or_b64 exec, exec, s[0:1]
.LBB26_45:
	s_or_b64 exec, exec, s[8:9]
	v_mov_b32_e32 v60, 0
	ds_read_b64 v[60:61], v60 offset:168
	s_waitcnt lgkmcnt(0)
	v_mul_f64 v[58:59], v[58:59], v[60:61]
	scratch_store_dwordx2 off, v[58:59], off offset:168
.LBB26_46:
	s_or_b64 exec, exec, s[4:5]
	scratch_load_dwordx2 v[58:59], off, off offset:160
	v_cmp_lt_u32_e64 s[0:1], 20, v0
	s_waitcnt vmcnt(0)
	ds_write_b64 v1, v[58:59]
	s_waitcnt lgkmcnt(0)
	; wave barrier
	s_and_saveexec_b64 s[4:5], s[0:1]
	s_cbranch_execz .LBB26_56
; %bb.47:
	s_andn2_b64 vcc, exec, s[6:7]
	s_cbranch_vccnz .LBB26_49
; %bb.48:
	scratch_load_dwordx2 v[58:59], v17, off
	ds_read_b64 v[60:61], v1
	s_waitcnt vmcnt(0) lgkmcnt(0)
	v_mul_f64 v[58:59], v[58:59], v[60:61]
	s_cbranch_execz .LBB26_50
	s_branch .LBB26_51
.LBB26_49:
                                        ; implicit-def: $vgpr58_vgpr59
.LBB26_50:
	ds_read_b64 v[58:59], v1
.LBB26_51:
	s_and_saveexec_b64 s[8:9], s[2:3]
	s_cbranch_execz .LBB26_55
; %bb.52:
	s_movk_i32 s20, 0xa8
	v_subrev_u32_e32 v60, 21, v0
	s_movk_i32 s21, 0x188
	s_mov_b64 s[2:3], 0
.LBB26_53:                              ; =>This Inner Loop Header: Depth=1
	scratch_load_dwordx2 v[62:63], off, s20
	v_mov_b32_e32 v61, s21
	ds_read_b64 v[64:65], v61
	v_add_u32_e32 v60, -1, v60
	s_add_i32 s21, s21, 8
	s_add_i32 s20, s20, 8
	v_cmp_eq_u32_e32 vcc, 0, v60
	s_or_b64 s[2:3], vcc, s[2:3]
	s_waitcnt vmcnt(0) lgkmcnt(0)
	v_fmac_f64_e32 v[58:59], v[62:63], v[64:65]
	s_andn2_b64 exec, exec, s[2:3]
	s_cbranch_execnz .LBB26_53
; %bb.54:
	s_or_b64 exec, exec, s[2:3]
.LBB26_55:
	s_or_b64 exec, exec, s[8:9]
	v_mov_b32_e32 v60, 0
	ds_read_b64 v[60:61], v60 offset:160
	s_waitcnt lgkmcnt(0)
	v_mul_f64 v[58:59], v[58:59], v[60:61]
	scratch_store_dwordx2 off, v[58:59], off offset:160
.LBB26_56:
	s_or_b64 exec, exec, s[4:5]
	scratch_load_dwordx2 v[58:59], off, off offset:152
	v_cmp_lt_u32_e64 s[2:3], 19, v0
	s_waitcnt vmcnt(0)
	ds_write_b64 v1, v[58:59]
	s_waitcnt lgkmcnt(0)
	; wave barrier
	s_and_saveexec_b64 s[4:5], s[2:3]
	s_cbranch_execz .LBB26_66
; %bb.57:
	s_andn2_b64 vcc, exec, s[6:7]
	s_cbranch_vccnz .LBB26_59
; %bb.58:
	scratch_load_dwordx2 v[58:59], v17, off
	ds_read_b64 v[60:61], v1
	s_waitcnt vmcnt(0) lgkmcnt(0)
	v_mul_f64 v[58:59], v[58:59], v[60:61]
	s_cbranch_execz .LBB26_60
	s_branch .LBB26_61
.LBB26_59:
                                        ; implicit-def: $vgpr58_vgpr59
.LBB26_60:
	ds_read_b64 v[58:59], v1
.LBB26_61:
	s_and_saveexec_b64 s[8:9], s[0:1]
	s_cbranch_execz .LBB26_65
; %bb.62:
	v_subrev_u32_e32 v60, 20, v0
	s_movk_i32 s20, 0x180
	s_mov_b64 s[0:1], 0
.LBB26_63:                              ; =>This Inner Loop Header: Depth=1
	scratch_load_dwordx2 v[62:63], off, s19
	v_mov_b32_e32 v61, s20
	ds_read_b64 v[64:65], v61
	v_add_u32_e32 v60, -1, v60
	s_add_i32 s20, s20, 8
	s_add_i32 s19, s19, 8
	v_cmp_eq_u32_e32 vcc, 0, v60
	s_or_b64 s[0:1], vcc, s[0:1]
	s_waitcnt vmcnt(0) lgkmcnt(0)
	v_fmac_f64_e32 v[58:59], v[62:63], v[64:65]
	s_andn2_b64 exec, exec, s[0:1]
	s_cbranch_execnz .LBB26_63
; %bb.64:
	s_or_b64 exec, exec, s[0:1]
.LBB26_65:
	s_or_b64 exec, exec, s[8:9]
	v_mov_b32_e32 v60, 0
	ds_read_b64 v[60:61], v60 offset:152
	s_waitcnt lgkmcnt(0)
	v_mul_f64 v[58:59], v[58:59], v[60:61]
	scratch_store_dwordx2 off, v[58:59], off offset:152
.LBB26_66:
	s_or_b64 exec, exec, s[4:5]
	scratch_load_dwordx2 v[58:59], off, off offset:144
	v_cmp_lt_u32_e64 s[0:1], 18, v0
	s_waitcnt vmcnt(0)
	ds_write_b64 v1, v[58:59]
	s_waitcnt lgkmcnt(0)
	; wave barrier
	s_and_saveexec_b64 s[4:5], s[0:1]
	s_cbranch_execz .LBB26_76
; %bb.67:
	s_andn2_b64 vcc, exec, s[6:7]
	s_cbranch_vccnz .LBB26_69
; %bb.68:
	scratch_load_dwordx2 v[58:59], v17, off
	ds_read_b64 v[60:61], v1
	s_waitcnt vmcnt(0) lgkmcnt(0)
	v_mul_f64 v[58:59], v[58:59], v[60:61]
	s_cbranch_execz .LBB26_70
	s_branch .LBB26_71
.LBB26_69:
                                        ; implicit-def: $vgpr58_vgpr59
.LBB26_70:
	ds_read_b64 v[58:59], v1
.LBB26_71:
	s_and_saveexec_b64 s[8:9], s[2:3]
	s_cbranch_execz .LBB26_75
; %bb.72:
	s_movk_i32 s19, 0x98
	v_subrev_u32_e32 v60, 19, v0
	s_movk_i32 s20, 0x178
	s_mov_b64 s[2:3], 0
.LBB26_73:                              ; =>This Inner Loop Header: Depth=1
	scratch_load_dwordx2 v[62:63], off, s19
	v_mov_b32_e32 v61, s20
	ds_read_b64 v[64:65], v61
	v_add_u32_e32 v60, -1, v60
	s_add_i32 s20, s20, 8
	s_add_i32 s19, s19, 8
	v_cmp_eq_u32_e32 vcc, 0, v60
	s_or_b64 s[2:3], vcc, s[2:3]
	s_waitcnt vmcnt(0) lgkmcnt(0)
	v_fmac_f64_e32 v[58:59], v[62:63], v[64:65]
	s_andn2_b64 exec, exec, s[2:3]
	s_cbranch_execnz .LBB26_73
; %bb.74:
	s_or_b64 exec, exec, s[2:3]
.LBB26_75:
	s_or_b64 exec, exec, s[8:9]
	v_mov_b32_e32 v60, 0
	ds_read_b64 v[60:61], v60 offset:144
	s_waitcnt lgkmcnt(0)
	v_mul_f64 v[58:59], v[58:59], v[60:61]
	scratch_store_dwordx2 off, v[58:59], off offset:144
.LBB26_76:
	s_or_b64 exec, exec, s[4:5]
	scratch_load_dwordx2 v[58:59], off, off offset:136
	v_cmp_lt_u32_e64 s[2:3], 17, v0
	s_waitcnt vmcnt(0)
	ds_write_b64 v1, v[58:59]
	s_waitcnt lgkmcnt(0)
	; wave barrier
	s_and_saveexec_b64 s[4:5], s[2:3]
	s_cbranch_execz .LBB26_86
; %bb.77:
	s_andn2_b64 vcc, exec, s[6:7]
	s_cbranch_vccnz .LBB26_79
; %bb.78:
	scratch_load_dwordx2 v[58:59], v17, off
	ds_read_b64 v[60:61], v1
	s_waitcnt vmcnt(0) lgkmcnt(0)
	v_mul_f64 v[58:59], v[58:59], v[60:61]
	s_cbranch_execz .LBB26_80
	s_branch .LBB26_81
.LBB26_79:
                                        ; implicit-def: $vgpr58_vgpr59
.LBB26_80:
	ds_read_b64 v[58:59], v1
.LBB26_81:
	s_and_saveexec_b64 s[8:9], s[0:1]
	s_cbranch_execz .LBB26_85
; %bb.82:
	v_subrev_u32_e32 v60, 18, v0
	s_movk_i32 s19, 0x170
	s_mov_b64 s[0:1], 0
.LBB26_83:                              ; =>This Inner Loop Header: Depth=1
	scratch_load_dwordx2 v[62:63], off, s18
	v_mov_b32_e32 v61, s19
	ds_read_b64 v[64:65], v61
	v_add_u32_e32 v60, -1, v60
	s_add_i32 s19, s19, 8
	s_add_i32 s18, s18, 8
	v_cmp_eq_u32_e32 vcc, 0, v60
	s_or_b64 s[0:1], vcc, s[0:1]
	s_waitcnt vmcnt(0) lgkmcnt(0)
	v_fmac_f64_e32 v[58:59], v[62:63], v[64:65]
	s_andn2_b64 exec, exec, s[0:1]
	s_cbranch_execnz .LBB26_83
; %bb.84:
	s_or_b64 exec, exec, s[0:1]
.LBB26_85:
	s_or_b64 exec, exec, s[8:9]
	v_mov_b32_e32 v60, 0
	ds_read_b64 v[60:61], v60 offset:136
	s_waitcnt lgkmcnt(0)
	v_mul_f64 v[58:59], v[58:59], v[60:61]
	scratch_store_dwordx2 off, v[58:59], off offset:136
.LBB26_86:
	s_or_b64 exec, exec, s[4:5]
	scratch_load_dwordx2 v[58:59], off, off offset:128
	v_cmp_lt_u32_e64 s[0:1], 16, v0
	s_waitcnt vmcnt(0)
	ds_write_b64 v1, v[58:59]
	s_waitcnt lgkmcnt(0)
	; wave barrier
	s_and_saveexec_b64 s[4:5], s[0:1]
	s_cbranch_execz .LBB26_96
; %bb.87:
	s_andn2_b64 vcc, exec, s[6:7]
	s_cbranch_vccnz .LBB26_89
; %bb.88:
	scratch_load_dwordx2 v[58:59], v17, off
	ds_read_b64 v[60:61], v1
	s_waitcnt vmcnt(0) lgkmcnt(0)
	v_mul_f64 v[58:59], v[58:59], v[60:61]
	s_cbranch_execz .LBB26_90
	s_branch .LBB26_91
.LBB26_89:
                                        ; implicit-def: $vgpr58_vgpr59
.LBB26_90:
	ds_read_b64 v[58:59], v1
.LBB26_91:
	s_and_saveexec_b64 s[8:9], s[2:3]
	s_cbranch_execz .LBB26_95
; %bb.92:
	s_movk_i32 s18, 0x88
	v_subrev_u32_e32 v60, 17, v0
	s_movk_i32 s19, 0x168
	s_mov_b64 s[2:3], 0
.LBB26_93:                              ; =>This Inner Loop Header: Depth=1
	scratch_load_dwordx2 v[62:63], off, s18
	v_mov_b32_e32 v61, s19
	ds_read_b64 v[64:65], v61
	v_add_u32_e32 v60, -1, v60
	s_add_i32 s19, s19, 8
	s_add_i32 s18, s18, 8
	v_cmp_eq_u32_e32 vcc, 0, v60
	s_or_b64 s[2:3], vcc, s[2:3]
	s_waitcnt vmcnt(0) lgkmcnt(0)
	v_fmac_f64_e32 v[58:59], v[62:63], v[64:65]
	s_andn2_b64 exec, exec, s[2:3]
	s_cbranch_execnz .LBB26_93
; %bb.94:
	s_or_b64 exec, exec, s[2:3]
.LBB26_95:
	s_or_b64 exec, exec, s[8:9]
	v_mov_b32_e32 v60, 0
	ds_read_b64 v[60:61], v60 offset:128
	s_waitcnt lgkmcnt(0)
	v_mul_f64 v[58:59], v[58:59], v[60:61]
	scratch_store_dwordx2 off, v[58:59], off offset:128
.LBB26_96:
	s_or_b64 exec, exec, s[4:5]
	scratch_load_dwordx2 v[58:59], off, off offset:120
	v_cmp_lt_u32_e64 s[2:3], 15, v0
	s_waitcnt vmcnt(0)
	ds_write_b64 v1, v[58:59]
	s_waitcnt lgkmcnt(0)
	; wave barrier
	s_and_saveexec_b64 s[4:5], s[2:3]
	s_cbranch_execz .LBB26_106
; %bb.97:
	s_andn2_b64 vcc, exec, s[6:7]
	s_cbranch_vccnz .LBB26_99
; %bb.98:
	scratch_load_dwordx2 v[58:59], v17, off
	ds_read_b64 v[60:61], v1
	s_waitcnt vmcnt(0) lgkmcnt(0)
	v_mul_f64 v[58:59], v[58:59], v[60:61]
	s_cbranch_execz .LBB26_100
	s_branch .LBB26_101
.LBB26_99:
                                        ; implicit-def: $vgpr58_vgpr59
.LBB26_100:
	ds_read_b64 v[58:59], v1
.LBB26_101:
	s_and_saveexec_b64 s[8:9], s[0:1]
	s_cbranch_execz .LBB26_105
; %bb.102:
	v_add_u32_e32 v60, -16, v0
	s_movk_i32 s18, 0x160
	s_mov_b64 s[0:1], 0
.LBB26_103:                             ; =>This Inner Loop Header: Depth=1
	scratch_load_dwordx2 v[62:63], off, s17
	v_mov_b32_e32 v61, s18
	ds_read_b64 v[64:65], v61
	v_add_u32_e32 v60, -1, v60
	s_add_i32 s18, s18, 8
	s_add_i32 s17, s17, 8
	v_cmp_eq_u32_e32 vcc, 0, v60
	s_or_b64 s[0:1], vcc, s[0:1]
	s_waitcnt vmcnt(0) lgkmcnt(0)
	v_fmac_f64_e32 v[58:59], v[62:63], v[64:65]
	s_andn2_b64 exec, exec, s[0:1]
	s_cbranch_execnz .LBB26_103
; %bb.104:
	s_or_b64 exec, exec, s[0:1]
.LBB26_105:
	s_or_b64 exec, exec, s[8:9]
	v_mov_b32_e32 v60, 0
	ds_read_b64 v[60:61], v60 offset:120
	s_waitcnt lgkmcnt(0)
	v_mul_f64 v[58:59], v[58:59], v[60:61]
	scratch_store_dwordx2 off, v[58:59], off offset:120
.LBB26_106:
	s_or_b64 exec, exec, s[4:5]
	scratch_load_dwordx2 v[58:59], off, off offset:112
	v_cmp_lt_u32_e64 s[0:1], 14, v0
	s_waitcnt vmcnt(0)
	ds_write_b64 v1, v[58:59]
	s_waitcnt lgkmcnt(0)
	; wave barrier
	s_and_saveexec_b64 s[4:5], s[0:1]
	s_cbranch_execz .LBB26_116
; %bb.107:
	s_andn2_b64 vcc, exec, s[6:7]
	s_cbranch_vccnz .LBB26_109
; %bb.108:
	scratch_load_dwordx2 v[58:59], v17, off
	ds_read_b64 v[60:61], v1
	s_waitcnt vmcnt(0) lgkmcnt(0)
	v_mul_f64 v[58:59], v[58:59], v[60:61]
	s_cbranch_execz .LBB26_110
	s_branch .LBB26_111
.LBB26_109:
                                        ; implicit-def: $vgpr58_vgpr59
.LBB26_110:
	ds_read_b64 v[58:59], v1
.LBB26_111:
	s_and_saveexec_b64 s[8:9], s[2:3]
	s_cbranch_execz .LBB26_115
; %bb.112:
	s_movk_i32 s17, 0x78
	v_add_u32_e32 v60, -15, v0
	s_movk_i32 s18, 0x158
	s_mov_b64 s[2:3], 0
.LBB26_113:                             ; =>This Inner Loop Header: Depth=1
	scratch_load_dwordx2 v[62:63], off, s17
	v_mov_b32_e32 v61, s18
	ds_read_b64 v[64:65], v61
	v_add_u32_e32 v60, -1, v60
	s_add_i32 s18, s18, 8
	s_add_i32 s17, s17, 8
	v_cmp_eq_u32_e32 vcc, 0, v60
	s_or_b64 s[2:3], vcc, s[2:3]
	s_waitcnt vmcnt(0) lgkmcnt(0)
	v_fmac_f64_e32 v[58:59], v[62:63], v[64:65]
	s_andn2_b64 exec, exec, s[2:3]
	s_cbranch_execnz .LBB26_113
; %bb.114:
	s_or_b64 exec, exec, s[2:3]
.LBB26_115:
	s_or_b64 exec, exec, s[8:9]
	v_mov_b32_e32 v60, 0
	ds_read_b64 v[60:61], v60 offset:112
	s_waitcnt lgkmcnt(0)
	v_mul_f64 v[58:59], v[58:59], v[60:61]
	scratch_store_dwordx2 off, v[58:59], off offset:112
.LBB26_116:
	s_or_b64 exec, exec, s[4:5]
	scratch_load_dwordx2 v[58:59], off, off offset:104
	v_cmp_lt_u32_e64 s[2:3], 13, v0
	s_waitcnt vmcnt(0)
	ds_write_b64 v1, v[58:59]
	s_waitcnt lgkmcnt(0)
	; wave barrier
	s_and_saveexec_b64 s[4:5], s[2:3]
	s_cbranch_execz .LBB26_126
; %bb.117:
	s_andn2_b64 vcc, exec, s[6:7]
	s_cbranch_vccnz .LBB26_119
; %bb.118:
	scratch_load_dwordx2 v[58:59], v17, off
	ds_read_b64 v[60:61], v1
	s_waitcnt vmcnt(0) lgkmcnt(0)
	v_mul_f64 v[58:59], v[58:59], v[60:61]
	s_cbranch_execz .LBB26_120
	s_branch .LBB26_121
.LBB26_119:
                                        ; implicit-def: $vgpr58_vgpr59
.LBB26_120:
	ds_read_b64 v[58:59], v1
.LBB26_121:
	s_and_saveexec_b64 s[8:9], s[0:1]
	s_cbranch_execz .LBB26_125
; %bb.122:
	v_add_u32_e32 v60, -14, v0
	s_movk_i32 s17, 0x150
	s_mov_b64 s[0:1], 0
.LBB26_123:                             ; =>This Inner Loop Header: Depth=1
	scratch_load_dwordx2 v[62:63], off, s16
	v_mov_b32_e32 v61, s17
	ds_read_b64 v[64:65], v61
	v_add_u32_e32 v60, -1, v60
	s_add_i32 s17, s17, 8
	s_add_i32 s16, s16, 8
	v_cmp_eq_u32_e32 vcc, 0, v60
	s_or_b64 s[0:1], vcc, s[0:1]
	s_waitcnt vmcnt(0) lgkmcnt(0)
	v_fmac_f64_e32 v[58:59], v[62:63], v[64:65]
	s_andn2_b64 exec, exec, s[0:1]
	s_cbranch_execnz .LBB26_123
; %bb.124:
	s_or_b64 exec, exec, s[0:1]
.LBB26_125:
	s_or_b64 exec, exec, s[8:9]
	v_mov_b32_e32 v60, 0
	ds_read_b64 v[60:61], v60 offset:104
	s_waitcnt lgkmcnt(0)
	v_mul_f64 v[58:59], v[58:59], v[60:61]
	scratch_store_dwordx2 off, v[58:59], off offset:104
.LBB26_126:
	s_or_b64 exec, exec, s[4:5]
	scratch_load_dwordx2 v[58:59], off, off offset:96
	v_cmp_lt_u32_e64 s[0:1], 12, v0
	s_waitcnt vmcnt(0)
	ds_write_b64 v1, v[58:59]
	s_waitcnt lgkmcnt(0)
	; wave barrier
	s_and_saveexec_b64 s[4:5], s[0:1]
	s_cbranch_execz .LBB26_136
; %bb.127:
	s_andn2_b64 vcc, exec, s[6:7]
	s_cbranch_vccnz .LBB26_129
; %bb.128:
	scratch_load_dwordx2 v[58:59], v17, off
	ds_read_b64 v[60:61], v1
	s_waitcnt vmcnt(0) lgkmcnt(0)
	v_mul_f64 v[58:59], v[58:59], v[60:61]
	s_cbranch_execz .LBB26_130
	s_branch .LBB26_131
.LBB26_129:
                                        ; implicit-def: $vgpr58_vgpr59
.LBB26_130:
	ds_read_b64 v[58:59], v1
.LBB26_131:
	s_and_saveexec_b64 s[8:9], s[2:3]
	s_cbranch_execz .LBB26_135
; %bb.132:
	s_movk_i32 s16, 0x68
	v_add_u32_e32 v60, -13, v0
	s_movk_i32 s17, 0x148
	s_mov_b64 s[2:3], 0
.LBB26_133:                             ; =>This Inner Loop Header: Depth=1
	scratch_load_dwordx2 v[62:63], off, s16
	v_mov_b32_e32 v61, s17
	ds_read_b64 v[64:65], v61
	v_add_u32_e32 v60, -1, v60
	s_add_i32 s17, s17, 8
	s_add_i32 s16, s16, 8
	v_cmp_eq_u32_e32 vcc, 0, v60
	s_or_b64 s[2:3], vcc, s[2:3]
	s_waitcnt vmcnt(0) lgkmcnt(0)
	v_fmac_f64_e32 v[58:59], v[62:63], v[64:65]
	s_andn2_b64 exec, exec, s[2:3]
	s_cbranch_execnz .LBB26_133
; %bb.134:
	s_or_b64 exec, exec, s[2:3]
.LBB26_135:
	s_or_b64 exec, exec, s[8:9]
	v_mov_b32_e32 v60, 0
	ds_read_b64 v[60:61], v60 offset:96
	s_waitcnt lgkmcnt(0)
	v_mul_f64 v[58:59], v[58:59], v[60:61]
	scratch_store_dwordx2 off, v[58:59], off offset:96
.LBB26_136:
	s_or_b64 exec, exec, s[4:5]
	scratch_load_dwordx2 v[58:59], off, off offset:88
	v_cmp_lt_u32_e64 s[2:3], 11, v0
	s_waitcnt vmcnt(0)
	ds_write_b64 v1, v[58:59]
	s_waitcnt lgkmcnt(0)
	; wave barrier
	s_and_saveexec_b64 s[4:5], s[2:3]
	s_cbranch_execz .LBB26_146
; %bb.137:
	s_andn2_b64 vcc, exec, s[6:7]
	s_cbranch_vccnz .LBB26_139
; %bb.138:
	scratch_load_dwordx2 v[58:59], v17, off
	ds_read_b64 v[60:61], v1
	s_waitcnt vmcnt(0) lgkmcnt(0)
	v_mul_f64 v[58:59], v[58:59], v[60:61]
	s_cbranch_execz .LBB26_140
	s_branch .LBB26_141
.LBB26_139:
                                        ; implicit-def: $vgpr58_vgpr59
.LBB26_140:
	ds_read_b64 v[58:59], v1
.LBB26_141:
	s_and_saveexec_b64 s[8:9], s[0:1]
	s_cbranch_execz .LBB26_145
; %bb.142:
	v_add_u32_e32 v60, -12, v0
	s_movk_i32 s16, 0x140
	s_mov_b64 s[0:1], 0
.LBB26_143:                             ; =>This Inner Loop Header: Depth=1
	scratch_load_dwordx2 v[62:63], off, s15
	v_mov_b32_e32 v61, s16
	ds_read_b64 v[64:65], v61
	v_add_u32_e32 v60, -1, v60
	s_add_i32 s16, s16, 8
	s_add_i32 s15, s15, 8
	v_cmp_eq_u32_e32 vcc, 0, v60
	s_or_b64 s[0:1], vcc, s[0:1]
	s_waitcnt vmcnt(0) lgkmcnt(0)
	v_fmac_f64_e32 v[58:59], v[62:63], v[64:65]
	s_andn2_b64 exec, exec, s[0:1]
	s_cbranch_execnz .LBB26_143
; %bb.144:
	s_or_b64 exec, exec, s[0:1]
.LBB26_145:
	s_or_b64 exec, exec, s[8:9]
	v_mov_b32_e32 v60, 0
	ds_read_b64 v[60:61], v60 offset:88
	s_waitcnt lgkmcnt(0)
	v_mul_f64 v[58:59], v[58:59], v[60:61]
	scratch_store_dwordx2 off, v[58:59], off offset:88
.LBB26_146:
	s_or_b64 exec, exec, s[4:5]
	scratch_load_dwordx2 v[58:59], off, off offset:80
	v_cmp_lt_u32_e64 s[0:1], 10, v0
	s_waitcnt vmcnt(0)
	ds_write_b64 v1, v[58:59]
	s_waitcnt lgkmcnt(0)
	; wave barrier
	s_and_saveexec_b64 s[4:5], s[0:1]
	s_cbranch_execz .LBB26_156
; %bb.147:
	s_andn2_b64 vcc, exec, s[6:7]
	s_cbranch_vccnz .LBB26_149
; %bb.148:
	scratch_load_dwordx2 v[58:59], v17, off
	ds_read_b64 v[60:61], v1
	s_waitcnt vmcnt(0) lgkmcnt(0)
	v_mul_f64 v[58:59], v[58:59], v[60:61]
	s_cbranch_execz .LBB26_150
	s_branch .LBB26_151
.LBB26_149:
                                        ; implicit-def: $vgpr58_vgpr59
.LBB26_150:
	ds_read_b64 v[58:59], v1
.LBB26_151:
	s_and_saveexec_b64 s[8:9], s[2:3]
	s_cbranch_execz .LBB26_155
; %bb.152:
	s_movk_i32 s15, 0x58
	v_add_u32_e32 v60, -11, v0
	s_movk_i32 s16, 0x138
	s_mov_b64 s[2:3], 0
.LBB26_153:                             ; =>This Inner Loop Header: Depth=1
	scratch_load_dwordx2 v[62:63], off, s15
	v_mov_b32_e32 v61, s16
	ds_read_b64 v[64:65], v61
	v_add_u32_e32 v60, -1, v60
	s_add_i32 s16, s16, 8
	s_add_i32 s15, s15, 8
	v_cmp_eq_u32_e32 vcc, 0, v60
	s_or_b64 s[2:3], vcc, s[2:3]
	s_waitcnt vmcnt(0) lgkmcnt(0)
	v_fmac_f64_e32 v[58:59], v[62:63], v[64:65]
	s_andn2_b64 exec, exec, s[2:3]
	s_cbranch_execnz .LBB26_153
; %bb.154:
	s_or_b64 exec, exec, s[2:3]
.LBB26_155:
	s_or_b64 exec, exec, s[8:9]
	v_mov_b32_e32 v60, 0
	ds_read_b64 v[60:61], v60 offset:80
	s_waitcnt lgkmcnt(0)
	v_mul_f64 v[58:59], v[58:59], v[60:61]
	scratch_store_dwordx2 off, v[58:59], off offset:80
.LBB26_156:
	s_or_b64 exec, exec, s[4:5]
	scratch_load_dwordx2 v[58:59], off, off offset:72
	v_cmp_lt_u32_e64 s[2:3], 9, v0
	s_waitcnt vmcnt(0)
	ds_write_b64 v1, v[58:59]
	s_waitcnt lgkmcnt(0)
	; wave barrier
	s_and_saveexec_b64 s[4:5], s[2:3]
	s_cbranch_execz .LBB26_166
; %bb.157:
	s_andn2_b64 vcc, exec, s[6:7]
	s_cbranch_vccnz .LBB26_159
; %bb.158:
	scratch_load_dwordx2 v[58:59], v17, off
	ds_read_b64 v[60:61], v1
	s_waitcnt vmcnt(0) lgkmcnt(0)
	v_mul_f64 v[58:59], v[58:59], v[60:61]
	s_cbranch_execz .LBB26_160
	s_branch .LBB26_161
.LBB26_159:
                                        ; implicit-def: $vgpr58_vgpr59
.LBB26_160:
	ds_read_b64 v[58:59], v1
.LBB26_161:
	s_and_saveexec_b64 s[8:9], s[0:1]
	s_cbranch_execz .LBB26_165
; %bb.162:
	v_add_u32_e32 v60, -10, v0
	s_movk_i32 s15, 0x130
	s_mov_b64 s[0:1], 0
.LBB26_163:                             ; =>This Inner Loop Header: Depth=1
	scratch_load_dwordx2 v[62:63], off, s14
	v_mov_b32_e32 v61, s15
	ds_read_b64 v[64:65], v61
	v_add_u32_e32 v60, -1, v60
	s_add_i32 s15, s15, 8
	s_add_i32 s14, s14, 8
	v_cmp_eq_u32_e32 vcc, 0, v60
	s_or_b64 s[0:1], vcc, s[0:1]
	s_waitcnt vmcnt(0) lgkmcnt(0)
	v_fmac_f64_e32 v[58:59], v[62:63], v[64:65]
	s_andn2_b64 exec, exec, s[0:1]
	s_cbranch_execnz .LBB26_163
; %bb.164:
	s_or_b64 exec, exec, s[0:1]
.LBB26_165:
	s_or_b64 exec, exec, s[8:9]
	v_mov_b32_e32 v60, 0
	ds_read_b64 v[60:61], v60 offset:72
	s_waitcnt lgkmcnt(0)
	v_mul_f64 v[58:59], v[58:59], v[60:61]
	scratch_store_dwordx2 off, v[58:59], off offset:72
.LBB26_166:
	s_or_b64 exec, exec, s[4:5]
	scratch_load_dwordx2 v[58:59], off, off offset:64
	v_cmp_lt_u32_e64 s[0:1], 8, v0
	s_waitcnt vmcnt(0)
	ds_write_b64 v1, v[58:59]
	s_waitcnt lgkmcnt(0)
	; wave barrier
	s_and_saveexec_b64 s[4:5], s[0:1]
	s_cbranch_execz .LBB26_176
; %bb.167:
	s_andn2_b64 vcc, exec, s[6:7]
	s_cbranch_vccnz .LBB26_169
; %bb.168:
	scratch_load_dwordx2 v[58:59], v17, off
	ds_read_b64 v[60:61], v1
	s_waitcnt vmcnt(0) lgkmcnt(0)
	v_mul_f64 v[58:59], v[58:59], v[60:61]
	s_cbranch_execz .LBB26_170
	s_branch .LBB26_171
.LBB26_169:
                                        ; implicit-def: $vgpr58_vgpr59
.LBB26_170:
	ds_read_b64 v[58:59], v1
.LBB26_171:
	s_and_saveexec_b64 s[8:9], s[2:3]
	s_cbranch_execz .LBB26_175
; %bb.172:
	s_movk_i32 s14, 0x48
	v_add_u32_e32 v60, -9, v0
	s_movk_i32 s15, 0x128
	s_mov_b64 s[2:3], 0
.LBB26_173:                             ; =>This Inner Loop Header: Depth=1
	scratch_load_dwordx2 v[62:63], off, s14
	v_mov_b32_e32 v61, s15
	ds_read_b64 v[64:65], v61
	v_add_u32_e32 v60, -1, v60
	s_add_i32 s15, s15, 8
	s_add_i32 s14, s14, 8
	v_cmp_eq_u32_e32 vcc, 0, v60
	s_or_b64 s[2:3], vcc, s[2:3]
	s_waitcnt vmcnt(0) lgkmcnt(0)
	v_fmac_f64_e32 v[58:59], v[62:63], v[64:65]
	s_andn2_b64 exec, exec, s[2:3]
	s_cbranch_execnz .LBB26_173
; %bb.174:
	s_or_b64 exec, exec, s[2:3]
.LBB26_175:
	s_or_b64 exec, exec, s[8:9]
	v_mov_b32_e32 v60, 0
	ds_read_b64 v[60:61], v60 offset:64
	s_waitcnt lgkmcnt(0)
	v_mul_f64 v[58:59], v[58:59], v[60:61]
	scratch_store_dwordx2 off, v[58:59], off offset:64
.LBB26_176:
	s_or_b64 exec, exec, s[4:5]
	scratch_load_dwordx2 v[58:59], off, off offset:56
	v_cmp_lt_u32_e64 s[2:3], 7, v0
	s_waitcnt vmcnt(0)
	ds_write_b64 v1, v[58:59]
	s_waitcnt lgkmcnt(0)
	; wave barrier
	s_and_saveexec_b64 s[4:5], s[2:3]
	s_cbranch_execz .LBB26_186
; %bb.177:
	s_andn2_b64 vcc, exec, s[6:7]
	s_cbranch_vccnz .LBB26_179
; %bb.178:
	scratch_load_dwordx2 v[58:59], v17, off
	ds_read_b64 v[60:61], v1
	s_waitcnt vmcnt(0) lgkmcnt(0)
	v_mul_f64 v[58:59], v[58:59], v[60:61]
	s_cbranch_execz .LBB26_180
	s_branch .LBB26_181
.LBB26_179:
                                        ; implicit-def: $vgpr58_vgpr59
.LBB26_180:
	ds_read_b64 v[58:59], v1
.LBB26_181:
	s_and_saveexec_b64 s[8:9], s[0:1]
	s_cbranch_execz .LBB26_185
; %bb.182:
	v_add_u32_e32 v60, -8, v0
	s_movk_i32 s14, 0x120
	s_mov_b64 s[0:1], 0
.LBB26_183:                             ; =>This Inner Loop Header: Depth=1
	scratch_load_dwordx2 v[62:63], off, s13
	v_mov_b32_e32 v61, s14
	ds_read_b64 v[64:65], v61
	v_add_u32_e32 v60, -1, v60
	s_add_i32 s14, s14, 8
	s_add_i32 s13, s13, 8
	v_cmp_eq_u32_e32 vcc, 0, v60
	s_or_b64 s[0:1], vcc, s[0:1]
	s_waitcnt vmcnt(0) lgkmcnt(0)
	v_fmac_f64_e32 v[58:59], v[62:63], v[64:65]
	s_andn2_b64 exec, exec, s[0:1]
	s_cbranch_execnz .LBB26_183
; %bb.184:
	s_or_b64 exec, exec, s[0:1]
.LBB26_185:
	s_or_b64 exec, exec, s[8:9]
	v_mov_b32_e32 v60, 0
	ds_read_b64 v[60:61], v60 offset:56
	s_waitcnt lgkmcnt(0)
	v_mul_f64 v[58:59], v[58:59], v[60:61]
	scratch_store_dwordx2 off, v[58:59], off offset:56
.LBB26_186:
	s_or_b64 exec, exec, s[4:5]
	scratch_load_dwordx2 v[58:59], off, off offset:48
	v_cmp_lt_u32_e64 s[0:1], 6, v0
	s_waitcnt vmcnt(0)
	ds_write_b64 v1, v[58:59]
	s_waitcnt lgkmcnt(0)
	; wave barrier
	s_and_saveexec_b64 s[4:5], s[0:1]
	s_cbranch_execz .LBB26_196
; %bb.187:
	s_andn2_b64 vcc, exec, s[6:7]
	s_cbranch_vccnz .LBB26_189
; %bb.188:
	scratch_load_dwordx2 v[58:59], v17, off
	ds_read_b64 v[60:61], v1
	s_waitcnt vmcnt(0) lgkmcnt(0)
	v_mul_f64 v[58:59], v[58:59], v[60:61]
	s_cbranch_execz .LBB26_190
	s_branch .LBB26_191
.LBB26_189:
                                        ; implicit-def: $vgpr58_vgpr59
.LBB26_190:
	ds_read_b64 v[58:59], v1
.LBB26_191:
	s_and_saveexec_b64 s[8:9], s[2:3]
	s_cbranch_execz .LBB26_195
; %bb.192:
	s_mov_b32 s13, 56
	v_add_u32_e32 v60, -7, v0
	s_movk_i32 s14, 0x118
	s_mov_b64 s[2:3], 0
.LBB26_193:                             ; =>This Inner Loop Header: Depth=1
	scratch_load_dwordx2 v[62:63], off, s13
	v_mov_b32_e32 v61, s14
	ds_read_b64 v[64:65], v61
	v_add_u32_e32 v60, -1, v60
	s_add_i32 s14, s14, 8
	s_add_i32 s13, s13, 8
	v_cmp_eq_u32_e32 vcc, 0, v60
	s_or_b64 s[2:3], vcc, s[2:3]
	s_waitcnt vmcnt(0) lgkmcnt(0)
	v_fmac_f64_e32 v[58:59], v[62:63], v[64:65]
	s_andn2_b64 exec, exec, s[2:3]
	s_cbranch_execnz .LBB26_193
; %bb.194:
	s_or_b64 exec, exec, s[2:3]
.LBB26_195:
	s_or_b64 exec, exec, s[8:9]
	v_mov_b32_e32 v60, 0
	ds_read_b64 v[60:61], v60 offset:48
	s_waitcnt lgkmcnt(0)
	v_mul_f64 v[58:59], v[58:59], v[60:61]
	scratch_store_dwordx2 off, v[58:59], off offset:48
.LBB26_196:
	s_or_b64 exec, exec, s[4:5]
	scratch_load_dwordx2 v[58:59], off, off offset:40
	v_cmp_lt_u32_e64 s[2:3], 5, v0
	s_waitcnt vmcnt(0)
	ds_write_b64 v1, v[58:59]
	s_waitcnt lgkmcnt(0)
	; wave barrier
	s_and_saveexec_b64 s[4:5], s[2:3]
	s_cbranch_execz .LBB26_206
; %bb.197:
	s_andn2_b64 vcc, exec, s[6:7]
	s_cbranch_vccnz .LBB26_199
; %bb.198:
	scratch_load_dwordx2 v[58:59], v17, off
	ds_read_b64 v[60:61], v1
	s_waitcnt vmcnt(0) lgkmcnt(0)
	v_mul_f64 v[58:59], v[58:59], v[60:61]
	s_cbranch_execz .LBB26_200
	s_branch .LBB26_201
.LBB26_199:
                                        ; implicit-def: $vgpr58_vgpr59
.LBB26_200:
	ds_read_b64 v[58:59], v1
.LBB26_201:
	s_and_saveexec_b64 s[8:9], s[0:1]
	s_cbranch_execz .LBB26_205
; %bb.202:
	v_add_u32_e32 v60, -6, v0
	s_movk_i32 s13, 0x110
	s_mov_b64 s[0:1], 0
.LBB26_203:                             ; =>This Inner Loop Header: Depth=1
	scratch_load_dwordx2 v[62:63], off, s12
	v_mov_b32_e32 v61, s13
	ds_read_b64 v[64:65], v61
	v_add_u32_e32 v60, -1, v60
	s_add_i32 s13, s13, 8
	s_add_i32 s12, s12, 8
	v_cmp_eq_u32_e32 vcc, 0, v60
	s_or_b64 s[0:1], vcc, s[0:1]
	s_waitcnt vmcnt(0) lgkmcnt(0)
	v_fmac_f64_e32 v[58:59], v[62:63], v[64:65]
	s_andn2_b64 exec, exec, s[0:1]
	s_cbranch_execnz .LBB26_203
; %bb.204:
	s_or_b64 exec, exec, s[0:1]
.LBB26_205:
	s_or_b64 exec, exec, s[8:9]
	v_mov_b32_e32 v60, 0
	ds_read_b64 v[60:61], v60 offset:40
	s_waitcnt lgkmcnt(0)
	v_mul_f64 v[58:59], v[58:59], v[60:61]
	scratch_store_dwordx2 off, v[58:59], off offset:40
.LBB26_206:
	s_or_b64 exec, exec, s[4:5]
	scratch_load_dwordx2 v[58:59], off, off offset:32
	v_cmp_lt_u32_e64 s[0:1], 4, v0
	s_waitcnt vmcnt(0)
	ds_write_b64 v1, v[58:59]
	s_waitcnt lgkmcnt(0)
	; wave barrier
	s_and_saveexec_b64 s[4:5], s[0:1]
	s_cbranch_execz .LBB26_216
; %bb.207:
	s_andn2_b64 vcc, exec, s[6:7]
	s_cbranch_vccnz .LBB26_209
; %bb.208:
	scratch_load_dwordx2 v[58:59], v17, off
	ds_read_b64 v[60:61], v1
	s_waitcnt vmcnt(0) lgkmcnt(0)
	v_mul_f64 v[58:59], v[58:59], v[60:61]
	s_cbranch_execz .LBB26_210
	s_branch .LBB26_211
.LBB26_209:
                                        ; implicit-def: $vgpr58_vgpr59
.LBB26_210:
	ds_read_b64 v[58:59], v1
.LBB26_211:
	s_and_saveexec_b64 s[8:9], s[2:3]
	s_cbranch_execz .LBB26_215
; %bb.212:
	s_mov_b32 s12, 40
	v_add_u32_e32 v60, -5, v0
	s_movk_i32 s13, 0x108
	s_mov_b64 s[2:3], 0
.LBB26_213:                             ; =>This Inner Loop Header: Depth=1
	scratch_load_dwordx2 v[62:63], off, s12
	v_mov_b32_e32 v61, s13
	ds_read_b64 v[64:65], v61
	v_add_u32_e32 v60, -1, v60
	s_add_i32 s13, s13, 8
	s_add_i32 s12, s12, 8
	v_cmp_eq_u32_e32 vcc, 0, v60
	s_or_b64 s[2:3], vcc, s[2:3]
	s_waitcnt vmcnt(0) lgkmcnt(0)
	v_fmac_f64_e32 v[58:59], v[62:63], v[64:65]
	s_andn2_b64 exec, exec, s[2:3]
	s_cbranch_execnz .LBB26_213
; %bb.214:
	s_or_b64 exec, exec, s[2:3]
.LBB26_215:
	s_or_b64 exec, exec, s[8:9]
	v_mov_b32_e32 v60, 0
	ds_read_b64 v[60:61], v60 offset:32
	s_waitcnt lgkmcnt(0)
	v_mul_f64 v[58:59], v[58:59], v[60:61]
	scratch_store_dwordx2 off, v[58:59], off offset:32
.LBB26_216:
	s_or_b64 exec, exec, s[4:5]
	scratch_load_dwordx2 v[58:59], off, off offset:24
	v_cmp_lt_u32_e64 s[2:3], 3, v0
	s_waitcnt vmcnt(0)
	ds_write_b64 v1, v[58:59]
	s_waitcnt lgkmcnt(0)
	; wave barrier
	s_and_saveexec_b64 s[4:5], s[2:3]
	s_cbranch_execz .LBB26_226
; %bb.217:
	s_andn2_b64 vcc, exec, s[6:7]
	s_cbranch_vccnz .LBB26_219
; %bb.218:
	scratch_load_dwordx2 v[58:59], v17, off
	ds_read_b64 v[60:61], v1
	s_waitcnt vmcnt(0) lgkmcnt(0)
	v_mul_f64 v[58:59], v[58:59], v[60:61]
	s_cbranch_execz .LBB26_220
	s_branch .LBB26_221
.LBB26_219:
                                        ; implicit-def: $vgpr58_vgpr59
.LBB26_220:
	ds_read_b64 v[58:59], v1
.LBB26_221:
	s_and_saveexec_b64 s[8:9], s[0:1]
	s_cbranch_execz .LBB26_225
; %bb.222:
	v_add_u32_e32 v60, -4, v0
	s_movk_i32 s12, 0x100
	s_mov_b64 s[0:1], 0
.LBB26_223:                             ; =>This Inner Loop Header: Depth=1
	scratch_load_dwordx2 v[62:63], off, s11
	v_mov_b32_e32 v61, s12
	ds_read_b64 v[64:65], v61
	v_add_u32_e32 v60, -1, v60
	s_add_i32 s12, s12, 8
	s_add_i32 s11, s11, 8
	v_cmp_eq_u32_e32 vcc, 0, v60
	s_or_b64 s[0:1], vcc, s[0:1]
	s_waitcnt vmcnt(0) lgkmcnt(0)
	v_fmac_f64_e32 v[58:59], v[62:63], v[64:65]
	s_andn2_b64 exec, exec, s[0:1]
	s_cbranch_execnz .LBB26_223
; %bb.224:
	s_or_b64 exec, exec, s[0:1]
.LBB26_225:
	s_or_b64 exec, exec, s[8:9]
	v_mov_b32_e32 v60, 0
	ds_read_b64 v[60:61], v60 offset:24
	s_waitcnt lgkmcnt(0)
	v_mul_f64 v[58:59], v[58:59], v[60:61]
	scratch_store_dwordx2 off, v[58:59], off offset:24
.LBB26_226:
	s_or_b64 exec, exec, s[4:5]
	scratch_load_dwordx2 v[58:59], off, off offset:16
	v_cmp_lt_u32_e64 s[0:1], 2, v0
	s_waitcnt vmcnt(0)
	ds_write_b64 v1, v[58:59]
	s_waitcnt lgkmcnt(0)
	; wave barrier
	s_and_saveexec_b64 s[4:5], s[0:1]
	s_cbranch_execz .LBB26_236
; %bb.227:
	s_andn2_b64 vcc, exec, s[6:7]
	s_cbranch_vccnz .LBB26_229
; %bb.228:
	scratch_load_dwordx2 v[58:59], v17, off
	ds_read_b64 v[60:61], v1
	s_waitcnt vmcnt(0) lgkmcnt(0)
	v_mul_f64 v[58:59], v[58:59], v[60:61]
	s_cbranch_execz .LBB26_230
	s_branch .LBB26_231
.LBB26_229:
                                        ; implicit-def: $vgpr58_vgpr59
.LBB26_230:
	ds_read_b64 v[58:59], v1
.LBB26_231:
	s_and_saveexec_b64 s[8:9], s[2:3]
	s_cbranch_execz .LBB26_235
; %bb.232:
	s_mov_b32 s11, 24
	v_add_u32_e32 v60, -3, v0
	s_movk_i32 s12, 0xf8
	s_mov_b64 s[2:3], 0
.LBB26_233:                             ; =>This Inner Loop Header: Depth=1
	scratch_load_dwordx2 v[62:63], off, s11
	v_mov_b32_e32 v61, s12
	ds_read_b64 v[64:65], v61
	v_add_u32_e32 v60, -1, v60
	s_add_i32 s12, s12, 8
	s_add_i32 s11, s11, 8
	v_cmp_eq_u32_e32 vcc, 0, v60
	s_or_b64 s[2:3], vcc, s[2:3]
	s_waitcnt vmcnt(0) lgkmcnt(0)
	v_fmac_f64_e32 v[58:59], v[62:63], v[64:65]
	s_andn2_b64 exec, exec, s[2:3]
	s_cbranch_execnz .LBB26_233
; %bb.234:
	s_or_b64 exec, exec, s[2:3]
.LBB26_235:
	s_or_b64 exec, exec, s[8:9]
	v_mov_b32_e32 v60, 0
	ds_read_b64 v[60:61], v60 offset:16
	s_waitcnt lgkmcnt(0)
	v_mul_f64 v[58:59], v[58:59], v[60:61]
	scratch_store_dwordx2 off, v[58:59], off offset:16
.LBB26_236:
	s_or_b64 exec, exec, s[4:5]
	scratch_load_dwordx2 v[58:59], off, off offset:8
	v_cmp_lt_u32_e64 s[2:3], 1, v0
	s_waitcnt vmcnt(0)
	ds_write_b64 v1, v[58:59]
	s_waitcnt lgkmcnt(0)
	; wave barrier
	s_and_saveexec_b64 s[4:5], s[2:3]
	s_cbranch_execz .LBB26_246
; %bb.237:
	s_andn2_b64 vcc, exec, s[6:7]
	s_cbranch_vccnz .LBB26_239
; %bb.238:
	scratch_load_dwordx2 v[58:59], v17, off
	ds_read_b64 v[60:61], v1
	s_waitcnt vmcnt(0) lgkmcnt(0)
	v_mul_f64 v[58:59], v[58:59], v[60:61]
	s_cbranch_execz .LBB26_240
	s_branch .LBB26_241
.LBB26_239:
                                        ; implicit-def: $vgpr58_vgpr59
.LBB26_240:
	ds_read_b64 v[58:59], v1
.LBB26_241:
	s_and_saveexec_b64 s[8:9], s[0:1]
	s_cbranch_execz .LBB26_245
; %bb.242:
	v_add_u32_e32 v60, -2, v0
	s_movk_i32 s11, 0xf0
	s_mov_b64 s[0:1], 0
.LBB26_243:                             ; =>This Inner Loop Header: Depth=1
	scratch_load_dwordx2 v[62:63], off, s10
	v_mov_b32_e32 v61, s11
	ds_read_b64 v[64:65], v61
	v_add_u32_e32 v60, -1, v60
	s_add_i32 s11, s11, 8
	s_add_i32 s10, s10, 8
	v_cmp_eq_u32_e32 vcc, 0, v60
	s_or_b64 s[0:1], vcc, s[0:1]
	s_waitcnt vmcnt(0) lgkmcnt(0)
	v_fmac_f64_e32 v[58:59], v[62:63], v[64:65]
	s_andn2_b64 exec, exec, s[0:1]
	s_cbranch_execnz .LBB26_243
; %bb.244:
	s_or_b64 exec, exec, s[0:1]
.LBB26_245:
	s_or_b64 exec, exec, s[8:9]
	v_mov_b32_e32 v60, 0
	ds_read_b64 v[60:61], v60 offset:8
	s_waitcnt lgkmcnt(0)
	v_mul_f64 v[58:59], v[58:59], v[60:61]
	scratch_store_dwordx2 off, v[58:59], off offset:8
.LBB26_246:
	s_or_b64 exec, exec, s[4:5]
	scratch_load_dwordx2 v[58:59], off, off
	v_cmp_ne_u32_e32 vcc, 0, v0
	s_waitcnt vmcnt(0)
	ds_write_b64 v1, v[58:59]
	s_waitcnt lgkmcnt(0)
	; wave barrier
	s_and_saveexec_b64 s[0:1], vcc
	s_cbranch_execz .LBB26_256
; %bb.247:
	s_andn2_b64 vcc, exec, s[6:7]
	s_cbranch_vccnz .LBB26_249
; %bb.248:
	scratch_load_dwordx2 v[58:59], v17, off
	ds_read_b64 v[60:61], v1
	s_waitcnt vmcnt(0) lgkmcnt(0)
	v_mul_f64 v[58:59], v[58:59], v[60:61]
	s_cbranch_execz .LBB26_250
	s_branch .LBB26_251
.LBB26_249:
                                        ; implicit-def: $vgpr58_vgpr59
.LBB26_250:
	ds_read_b64 v[58:59], v1
.LBB26_251:
	s_and_saveexec_b64 s[4:5], s[2:3]
	s_cbranch_execz .LBB26_255
; %bb.252:
	s_or_b32 s8, 0, 8
	v_add_u32_e32 v60, -1, v0
	s_movk_i32 s9, 0xe8
	s_mov_b64 s[2:3], 0
.LBB26_253:                             ; =>This Inner Loop Header: Depth=1
	scratch_load_dwordx2 v[62:63], off, s8
	v_mov_b32_e32 v61, s9
	ds_read_b64 v[64:65], v61
	v_add_u32_e32 v60, -1, v60
	s_add_i32 s9, s9, 8
	s_add_i32 s8, s8, 8
	v_cmp_eq_u32_e32 vcc, 0, v60
	s_or_b64 s[2:3], vcc, s[2:3]
	s_waitcnt vmcnt(0) lgkmcnt(0)
	v_fmac_f64_e32 v[58:59], v[62:63], v[64:65]
	s_andn2_b64 exec, exec, s[2:3]
	s_cbranch_execnz .LBB26_253
; %bb.254:
	s_or_b64 exec, exec, s[2:3]
.LBB26_255:
	s_or_b64 exec, exec, s[4:5]
	v_mov_b32_e32 v60, 0
	ds_read_b64 v[60:61], v60
	s_waitcnt lgkmcnt(0)
	v_mul_f64 v[58:59], v[58:59], v[60:61]
	scratch_store_dwordx2 off, v[58:59], off
.LBB26_256:
	s_or_b64 exec, exec, s[0:1]
	s_mov_b64 s[0:1], 0
.LBB26_257:
	s_and_b64 vcc, exec, s[0:1]
	s_cbranch_vccz .LBB26_509
; %bb.258:
	scratch_load_dwordx2 v[58:59], off, off offset:8
	v_cmp_eq_u32_e64 s[2:3], 0, v0
	s_waitcnt vmcnt(0)
	ds_write_b64 v1, v[58:59]
	s_waitcnt lgkmcnt(0)
	; wave barrier
	s_and_saveexec_b64 s[0:1], s[2:3]
	s_cbranch_execz .LBB26_264
; %bb.259:
	s_and_b64 vcc, exec, s[6:7]
	s_cbranch_vccz .LBB26_261
; %bb.260:
	scratch_load_dwordx2 v[58:59], v17, off
	ds_read_b64 v[60:61], v1
	s_waitcnt vmcnt(0) lgkmcnt(0)
	v_mul_f64 v[58:59], v[58:59], v[60:61]
	s_cbranch_execz .LBB26_262
	s_branch .LBB26_263
.LBB26_261:
                                        ; implicit-def: $vgpr58_vgpr59
.LBB26_262:
	ds_read_b64 v[58:59], v1
.LBB26_263:
	v_mov_b32_e32 v60, 0
	ds_read_b64 v[60:61], v60 offset:8
	s_waitcnt lgkmcnt(0)
	v_mul_f64 v[58:59], v[58:59], v[60:61]
	scratch_store_dwordx2 off, v[58:59], off offset:8
.LBB26_264:
	s_or_b64 exec, exec, s[0:1]
	scratch_load_dwordx2 v[58:59], off, off offset:16
	v_cndmask_b32_e64 v60, 0, 1, s[6:7]
	v_cmp_gt_u32_e32 vcc, 2, v0
	v_cmp_ne_u32_e64 s[0:1], 1, v60
	s_waitcnt vmcnt(0)
	ds_write_b64 v1, v[58:59]
	s_waitcnt lgkmcnt(0)
	; wave barrier
	s_and_saveexec_b64 s[4:5], vcc
	s_cbranch_execz .LBB26_270
; %bb.265:
	s_and_b64 vcc, exec, s[0:1]
	s_cbranch_vccnz .LBB26_267
; %bb.266:
	scratch_load_dwordx2 v[58:59], v17, off
	ds_read_b64 v[60:61], v1
	s_waitcnt vmcnt(0) lgkmcnt(0)
	v_mul_f64 v[58:59], v[58:59], v[60:61]
	s_cbranch_execz .LBB26_268
	s_branch .LBB26_269
.LBB26_267:
                                        ; implicit-def: $vgpr58_vgpr59
.LBB26_268:
	ds_read_b64 v[58:59], v1
.LBB26_269:
	scratch_load_dwordx2 v[64:65], off, off offset:8
	v_mov_b32_e32 v60, 0
	ds_read2_b64 v[60:63], v60 offset0:2 offset1:29
	s_waitcnt vmcnt(0) lgkmcnt(0)
	v_fma_f64 v[62:63], v[64:65], v[62:63], v[58:59]
	v_cndmask_b32_e64 v59, v59, v63, s[2:3]
	v_cndmask_b32_e64 v58, v58, v62, s[2:3]
	v_mul_f64 v[58:59], v[58:59], v[60:61]
	scratch_store_dwordx2 off, v[58:59], off offset:16
.LBB26_270:
	s_or_b64 exec, exec, s[4:5]
	scratch_load_dwordx2 v[58:59], off, off offset:24
	v_cmp_gt_u32_e32 vcc, 3, v0
	s_waitcnt vmcnt(0)
	ds_write_b64 v1, v[58:59]
	s_waitcnt lgkmcnt(0)
	; wave barrier
	s_and_saveexec_b64 s[4:5], vcc
	s_cbranch_execz .LBB26_278
; %bb.271:
	s_and_b64 vcc, exec, s[0:1]
	s_cbranch_vccnz .LBB26_273
; %bb.272:
	scratch_load_dwordx2 v[58:59], v17, off
	ds_read_b64 v[60:61], v1
	s_waitcnt vmcnt(0) lgkmcnt(0)
	v_mul_f64 v[58:59], v[58:59], v[60:61]
	s_cbranch_execz .LBB26_274
	s_branch .LBB26_275
.LBB26_273:
                                        ; implicit-def: $vgpr58_vgpr59
.LBB26_274:
	ds_read_b64 v[58:59], v1
.LBB26_275:
	v_cmp_ne_u32_e32 vcc, 2, v0
	s_and_saveexec_b64 s[6:7], vcc
	s_cbranch_execz .LBB26_277
; %bb.276:
	scratch_load_dwordx2 v[60:61], v17, off offset:8
	scratch_load_dwordx2 v[62:63], off, off offset:16
	ds_read_b64 v[64:65], v1 offset:8
	v_mov_b32_e32 v66, 0
	ds_read_b64 v[66:67], v66 offset:240
	s_waitcnt vmcnt(1) lgkmcnt(1)
	v_fmac_f64_e32 v[58:59], v[60:61], v[64:65]
	s_waitcnt vmcnt(0) lgkmcnt(0)
	v_fma_f64 v[60:61], v[62:63], v[66:67], v[58:59]
	v_cndmask_b32_e64 v59, v59, v61, s[2:3]
	v_cndmask_b32_e64 v58, v58, v60, s[2:3]
.LBB26_277:
	s_or_b64 exec, exec, s[6:7]
	v_mov_b32_e32 v60, 0
	ds_read_b64 v[60:61], v60 offset:24
	s_waitcnt lgkmcnt(0)
	v_mul_f64 v[58:59], v[58:59], v[60:61]
	scratch_store_dwordx2 off, v[58:59], off offset:24
.LBB26_278:
	s_or_b64 exec, exec, s[4:5]
	scratch_load_dwordx2 v[58:59], off, off offset:32
	v_cmp_gt_u32_e32 vcc, 4, v0
	s_waitcnt vmcnt(0)
	ds_write_b64 v1, v[58:59]
	s_waitcnt lgkmcnt(0)
	; wave barrier
	s_and_saveexec_b64 s[2:3], vcc
	s_cbranch_execz .LBB26_288
; %bb.279:
	s_and_b64 vcc, exec, s[0:1]
	s_cbranch_vccnz .LBB26_281
; %bb.280:
	scratch_load_dwordx2 v[58:59], v17, off
	ds_read_b64 v[60:61], v1
	s_waitcnt vmcnt(0) lgkmcnt(0)
	v_mul_f64 v[58:59], v[58:59], v[60:61]
	s_cbranch_execz .LBB26_282
	s_branch .LBB26_283
.LBB26_281:
                                        ; implicit-def: $vgpr58_vgpr59
.LBB26_282:
	ds_read_b64 v[58:59], v1
.LBB26_283:
	v_cmp_ne_u32_e32 vcc, 3, v0
	s_and_saveexec_b64 s[4:5], vcc
	s_cbranch_execz .LBB26_287
; %bb.284:
	s_mov_b32 s6, 0
	v_add_u32_e32 v60, 0xe8, v16
	v_add3_u32 v61, v16, s6, 8
	s_mov_b64 s[6:7], 0
	v_mov_b32_e32 v62, v0
.LBB26_285:                             ; =>This Inner Loop Header: Depth=1
	scratch_load_dwordx2 v[64:65], v61, off
	ds_read_b64 v[66:67], v60
	v_add_u32_e32 v62, 1, v62
	v_cmp_lt_u32_e32 vcc, 2, v62
	v_add_u32_e32 v60, 8, v60
	v_add_u32_e32 v61, 8, v61
	s_or_b64 s[6:7], vcc, s[6:7]
	s_waitcnt vmcnt(0) lgkmcnt(0)
	v_fmac_f64_e32 v[58:59], v[64:65], v[66:67]
	s_andn2_b64 exec, exec, s[6:7]
	s_cbranch_execnz .LBB26_285
; %bb.286:
	s_or_b64 exec, exec, s[6:7]
.LBB26_287:
	s_or_b64 exec, exec, s[4:5]
	v_mov_b32_e32 v60, 0
	ds_read_b64 v[60:61], v60 offset:32
	s_waitcnt lgkmcnt(0)
	v_mul_f64 v[58:59], v[58:59], v[60:61]
	scratch_store_dwordx2 off, v[58:59], off offset:32
.LBB26_288:
	s_or_b64 exec, exec, s[2:3]
	scratch_load_dwordx2 v[58:59], off, off offset:40
	v_cmp_gt_u32_e32 vcc, 5, v0
	s_waitcnt vmcnt(0)
	ds_write_b64 v1, v[58:59]
	s_waitcnt lgkmcnt(0)
	; wave barrier
	s_and_saveexec_b64 s[2:3], vcc
	s_cbranch_execz .LBB26_298
; %bb.289:
	s_and_b64 vcc, exec, s[0:1]
	s_cbranch_vccnz .LBB26_291
; %bb.290:
	scratch_load_dwordx2 v[58:59], v17, off
	ds_read_b64 v[60:61], v1
	s_waitcnt vmcnt(0) lgkmcnt(0)
	v_mul_f64 v[58:59], v[58:59], v[60:61]
	s_cbranch_execz .LBB26_292
	s_branch .LBB26_293
.LBB26_291:
                                        ; implicit-def: $vgpr58_vgpr59
.LBB26_292:
	ds_read_b64 v[58:59], v1
.LBB26_293:
	v_cmp_ne_u32_e32 vcc, 4, v0
	s_and_saveexec_b64 s[4:5], vcc
	s_cbranch_execz .LBB26_297
; %bb.294:
	s_mov_b32 s6, 0
	v_add_u32_e32 v60, 0xe8, v16
	v_add3_u32 v61, v16, s6, 8
	s_mov_b64 s[6:7], 0
	v_mov_b32_e32 v62, v0
.LBB26_295:                             ; =>This Inner Loop Header: Depth=1
	scratch_load_dwordx2 v[64:65], v61, off
	ds_read_b64 v[66:67], v60
	v_add_u32_e32 v62, 1, v62
	v_cmp_lt_u32_e32 vcc, 3, v62
	v_add_u32_e32 v60, 8, v60
	v_add_u32_e32 v61, 8, v61
	s_or_b64 s[6:7], vcc, s[6:7]
	s_waitcnt vmcnt(0) lgkmcnt(0)
	v_fmac_f64_e32 v[58:59], v[64:65], v[66:67]
	s_andn2_b64 exec, exec, s[6:7]
	s_cbranch_execnz .LBB26_295
; %bb.296:
	s_or_b64 exec, exec, s[6:7]
.LBB26_297:
	s_or_b64 exec, exec, s[4:5]
	v_mov_b32_e32 v60, 0
	ds_read_b64 v[60:61], v60 offset:40
	s_waitcnt lgkmcnt(0)
	v_mul_f64 v[58:59], v[58:59], v[60:61]
	scratch_store_dwordx2 off, v[58:59], off offset:40
.LBB26_298:
	s_or_b64 exec, exec, s[2:3]
	scratch_load_dwordx2 v[58:59], off, off offset:48
	v_cmp_gt_u32_e32 vcc, 6, v0
	s_waitcnt vmcnt(0)
	ds_write_b64 v1, v[58:59]
	s_waitcnt lgkmcnt(0)
	; wave barrier
	s_and_saveexec_b64 s[2:3], vcc
	s_cbranch_execz .LBB26_308
; %bb.299:
	s_and_b64 vcc, exec, s[0:1]
	s_cbranch_vccnz .LBB26_301
; %bb.300:
	scratch_load_dwordx2 v[58:59], v17, off
	ds_read_b64 v[60:61], v1
	s_waitcnt vmcnt(0) lgkmcnt(0)
	v_mul_f64 v[58:59], v[58:59], v[60:61]
	s_cbranch_execz .LBB26_302
	s_branch .LBB26_303
.LBB26_301:
                                        ; implicit-def: $vgpr58_vgpr59
.LBB26_302:
	ds_read_b64 v[58:59], v1
.LBB26_303:
	v_cmp_ne_u32_e32 vcc, 5, v0
	s_and_saveexec_b64 s[4:5], vcc
	s_cbranch_execz .LBB26_307
; %bb.304:
	s_mov_b32 s6, 0
	v_add_u32_e32 v60, 0xe8, v16
	v_add3_u32 v61, v16, s6, 8
	s_mov_b64 s[6:7], 0
	v_mov_b32_e32 v62, v0
.LBB26_305:                             ; =>This Inner Loop Header: Depth=1
	scratch_load_dwordx2 v[64:65], v61, off
	ds_read_b64 v[66:67], v60
	v_add_u32_e32 v62, 1, v62
	v_cmp_lt_u32_e32 vcc, 4, v62
	v_add_u32_e32 v60, 8, v60
	v_add_u32_e32 v61, 8, v61
	s_or_b64 s[6:7], vcc, s[6:7]
	s_waitcnt vmcnt(0) lgkmcnt(0)
	v_fmac_f64_e32 v[58:59], v[64:65], v[66:67]
	s_andn2_b64 exec, exec, s[6:7]
	s_cbranch_execnz .LBB26_305
; %bb.306:
	s_or_b64 exec, exec, s[6:7]
.LBB26_307:
	s_or_b64 exec, exec, s[4:5]
	v_mov_b32_e32 v60, 0
	ds_read_b64 v[60:61], v60 offset:48
	s_waitcnt lgkmcnt(0)
	v_mul_f64 v[58:59], v[58:59], v[60:61]
	scratch_store_dwordx2 off, v[58:59], off offset:48
.LBB26_308:
	s_or_b64 exec, exec, s[2:3]
	scratch_load_dwordx2 v[58:59], off, off offset:56
	v_cmp_gt_u32_e32 vcc, 7, v0
	s_waitcnt vmcnt(0)
	ds_write_b64 v1, v[58:59]
	s_waitcnt lgkmcnt(0)
	; wave barrier
	s_and_saveexec_b64 s[2:3], vcc
	s_cbranch_execz .LBB26_318
; %bb.309:
	s_and_b64 vcc, exec, s[0:1]
	s_cbranch_vccnz .LBB26_311
; %bb.310:
	scratch_load_dwordx2 v[58:59], v17, off
	ds_read_b64 v[60:61], v1
	s_waitcnt vmcnt(0) lgkmcnt(0)
	v_mul_f64 v[58:59], v[58:59], v[60:61]
	s_cbranch_execz .LBB26_312
	s_branch .LBB26_313
.LBB26_311:
                                        ; implicit-def: $vgpr58_vgpr59
.LBB26_312:
	ds_read_b64 v[58:59], v1
.LBB26_313:
	v_cmp_ne_u32_e32 vcc, 6, v0
	s_and_saveexec_b64 s[4:5], vcc
	s_cbranch_execz .LBB26_317
; %bb.314:
	s_mov_b32 s6, 0
	v_add_u32_e32 v60, 0xe8, v16
	v_add3_u32 v61, v16, s6, 8
	s_mov_b64 s[6:7], 0
	v_mov_b32_e32 v62, v0
.LBB26_315:                             ; =>This Inner Loop Header: Depth=1
	scratch_load_dwordx2 v[64:65], v61, off
	ds_read_b64 v[66:67], v60
	v_add_u32_e32 v62, 1, v62
	v_cmp_lt_u32_e32 vcc, 5, v62
	v_add_u32_e32 v60, 8, v60
	v_add_u32_e32 v61, 8, v61
	s_or_b64 s[6:7], vcc, s[6:7]
	s_waitcnt vmcnt(0) lgkmcnt(0)
	v_fmac_f64_e32 v[58:59], v[64:65], v[66:67]
	s_andn2_b64 exec, exec, s[6:7]
	s_cbranch_execnz .LBB26_315
; %bb.316:
	s_or_b64 exec, exec, s[6:7]
.LBB26_317:
	s_or_b64 exec, exec, s[4:5]
	v_mov_b32_e32 v60, 0
	ds_read_b64 v[60:61], v60 offset:56
	s_waitcnt lgkmcnt(0)
	v_mul_f64 v[58:59], v[58:59], v[60:61]
	scratch_store_dwordx2 off, v[58:59], off offset:56
.LBB26_318:
	s_or_b64 exec, exec, s[2:3]
	scratch_load_dwordx2 v[58:59], off, off offset:64
	v_cmp_gt_u32_e32 vcc, 8, v0
	s_waitcnt vmcnt(0)
	ds_write_b64 v1, v[58:59]
	s_waitcnt lgkmcnt(0)
	; wave barrier
	s_and_saveexec_b64 s[2:3], vcc
	s_cbranch_execz .LBB26_328
; %bb.319:
	s_and_b64 vcc, exec, s[0:1]
	s_cbranch_vccnz .LBB26_321
; %bb.320:
	scratch_load_dwordx2 v[58:59], v17, off
	ds_read_b64 v[60:61], v1
	s_waitcnt vmcnt(0) lgkmcnt(0)
	v_mul_f64 v[58:59], v[58:59], v[60:61]
	s_cbranch_execz .LBB26_322
	s_branch .LBB26_323
.LBB26_321:
                                        ; implicit-def: $vgpr58_vgpr59
.LBB26_322:
	ds_read_b64 v[58:59], v1
.LBB26_323:
	v_cmp_ne_u32_e32 vcc, 7, v0
	s_and_saveexec_b64 s[4:5], vcc
	s_cbranch_execz .LBB26_327
; %bb.324:
	s_mov_b32 s6, 0
	v_add_u32_e32 v60, 0xe8, v16
	v_add3_u32 v61, v16, s6, 8
	s_mov_b64 s[6:7], 0
	v_mov_b32_e32 v62, v0
.LBB26_325:                             ; =>This Inner Loop Header: Depth=1
	scratch_load_dwordx2 v[64:65], v61, off
	ds_read_b64 v[66:67], v60
	v_add_u32_e32 v62, 1, v62
	v_cmp_lt_u32_e32 vcc, 6, v62
	v_add_u32_e32 v60, 8, v60
	v_add_u32_e32 v61, 8, v61
	s_or_b64 s[6:7], vcc, s[6:7]
	s_waitcnt vmcnt(0) lgkmcnt(0)
	v_fmac_f64_e32 v[58:59], v[64:65], v[66:67]
	s_andn2_b64 exec, exec, s[6:7]
	s_cbranch_execnz .LBB26_325
; %bb.326:
	s_or_b64 exec, exec, s[6:7]
.LBB26_327:
	s_or_b64 exec, exec, s[4:5]
	v_mov_b32_e32 v60, 0
	ds_read_b64 v[60:61], v60 offset:64
	s_waitcnt lgkmcnt(0)
	v_mul_f64 v[58:59], v[58:59], v[60:61]
	scratch_store_dwordx2 off, v[58:59], off offset:64
.LBB26_328:
	s_or_b64 exec, exec, s[2:3]
	scratch_load_dwordx2 v[58:59], off, off offset:72
	v_cmp_gt_u32_e32 vcc, 9, v0
	s_waitcnt vmcnt(0)
	ds_write_b64 v1, v[58:59]
	s_waitcnt lgkmcnt(0)
	; wave barrier
	s_and_saveexec_b64 s[2:3], vcc
	s_cbranch_execz .LBB26_338
; %bb.329:
	s_and_b64 vcc, exec, s[0:1]
	s_cbranch_vccnz .LBB26_331
; %bb.330:
	scratch_load_dwordx2 v[58:59], v17, off
	ds_read_b64 v[60:61], v1
	s_waitcnt vmcnt(0) lgkmcnt(0)
	v_mul_f64 v[58:59], v[58:59], v[60:61]
	s_cbranch_execz .LBB26_332
	s_branch .LBB26_333
.LBB26_331:
                                        ; implicit-def: $vgpr58_vgpr59
.LBB26_332:
	ds_read_b64 v[58:59], v1
.LBB26_333:
	v_cmp_ne_u32_e32 vcc, 8, v0
	s_and_saveexec_b64 s[4:5], vcc
	s_cbranch_execz .LBB26_337
; %bb.334:
	s_mov_b32 s6, 0
	v_add_u32_e32 v60, 0xe8, v16
	v_add3_u32 v61, v16, s6, 8
	s_mov_b64 s[6:7], 0
	v_mov_b32_e32 v62, v0
.LBB26_335:                             ; =>This Inner Loop Header: Depth=1
	scratch_load_dwordx2 v[64:65], v61, off
	ds_read_b64 v[66:67], v60
	v_add_u32_e32 v62, 1, v62
	v_cmp_lt_u32_e32 vcc, 7, v62
	v_add_u32_e32 v60, 8, v60
	v_add_u32_e32 v61, 8, v61
	s_or_b64 s[6:7], vcc, s[6:7]
	s_waitcnt vmcnt(0) lgkmcnt(0)
	v_fmac_f64_e32 v[58:59], v[64:65], v[66:67]
	s_andn2_b64 exec, exec, s[6:7]
	s_cbranch_execnz .LBB26_335
; %bb.336:
	s_or_b64 exec, exec, s[6:7]
.LBB26_337:
	s_or_b64 exec, exec, s[4:5]
	v_mov_b32_e32 v60, 0
	ds_read_b64 v[60:61], v60 offset:72
	s_waitcnt lgkmcnt(0)
	v_mul_f64 v[58:59], v[58:59], v[60:61]
	scratch_store_dwordx2 off, v[58:59], off offset:72
.LBB26_338:
	s_or_b64 exec, exec, s[2:3]
	scratch_load_dwordx2 v[58:59], off, off offset:80
	v_cmp_gt_u32_e32 vcc, 10, v0
	s_waitcnt vmcnt(0)
	ds_write_b64 v1, v[58:59]
	s_waitcnt lgkmcnt(0)
	; wave barrier
	s_and_saveexec_b64 s[2:3], vcc
	s_cbranch_execz .LBB26_348
; %bb.339:
	s_and_b64 vcc, exec, s[0:1]
	s_cbranch_vccnz .LBB26_341
; %bb.340:
	scratch_load_dwordx2 v[58:59], v17, off
	ds_read_b64 v[60:61], v1
	s_waitcnt vmcnt(0) lgkmcnt(0)
	v_mul_f64 v[58:59], v[58:59], v[60:61]
	s_cbranch_execz .LBB26_342
	s_branch .LBB26_343
.LBB26_341:
                                        ; implicit-def: $vgpr58_vgpr59
.LBB26_342:
	ds_read_b64 v[58:59], v1
.LBB26_343:
	v_cmp_ne_u32_e32 vcc, 9, v0
	s_and_saveexec_b64 s[4:5], vcc
	s_cbranch_execz .LBB26_347
; %bb.344:
	s_mov_b32 s6, 0
	v_add_u32_e32 v60, 0xe8, v16
	v_add3_u32 v61, v16, s6, 8
	s_mov_b64 s[6:7], 0
	v_mov_b32_e32 v62, v0
.LBB26_345:                             ; =>This Inner Loop Header: Depth=1
	scratch_load_dwordx2 v[64:65], v61, off
	ds_read_b64 v[66:67], v60
	v_add_u32_e32 v62, 1, v62
	v_cmp_lt_u32_e32 vcc, 8, v62
	v_add_u32_e32 v60, 8, v60
	v_add_u32_e32 v61, 8, v61
	s_or_b64 s[6:7], vcc, s[6:7]
	s_waitcnt vmcnt(0) lgkmcnt(0)
	v_fmac_f64_e32 v[58:59], v[64:65], v[66:67]
	s_andn2_b64 exec, exec, s[6:7]
	s_cbranch_execnz .LBB26_345
; %bb.346:
	s_or_b64 exec, exec, s[6:7]
.LBB26_347:
	s_or_b64 exec, exec, s[4:5]
	v_mov_b32_e32 v60, 0
	ds_read_b64 v[60:61], v60 offset:80
	s_waitcnt lgkmcnt(0)
	v_mul_f64 v[58:59], v[58:59], v[60:61]
	scratch_store_dwordx2 off, v[58:59], off offset:80
.LBB26_348:
	s_or_b64 exec, exec, s[2:3]
	scratch_load_dwordx2 v[58:59], off, off offset:88
	v_cmp_gt_u32_e32 vcc, 11, v0
	s_waitcnt vmcnt(0)
	ds_write_b64 v1, v[58:59]
	s_waitcnt lgkmcnt(0)
	; wave barrier
	s_and_saveexec_b64 s[2:3], vcc
	s_cbranch_execz .LBB26_358
; %bb.349:
	s_and_b64 vcc, exec, s[0:1]
	s_cbranch_vccnz .LBB26_351
; %bb.350:
	scratch_load_dwordx2 v[58:59], v17, off
	ds_read_b64 v[60:61], v1
	s_waitcnt vmcnt(0) lgkmcnt(0)
	v_mul_f64 v[58:59], v[58:59], v[60:61]
	s_cbranch_execz .LBB26_352
	s_branch .LBB26_353
.LBB26_351:
                                        ; implicit-def: $vgpr58_vgpr59
.LBB26_352:
	ds_read_b64 v[58:59], v1
.LBB26_353:
	v_cmp_ne_u32_e32 vcc, 10, v0
	s_and_saveexec_b64 s[4:5], vcc
	s_cbranch_execz .LBB26_357
; %bb.354:
	s_mov_b32 s6, 0
	v_add_u32_e32 v60, 0xe8, v16
	v_add3_u32 v61, v16, s6, 8
	s_mov_b64 s[6:7], 0
	v_mov_b32_e32 v62, v0
.LBB26_355:                             ; =>This Inner Loop Header: Depth=1
	scratch_load_dwordx2 v[64:65], v61, off
	ds_read_b64 v[66:67], v60
	v_add_u32_e32 v62, 1, v62
	v_cmp_lt_u32_e32 vcc, 9, v62
	v_add_u32_e32 v60, 8, v60
	v_add_u32_e32 v61, 8, v61
	s_or_b64 s[6:7], vcc, s[6:7]
	s_waitcnt vmcnt(0) lgkmcnt(0)
	v_fmac_f64_e32 v[58:59], v[64:65], v[66:67]
	s_andn2_b64 exec, exec, s[6:7]
	s_cbranch_execnz .LBB26_355
; %bb.356:
	s_or_b64 exec, exec, s[6:7]
.LBB26_357:
	s_or_b64 exec, exec, s[4:5]
	v_mov_b32_e32 v60, 0
	ds_read_b64 v[60:61], v60 offset:88
	s_waitcnt lgkmcnt(0)
	v_mul_f64 v[58:59], v[58:59], v[60:61]
	scratch_store_dwordx2 off, v[58:59], off offset:88
.LBB26_358:
	s_or_b64 exec, exec, s[2:3]
	scratch_load_dwordx2 v[58:59], off, off offset:96
	v_cmp_gt_u32_e32 vcc, 12, v0
	s_waitcnt vmcnt(0)
	ds_write_b64 v1, v[58:59]
	s_waitcnt lgkmcnt(0)
	; wave barrier
	s_and_saveexec_b64 s[2:3], vcc
	s_cbranch_execz .LBB26_368
; %bb.359:
	s_and_b64 vcc, exec, s[0:1]
	s_cbranch_vccnz .LBB26_361
; %bb.360:
	scratch_load_dwordx2 v[58:59], v17, off
	ds_read_b64 v[60:61], v1
	s_waitcnt vmcnt(0) lgkmcnt(0)
	v_mul_f64 v[58:59], v[58:59], v[60:61]
	s_cbranch_execz .LBB26_362
	s_branch .LBB26_363
.LBB26_361:
                                        ; implicit-def: $vgpr58_vgpr59
.LBB26_362:
	ds_read_b64 v[58:59], v1
.LBB26_363:
	v_cmp_ne_u32_e32 vcc, 11, v0
	s_and_saveexec_b64 s[4:5], vcc
	s_cbranch_execz .LBB26_367
; %bb.364:
	s_mov_b32 s6, 0
	v_add_u32_e32 v60, 0xe8, v16
	v_add3_u32 v61, v16, s6, 8
	s_mov_b64 s[6:7], 0
	v_mov_b32_e32 v62, v0
.LBB26_365:                             ; =>This Inner Loop Header: Depth=1
	scratch_load_dwordx2 v[64:65], v61, off
	ds_read_b64 v[66:67], v60
	v_add_u32_e32 v62, 1, v62
	v_cmp_lt_u32_e32 vcc, 10, v62
	v_add_u32_e32 v60, 8, v60
	v_add_u32_e32 v61, 8, v61
	s_or_b64 s[6:7], vcc, s[6:7]
	s_waitcnt vmcnt(0) lgkmcnt(0)
	v_fmac_f64_e32 v[58:59], v[64:65], v[66:67]
	s_andn2_b64 exec, exec, s[6:7]
	s_cbranch_execnz .LBB26_365
; %bb.366:
	s_or_b64 exec, exec, s[6:7]
.LBB26_367:
	s_or_b64 exec, exec, s[4:5]
	v_mov_b32_e32 v60, 0
	ds_read_b64 v[60:61], v60 offset:96
	s_waitcnt lgkmcnt(0)
	v_mul_f64 v[58:59], v[58:59], v[60:61]
	scratch_store_dwordx2 off, v[58:59], off offset:96
.LBB26_368:
	s_or_b64 exec, exec, s[2:3]
	scratch_load_dwordx2 v[58:59], off, off offset:104
	v_cmp_gt_u32_e32 vcc, 13, v0
	s_waitcnt vmcnt(0)
	ds_write_b64 v1, v[58:59]
	s_waitcnt lgkmcnt(0)
	; wave barrier
	s_and_saveexec_b64 s[2:3], vcc
	s_cbranch_execz .LBB26_378
; %bb.369:
	s_and_b64 vcc, exec, s[0:1]
	s_cbranch_vccnz .LBB26_371
; %bb.370:
	scratch_load_dwordx2 v[58:59], v17, off
	ds_read_b64 v[60:61], v1
	s_waitcnt vmcnt(0) lgkmcnt(0)
	v_mul_f64 v[58:59], v[58:59], v[60:61]
	s_cbranch_execz .LBB26_372
	s_branch .LBB26_373
.LBB26_371:
                                        ; implicit-def: $vgpr58_vgpr59
.LBB26_372:
	ds_read_b64 v[58:59], v1
.LBB26_373:
	v_cmp_ne_u32_e32 vcc, 12, v0
	s_and_saveexec_b64 s[4:5], vcc
	s_cbranch_execz .LBB26_377
; %bb.374:
	s_mov_b32 s6, 0
	v_add_u32_e32 v60, 0xe8, v16
	v_add3_u32 v61, v16, s6, 8
	s_mov_b64 s[6:7], 0
	v_mov_b32_e32 v62, v0
.LBB26_375:                             ; =>This Inner Loop Header: Depth=1
	scratch_load_dwordx2 v[64:65], v61, off
	ds_read_b64 v[66:67], v60
	v_add_u32_e32 v62, 1, v62
	v_cmp_lt_u32_e32 vcc, 11, v62
	v_add_u32_e32 v60, 8, v60
	v_add_u32_e32 v61, 8, v61
	s_or_b64 s[6:7], vcc, s[6:7]
	s_waitcnt vmcnt(0) lgkmcnt(0)
	v_fmac_f64_e32 v[58:59], v[64:65], v[66:67]
	s_andn2_b64 exec, exec, s[6:7]
	s_cbranch_execnz .LBB26_375
; %bb.376:
	s_or_b64 exec, exec, s[6:7]
.LBB26_377:
	s_or_b64 exec, exec, s[4:5]
	v_mov_b32_e32 v60, 0
	ds_read_b64 v[60:61], v60 offset:104
	s_waitcnt lgkmcnt(0)
	v_mul_f64 v[58:59], v[58:59], v[60:61]
	scratch_store_dwordx2 off, v[58:59], off offset:104
.LBB26_378:
	s_or_b64 exec, exec, s[2:3]
	scratch_load_dwordx2 v[58:59], off, off offset:112
	v_cmp_gt_u32_e32 vcc, 14, v0
	s_waitcnt vmcnt(0)
	ds_write_b64 v1, v[58:59]
	s_waitcnt lgkmcnt(0)
	; wave barrier
	s_and_saveexec_b64 s[2:3], vcc
	s_cbranch_execz .LBB26_388
; %bb.379:
	s_and_b64 vcc, exec, s[0:1]
	s_cbranch_vccnz .LBB26_381
; %bb.380:
	scratch_load_dwordx2 v[58:59], v17, off
	ds_read_b64 v[60:61], v1
	s_waitcnt vmcnt(0) lgkmcnt(0)
	v_mul_f64 v[58:59], v[58:59], v[60:61]
	s_cbranch_execz .LBB26_382
	s_branch .LBB26_383
.LBB26_381:
                                        ; implicit-def: $vgpr58_vgpr59
.LBB26_382:
	ds_read_b64 v[58:59], v1
.LBB26_383:
	v_cmp_ne_u32_e32 vcc, 13, v0
	s_and_saveexec_b64 s[4:5], vcc
	s_cbranch_execz .LBB26_387
; %bb.384:
	s_mov_b32 s6, 0
	v_add_u32_e32 v60, 0xe8, v16
	v_add3_u32 v61, v16, s6, 8
	s_mov_b64 s[6:7], 0
	v_mov_b32_e32 v62, v0
.LBB26_385:                             ; =>This Inner Loop Header: Depth=1
	scratch_load_dwordx2 v[64:65], v61, off
	ds_read_b64 v[66:67], v60
	v_add_u32_e32 v62, 1, v62
	v_cmp_lt_u32_e32 vcc, 12, v62
	v_add_u32_e32 v60, 8, v60
	v_add_u32_e32 v61, 8, v61
	s_or_b64 s[6:7], vcc, s[6:7]
	s_waitcnt vmcnt(0) lgkmcnt(0)
	v_fmac_f64_e32 v[58:59], v[64:65], v[66:67]
	s_andn2_b64 exec, exec, s[6:7]
	s_cbranch_execnz .LBB26_385
; %bb.386:
	s_or_b64 exec, exec, s[6:7]
.LBB26_387:
	s_or_b64 exec, exec, s[4:5]
	v_mov_b32_e32 v60, 0
	ds_read_b64 v[60:61], v60 offset:112
	s_waitcnt lgkmcnt(0)
	v_mul_f64 v[58:59], v[58:59], v[60:61]
	scratch_store_dwordx2 off, v[58:59], off offset:112
.LBB26_388:
	s_or_b64 exec, exec, s[2:3]
	scratch_load_dwordx2 v[58:59], off, off offset:120
	v_cmp_gt_u32_e32 vcc, 15, v0
	s_waitcnt vmcnt(0)
	ds_write_b64 v1, v[58:59]
	s_waitcnt lgkmcnt(0)
	; wave barrier
	s_and_saveexec_b64 s[2:3], vcc
	s_cbranch_execz .LBB26_398
; %bb.389:
	s_and_b64 vcc, exec, s[0:1]
	s_cbranch_vccnz .LBB26_391
; %bb.390:
	scratch_load_dwordx2 v[58:59], v17, off
	ds_read_b64 v[60:61], v1
	s_waitcnt vmcnt(0) lgkmcnt(0)
	v_mul_f64 v[58:59], v[58:59], v[60:61]
	s_cbranch_execz .LBB26_392
	s_branch .LBB26_393
.LBB26_391:
                                        ; implicit-def: $vgpr58_vgpr59
.LBB26_392:
	ds_read_b64 v[58:59], v1
.LBB26_393:
	v_cmp_ne_u32_e32 vcc, 14, v0
	s_and_saveexec_b64 s[4:5], vcc
	s_cbranch_execz .LBB26_397
; %bb.394:
	s_mov_b32 s6, 0
	v_add_u32_e32 v60, 0xe8, v16
	v_add3_u32 v61, v16, s6, 8
	s_mov_b64 s[6:7], 0
	v_mov_b32_e32 v62, v0
.LBB26_395:                             ; =>This Inner Loop Header: Depth=1
	scratch_load_dwordx2 v[64:65], v61, off
	ds_read_b64 v[66:67], v60
	v_add_u32_e32 v62, 1, v62
	v_cmp_lt_u32_e32 vcc, 13, v62
	v_add_u32_e32 v60, 8, v60
	v_add_u32_e32 v61, 8, v61
	s_or_b64 s[6:7], vcc, s[6:7]
	s_waitcnt vmcnt(0) lgkmcnt(0)
	v_fmac_f64_e32 v[58:59], v[64:65], v[66:67]
	s_andn2_b64 exec, exec, s[6:7]
	s_cbranch_execnz .LBB26_395
; %bb.396:
	s_or_b64 exec, exec, s[6:7]
.LBB26_397:
	s_or_b64 exec, exec, s[4:5]
	v_mov_b32_e32 v60, 0
	ds_read_b64 v[60:61], v60 offset:120
	s_waitcnt lgkmcnt(0)
	v_mul_f64 v[58:59], v[58:59], v[60:61]
	scratch_store_dwordx2 off, v[58:59], off offset:120
.LBB26_398:
	s_or_b64 exec, exec, s[2:3]
	scratch_load_dwordx2 v[58:59], off, off offset:128
	v_cmp_gt_u32_e32 vcc, 16, v0
	s_waitcnt vmcnt(0)
	ds_write_b64 v1, v[58:59]
	s_waitcnt lgkmcnt(0)
	; wave barrier
	s_and_saveexec_b64 s[2:3], vcc
	s_cbranch_execz .LBB26_408
; %bb.399:
	s_and_b64 vcc, exec, s[0:1]
	s_cbranch_vccnz .LBB26_401
; %bb.400:
	scratch_load_dwordx2 v[58:59], v17, off
	ds_read_b64 v[60:61], v1
	s_waitcnt vmcnt(0) lgkmcnt(0)
	v_mul_f64 v[58:59], v[58:59], v[60:61]
	s_cbranch_execz .LBB26_402
	s_branch .LBB26_403
.LBB26_401:
                                        ; implicit-def: $vgpr58_vgpr59
.LBB26_402:
	ds_read_b64 v[58:59], v1
.LBB26_403:
	v_cmp_ne_u32_e32 vcc, 15, v0
	s_and_saveexec_b64 s[4:5], vcc
	s_cbranch_execz .LBB26_407
; %bb.404:
	s_mov_b32 s6, 0
	v_add_u32_e32 v60, 0xe8, v16
	v_add3_u32 v61, v16, s6, 8
	s_mov_b64 s[6:7], 0
	v_mov_b32_e32 v62, v0
.LBB26_405:                             ; =>This Inner Loop Header: Depth=1
	scratch_load_dwordx2 v[64:65], v61, off
	ds_read_b64 v[66:67], v60
	v_add_u32_e32 v62, 1, v62
	v_cmp_lt_u32_e32 vcc, 14, v62
	v_add_u32_e32 v60, 8, v60
	v_add_u32_e32 v61, 8, v61
	s_or_b64 s[6:7], vcc, s[6:7]
	s_waitcnt vmcnt(0) lgkmcnt(0)
	v_fmac_f64_e32 v[58:59], v[64:65], v[66:67]
	s_andn2_b64 exec, exec, s[6:7]
	s_cbranch_execnz .LBB26_405
; %bb.406:
	s_or_b64 exec, exec, s[6:7]
.LBB26_407:
	s_or_b64 exec, exec, s[4:5]
	v_mov_b32_e32 v60, 0
	ds_read_b64 v[60:61], v60 offset:128
	s_waitcnt lgkmcnt(0)
	v_mul_f64 v[58:59], v[58:59], v[60:61]
	scratch_store_dwordx2 off, v[58:59], off offset:128
.LBB26_408:
	s_or_b64 exec, exec, s[2:3]
	scratch_load_dwordx2 v[58:59], off, off offset:136
	v_cmp_gt_u32_e32 vcc, 17, v0
	s_waitcnt vmcnt(0)
	ds_write_b64 v1, v[58:59]
	s_waitcnt lgkmcnt(0)
	; wave barrier
	s_and_saveexec_b64 s[2:3], vcc
	s_cbranch_execz .LBB26_418
; %bb.409:
	s_and_b64 vcc, exec, s[0:1]
	s_cbranch_vccnz .LBB26_411
; %bb.410:
	scratch_load_dwordx2 v[58:59], v17, off
	ds_read_b64 v[60:61], v1
	s_waitcnt vmcnt(0) lgkmcnt(0)
	v_mul_f64 v[58:59], v[58:59], v[60:61]
	s_cbranch_execz .LBB26_412
	s_branch .LBB26_413
.LBB26_411:
                                        ; implicit-def: $vgpr58_vgpr59
.LBB26_412:
	ds_read_b64 v[58:59], v1
.LBB26_413:
	v_cmp_ne_u32_e32 vcc, 16, v0
	s_and_saveexec_b64 s[4:5], vcc
	s_cbranch_execz .LBB26_417
; %bb.414:
	s_mov_b32 s6, 0
	v_add_u32_e32 v60, 0xe8, v16
	v_add3_u32 v61, v16, s6, 8
	s_mov_b64 s[6:7], 0
	v_mov_b32_e32 v62, v0
.LBB26_415:                             ; =>This Inner Loop Header: Depth=1
	scratch_load_dwordx2 v[64:65], v61, off
	ds_read_b64 v[66:67], v60
	v_add_u32_e32 v62, 1, v62
	v_cmp_lt_u32_e32 vcc, 15, v62
	v_add_u32_e32 v60, 8, v60
	v_add_u32_e32 v61, 8, v61
	s_or_b64 s[6:7], vcc, s[6:7]
	s_waitcnt vmcnt(0) lgkmcnt(0)
	v_fmac_f64_e32 v[58:59], v[64:65], v[66:67]
	s_andn2_b64 exec, exec, s[6:7]
	s_cbranch_execnz .LBB26_415
; %bb.416:
	s_or_b64 exec, exec, s[6:7]
.LBB26_417:
	s_or_b64 exec, exec, s[4:5]
	v_mov_b32_e32 v60, 0
	ds_read_b64 v[60:61], v60 offset:136
	s_waitcnt lgkmcnt(0)
	v_mul_f64 v[58:59], v[58:59], v[60:61]
	scratch_store_dwordx2 off, v[58:59], off offset:136
.LBB26_418:
	s_or_b64 exec, exec, s[2:3]
	scratch_load_dwordx2 v[58:59], off, off offset:144
	v_cmp_gt_u32_e32 vcc, 18, v0
	s_waitcnt vmcnt(0)
	ds_write_b64 v1, v[58:59]
	s_waitcnt lgkmcnt(0)
	; wave barrier
	s_and_saveexec_b64 s[2:3], vcc
	s_cbranch_execz .LBB26_428
; %bb.419:
	s_and_b64 vcc, exec, s[0:1]
	s_cbranch_vccnz .LBB26_421
; %bb.420:
	scratch_load_dwordx2 v[58:59], v17, off
	ds_read_b64 v[60:61], v1
	s_waitcnt vmcnt(0) lgkmcnt(0)
	v_mul_f64 v[58:59], v[58:59], v[60:61]
	s_cbranch_execz .LBB26_422
	s_branch .LBB26_423
.LBB26_421:
                                        ; implicit-def: $vgpr58_vgpr59
.LBB26_422:
	ds_read_b64 v[58:59], v1
.LBB26_423:
	v_cmp_ne_u32_e32 vcc, 17, v0
	s_and_saveexec_b64 s[4:5], vcc
	s_cbranch_execz .LBB26_427
; %bb.424:
	s_mov_b32 s6, 0
	v_add_u32_e32 v60, 0xe8, v16
	v_add3_u32 v61, v16, s6, 8
	s_mov_b64 s[6:7], 0
	v_mov_b32_e32 v62, v0
.LBB26_425:                             ; =>This Inner Loop Header: Depth=1
	scratch_load_dwordx2 v[64:65], v61, off
	ds_read_b64 v[66:67], v60
	v_add_u32_e32 v62, 1, v62
	v_cmp_lt_u32_e32 vcc, 16, v62
	v_add_u32_e32 v60, 8, v60
	v_add_u32_e32 v61, 8, v61
	s_or_b64 s[6:7], vcc, s[6:7]
	s_waitcnt vmcnt(0) lgkmcnt(0)
	v_fmac_f64_e32 v[58:59], v[64:65], v[66:67]
	s_andn2_b64 exec, exec, s[6:7]
	s_cbranch_execnz .LBB26_425
; %bb.426:
	s_or_b64 exec, exec, s[6:7]
.LBB26_427:
	s_or_b64 exec, exec, s[4:5]
	v_mov_b32_e32 v60, 0
	ds_read_b64 v[60:61], v60 offset:144
	s_waitcnt lgkmcnt(0)
	v_mul_f64 v[58:59], v[58:59], v[60:61]
	scratch_store_dwordx2 off, v[58:59], off offset:144
.LBB26_428:
	s_or_b64 exec, exec, s[2:3]
	scratch_load_dwordx2 v[58:59], off, off offset:152
	v_cmp_gt_u32_e32 vcc, 19, v0
	s_waitcnt vmcnt(0)
	ds_write_b64 v1, v[58:59]
	s_waitcnt lgkmcnt(0)
	; wave barrier
	s_and_saveexec_b64 s[2:3], vcc
	s_cbranch_execz .LBB26_438
; %bb.429:
	s_and_b64 vcc, exec, s[0:1]
	s_cbranch_vccnz .LBB26_431
; %bb.430:
	scratch_load_dwordx2 v[58:59], v17, off
	ds_read_b64 v[60:61], v1
	s_waitcnt vmcnt(0) lgkmcnt(0)
	v_mul_f64 v[58:59], v[58:59], v[60:61]
	s_cbranch_execz .LBB26_432
	s_branch .LBB26_433
.LBB26_431:
                                        ; implicit-def: $vgpr58_vgpr59
.LBB26_432:
	ds_read_b64 v[58:59], v1
.LBB26_433:
	v_cmp_ne_u32_e32 vcc, 18, v0
	s_and_saveexec_b64 s[4:5], vcc
	s_cbranch_execz .LBB26_437
; %bb.434:
	s_mov_b32 s6, 0
	v_add_u32_e32 v60, 0xe8, v16
	v_add3_u32 v61, v16, s6, 8
	s_mov_b64 s[6:7], 0
	v_mov_b32_e32 v62, v0
.LBB26_435:                             ; =>This Inner Loop Header: Depth=1
	scratch_load_dwordx2 v[64:65], v61, off
	ds_read_b64 v[66:67], v60
	v_add_u32_e32 v62, 1, v62
	v_cmp_lt_u32_e32 vcc, 17, v62
	v_add_u32_e32 v60, 8, v60
	v_add_u32_e32 v61, 8, v61
	s_or_b64 s[6:7], vcc, s[6:7]
	s_waitcnt vmcnt(0) lgkmcnt(0)
	v_fmac_f64_e32 v[58:59], v[64:65], v[66:67]
	s_andn2_b64 exec, exec, s[6:7]
	s_cbranch_execnz .LBB26_435
; %bb.436:
	s_or_b64 exec, exec, s[6:7]
.LBB26_437:
	s_or_b64 exec, exec, s[4:5]
	v_mov_b32_e32 v60, 0
	ds_read_b64 v[60:61], v60 offset:152
	s_waitcnt lgkmcnt(0)
	v_mul_f64 v[58:59], v[58:59], v[60:61]
	scratch_store_dwordx2 off, v[58:59], off offset:152
.LBB26_438:
	s_or_b64 exec, exec, s[2:3]
	scratch_load_dwordx2 v[58:59], off, off offset:160
	v_cmp_gt_u32_e32 vcc, 20, v0
	s_waitcnt vmcnt(0)
	ds_write_b64 v1, v[58:59]
	s_waitcnt lgkmcnt(0)
	; wave barrier
	s_and_saveexec_b64 s[2:3], vcc
	s_cbranch_execz .LBB26_448
; %bb.439:
	s_and_b64 vcc, exec, s[0:1]
	s_cbranch_vccnz .LBB26_441
; %bb.440:
	scratch_load_dwordx2 v[58:59], v17, off
	ds_read_b64 v[60:61], v1
	s_waitcnt vmcnt(0) lgkmcnt(0)
	v_mul_f64 v[58:59], v[58:59], v[60:61]
	s_cbranch_execz .LBB26_442
	s_branch .LBB26_443
.LBB26_441:
                                        ; implicit-def: $vgpr58_vgpr59
.LBB26_442:
	ds_read_b64 v[58:59], v1
.LBB26_443:
	v_cmp_ne_u32_e32 vcc, 19, v0
	s_and_saveexec_b64 s[4:5], vcc
	s_cbranch_execz .LBB26_447
; %bb.444:
	s_mov_b32 s6, 0
	v_add_u32_e32 v60, 0xe8, v16
	v_add3_u32 v61, v16, s6, 8
	s_mov_b64 s[6:7], 0
	v_mov_b32_e32 v62, v0
.LBB26_445:                             ; =>This Inner Loop Header: Depth=1
	scratch_load_dwordx2 v[64:65], v61, off
	ds_read_b64 v[66:67], v60
	v_add_u32_e32 v62, 1, v62
	v_cmp_lt_u32_e32 vcc, 18, v62
	v_add_u32_e32 v60, 8, v60
	v_add_u32_e32 v61, 8, v61
	s_or_b64 s[6:7], vcc, s[6:7]
	s_waitcnt vmcnt(0) lgkmcnt(0)
	v_fmac_f64_e32 v[58:59], v[64:65], v[66:67]
	s_andn2_b64 exec, exec, s[6:7]
	s_cbranch_execnz .LBB26_445
; %bb.446:
	s_or_b64 exec, exec, s[6:7]
.LBB26_447:
	s_or_b64 exec, exec, s[4:5]
	v_mov_b32_e32 v60, 0
	ds_read_b64 v[60:61], v60 offset:160
	s_waitcnt lgkmcnt(0)
	v_mul_f64 v[58:59], v[58:59], v[60:61]
	scratch_store_dwordx2 off, v[58:59], off offset:160
.LBB26_448:
	s_or_b64 exec, exec, s[2:3]
	scratch_load_dwordx2 v[58:59], off, off offset:168
	v_cmp_gt_u32_e32 vcc, 21, v0
	s_waitcnt vmcnt(0)
	ds_write_b64 v1, v[58:59]
	s_waitcnt lgkmcnt(0)
	; wave barrier
	s_and_saveexec_b64 s[2:3], vcc
	s_cbranch_execz .LBB26_458
; %bb.449:
	s_and_b64 vcc, exec, s[0:1]
	s_cbranch_vccnz .LBB26_451
; %bb.450:
	scratch_load_dwordx2 v[58:59], v17, off
	ds_read_b64 v[60:61], v1
	s_waitcnt vmcnt(0) lgkmcnt(0)
	v_mul_f64 v[58:59], v[58:59], v[60:61]
	s_cbranch_execz .LBB26_452
	s_branch .LBB26_453
.LBB26_451:
                                        ; implicit-def: $vgpr58_vgpr59
.LBB26_452:
	ds_read_b64 v[58:59], v1
.LBB26_453:
	v_cmp_ne_u32_e32 vcc, 20, v0
	s_and_saveexec_b64 s[4:5], vcc
	s_cbranch_execz .LBB26_457
; %bb.454:
	s_mov_b32 s6, 0
	v_add_u32_e32 v60, 0xe8, v16
	v_add3_u32 v61, v16, s6, 8
	s_mov_b64 s[6:7], 0
	v_mov_b32_e32 v62, v0
.LBB26_455:                             ; =>This Inner Loop Header: Depth=1
	scratch_load_dwordx2 v[64:65], v61, off
	ds_read_b64 v[66:67], v60
	v_add_u32_e32 v62, 1, v62
	v_cmp_lt_u32_e32 vcc, 19, v62
	v_add_u32_e32 v60, 8, v60
	v_add_u32_e32 v61, 8, v61
	s_or_b64 s[6:7], vcc, s[6:7]
	s_waitcnt vmcnt(0) lgkmcnt(0)
	v_fmac_f64_e32 v[58:59], v[64:65], v[66:67]
	s_andn2_b64 exec, exec, s[6:7]
	s_cbranch_execnz .LBB26_455
; %bb.456:
	s_or_b64 exec, exec, s[6:7]
.LBB26_457:
	s_or_b64 exec, exec, s[4:5]
	v_mov_b32_e32 v60, 0
	ds_read_b64 v[60:61], v60 offset:168
	s_waitcnt lgkmcnt(0)
	v_mul_f64 v[58:59], v[58:59], v[60:61]
	scratch_store_dwordx2 off, v[58:59], off offset:168
.LBB26_458:
	s_or_b64 exec, exec, s[2:3]
	scratch_load_dwordx2 v[58:59], off, off offset:176
	v_cmp_gt_u32_e32 vcc, 22, v0
	s_waitcnt vmcnt(0)
	ds_write_b64 v1, v[58:59]
	s_waitcnt lgkmcnt(0)
	; wave barrier
	s_and_saveexec_b64 s[2:3], vcc
	s_cbranch_execz .LBB26_468
; %bb.459:
	s_and_b64 vcc, exec, s[0:1]
	s_cbranch_vccnz .LBB26_461
; %bb.460:
	scratch_load_dwordx2 v[58:59], v17, off
	ds_read_b64 v[60:61], v1
	s_waitcnt vmcnt(0) lgkmcnt(0)
	v_mul_f64 v[58:59], v[58:59], v[60:61]
	s_cbranch_execz .LBB26_462
	s_branch .LBB26_463
.LBB26_461:
                                        ; implicit-def: $vgpr58_vgpr59
.LBB26_462:
	ds_read_b64 v[58:59], v1
.LBB26_463:
	v_cmp_ne_u32_e32 vcc, 21, v0
	s_and_saveexec_b64 s[4:5], vcc
	s_cbranch_execz .LBB26_467
; %bb.464:
	s_mov_b32 s6, 0
	v_add_u32_e32 v60, 0xe8, v16
	v_add3_u32 v61, v16, s6, 8
	s_mov_b64 s[6:7], 0
	v_mov_b32_e32 v62, v0
.LBB26_465:                             ; =>This Inner Loop Header: Depth=1
	scratch_load_dwordx2 v[64:65], v61, off
	ds_read_b64 v[66:67], v60
	v_add_u32_e32 v62, 1, v62
	v_cmp_lt_u32_e32 vcc, 20, v62
	v_add_u32_e32 v60, 8, v60
	v_add_u32_e32 v61, 8, v61
	s_or_b64 s[6:7], vcc, s[6:7]
	s_waitcnt vmcnt(0) lgkmcnt(0)
	v_fmac_f64_e32 v[58:59], v[64:65], v[66:67]
	s_andn2_b64 exec, exec, s[6:7]
	s_cbranch_execnz .LBB26_465
; %bb.466:
	s_or_b64 exec, exec, s[6:7]
.LBB26_467:
	s_or_b64 exec, exec, s[4:5]
	v_mov_b32_e32 v60, 0
	ds_read_b64 v[60:61], v60 offset:176
	s_waitcnt lgkmcnt(0)
	v_mul_f64 v[58:59], v[58:59], v[60:61]
	scratch_store_dwordx2 off, v[58:59], off offset:176
.LBB26_468:
	s_or_b64 exec, exec, s[2:3]
	scratch_load_dwordx2 v[58:59], off, off offset:184
	v_cmp_gt_u32_e32 vcc, 23, v0
	s_waitcnt vmcnt(0)
	ds_write_b64 v1, v[58:59]
	s_waitcnt lgkmcnt(0)
	; wave barrier
	s_and_saveexec_b64 s[2:3], vcc
	s_cbranch_execz .LBB26_478
; %bb.469:
	s_and_b64 vcc, exec, s[0:1]
	s_cbranch_vccnz .LBB26_471
; %bb.470:
	scratch_load_dwordx2 v[58:59], v17, off
	ds_read_b64 v[60:61], v1
	s_waitcnt vmcnt(0) lgkmcnt(0)
	v_mul_f64 v[58:59], v[58:59], v[60:61]
	s_cbranch_execz .LBB26_472
	s_branch .LBB26_473
.LBB26_471:
                                        ; implicit-def: $vgpr58_vgpr59
.LBB26_472:
	ds_read_b64 v[58:59], v1
.LBB26_473:
	v_cmp_ne_u32_e32 vcc, 22, v0
	s_and_saveexec_b64 s[4:5], vcc
	s_cbranch_execz .LBB26_477
; %bb.474:
	s_mov_b32 s6, 0
	v_add_u32_e32 v60, 0xe8, v16
	v_add3_u32 v61, v16, s6, 8
	s_mov_b64 s[6:7], 0
	v_mov_b32_e32 v62, v0
.LBB26_475:                             ; =>This Inner Loop Header: Depth=1
	scratch_load_dwordx2 v[64:65], v61, off
	ds_read_b64 v[66:67], v60
	v_add_u32_e32 v62, 1, v62
	v_cmp_lt_u32_e32 vcc, 21, v62
	v_add_u32_e32 v60, 8, v60
	v_add_u32_e32 v61, 8, v61
	s_or_b64 s[6:7], vcc, s[6:7]
	s_waitcnt vmcnt(0) lgkmcnt(0)
	v_fmac_f64_e32 v[58:59], v[64:65], v[66:67]
	s_andn2_b64 exec, exec, s[6:7]
	s_cbranch_execnz .LBB26_475
; %bb.476:
	s_or_b64 exec, exec, s[6:7]
.LBB26_477:
	s_or_b64 exec, exec, s[4:5]
	v_mov_b32_e32 v60, 0
	ds_read_b64 v[60:61], v60 offset:184
	s_waitcnt lgkmcnt(0)
	v_mul_f64 v[58:59], v[58:59], v[60:61]
	scratch_store_dwordx2 off, v[58:59], off offset:184
.LBB26_478:
	s_or_b64 exec, exec, s[2:3]
	scratch_load_dwordx2 v[58:59], off, off offset:192
	v_cmp_gt_u32_e32 vcc, 24, v0
	s_waitcnt vmcnt(0)
	ds_write_b64 v1, v[58:59]
	s_waitcnt lgkmcnt(0)
	; wave barrier
	s_and_saveexec_b64 s[2:3], vcc
	s_cbranch_execz .LBB26_488
; %bb.479:
	s_and_b64 vcc, exec, s[0:1]
	s_cbranch_vccnz .LBB26_481
; %bb.480:
	scratch_load_dwordx2 v[58:59], v17, off
	ds_read_b64 v[60:61], v1
	s_waitcnt vmcnt(0) lgkmcnt(0)
	v_mul_f64 v[58:59], v[58:59], v[60:61]
	s_cbranch_execz .LBB26_482
	s_branch .LBB26_483
.LBB26_481:
                                        ; implicit-def: $vgpr58_vgpr59
.LBB26_482:
	ds_read_b64 v[58:59], v1
.LBB26_483:
	v_cmp_ne_u32_e32 vcc, 23, v0
	s_and_saveexec_b64 s[4:5], vcc
	s_cbranch_execz .LBB26_487
; %bb.484:
	s_mov_b32 s6, 0
	v_add_u32_e32 v60, 0xe8, v16
	v_add3_u32 v61, v16, s6, 8
	s_mov_b64 s[6:7], 0
	v_mov_b32_e32 v62, v0
.LBB26_485:                             ; =>This Inner Loop Header: Depth=1
	scratch_load_dwordx2 v[64:65], v61, off
	ds_read_b64 v[66:67], v60
	v_add_u32_e32 v62, 1, v62
	v_cmp_lt_u32_e32 vcc, 22, v62
	v_add_u32_e32 v60, 8, v60
	v_add_u32_e32 v61, 8, v61
	s_or_b64 s[6:7], vcc, s[6:7]
	s_waitcnt vmcnt(0) lgkmcnt(0)
	v_fmac_f64_e32 v[58:59], v[64:65], v[66:67]
	s_andn2_b64 exec, exec, s[6:7]
	s_cbranch_execnz .LBB26_485
; %bb.486:
	s_or_b64 exec, exec, s[6:7]
.LBB26_487:
	s_or_b64 exec, exec, s[4:5]
	v_mov_b32_e32 v60, 0
	ds_read_b64 v[60:61], v60 offset:192
	s_waitcnt lgkmcnt(0)
	v_mul_f64 v[58:59], v[58:59], v[60:61]
	scratch_store_dwordx2 off, v[58:59], off offset:192
.LBB26_488:
	s_or_b64 exec, exec, s[2:3]
	scratch_load_dwordx2 v[58:59], off, off offset:200
	v_cmp_gt_u32_e64 s[2:3], 25, v0
	s_waitcnt vmcnt(0)
	ds_write_b64 v1, v[58:59]
	s_waitcnt lgkmcnt(0)
	; wave barrier
	s_and_saveexec_b64 s[4:5], s[2:3]
	s_cbranch_execz .LBB26_498
; %bb.489:
	s_and_b64 vcc, exec, s[0:1]
	s_cbranch_vccnz .LBB26_491
; %bb.490:
	scratch_load_dwordx2 v[58:59], v17, off
	ds_read_b64 v[60:61], v1
	s_waitcnt vmcnt(0) lgkmcnt(0)
	v_mul_f64 v[58:59], v[58:59], v[60:61]
	s_cbranch_execz .LBB26_492
	s_branch .LBB26_493
.LBB26_491:
                                        ; implicit-def: $vgpr58_vgpr59
.LBB26_492:
	ds_read_b64 v[58:59], v1
.LBB26_493:
	v_cmp_ne_u32_e32 vcc, 24, v0
	s_and_saveexec_b64 s[6:7], vcc
	s_cbranch_execz .LBB26_497
; %bb.494:
	s_mov_b32 s8, 0
	v_add_u32_e32 v60, 0xe8, v16
	v_add3_u32 v61, v16, s8, 8
	s_mov_b64 s[8:9], 0
	v_mov_b32_e32 v62, v0
.LBB26_495:                             ; =>This Inner Loop Header: Depth=1
	scratch_load_dwordx2 v[64:65], v61, off
	ds_read_b64 v[66:67], v60
	v_add_u32_e32 v62, 1, v62
	v_cmp_lt_u32_e32 vcc, 23, v62
	v_add_u32_e32 v60, 8, v60
	v_add_u32_e32 v61, 8, v61
	s_or_b64 s[8:9], vcc, s[8:9]
	s_waitcnt vmcnt(0) lgkmcnt(0)
	v_fmac_f64_e32 v[58:59], v[64:65], v[66:67]
	s_andn2_b64 exec, exec, s[8:9]
	s_cbranch_execnz .LBB26_495
; %bb.496:
	s_or_b64 exec, exec, s[8:9]
.LBB26_497:
	s_or_b64 exec, exec, s[6:7]
	v_mov_b32_e32 v60, 0
	ds_read_b64 v[60:61], v60 offset:200
	s_waitcnt lgkmcnt(0)
	v_mul_f64 v[58:59], v[58:59], v[60:61]
	scratch_store_dwordx2 off, v[58:59], off offset:200
.LBB26_498:
	s_or_b64 exec, exec, s[4:5]
	scratch_load_dwordx2 v[58:59], off, off offset:208
	v_cmp_ne_u32_e32 vcc, 26, v0
	s_waitcnt vmcnt(0)
	ds_write_b64 v1, v[58:59]
	s_waitcnt lgkmcnt(0)
	; wave barrier
	s_and_saveexec_b64 s[4:5], vcc
	s_cbranch_execz .LBB26_508
; %bb.499:
	s_and_b64 vcc, exec, s[0:1]
	s_cbranch_vccnz .LBB26_501
; %bb.500:
	scratch_load_dwordx2 v[58:59], v17, off
	ds_read_b64 v[60:61], v1
	s_waitcnt vmcnt(0) lgkmcnt(0)
	v_mul_f64 v[58:59], v[58:59], v[60:61]
	s_cbranch_execz .LBB26_502
	s_branch .LBB26_503
.LBB26_501:
                                        ; implicit-def: $vgpr58_vgpr59
.LBB26_502:
	ds_read_b64 v[58:59], v1
.LBB26_503:
	s_and_saveexec_b64 s[0:1], s[2:3]
	s_cbranch_execz .LBB26_507
; %bb.504:
	s_mov_b32 s2, 0
	v_add_u32_e32 v1, 0xe8, v16
	v_add3_u32 v16, v16, s2, 8
	s_mov_b64 s[2:3], 0
.LBB26_505:                             ; =>This Inner Loop Header: Depth=1
	scratch_load_dwordx2 v[60:61], v16, off
	ds_read_b64 v[62:63], v1
	v_add_u32_e32 v0, 1, v0
	v_cmp_lt_u32_e32 vcc, 24, v0
	v_add_u32_e32 v1, 8, v1
	v_add_u32_e32 v16, 8, v16
	s_or_b64 s[2:3], vcc, s[2:3]
	s_waitcnt vmcnt(0) lgkmcnt(0)
	v_fmac_f64_e32 v[58:59], v[60:61], v[62:63]
	s_andn2_b64 exec, exec, s[2:3]
	s_cbranch_execnz .LBB26_505
; %bb.506:
	s_or_b64 exec, exec, s[2:3]
.LBB26_507:
	s_or_b64 exec, exec, s[0:1]
	v_mov_b32_e32 v0, 0
	ds_read_b64 v[0:1], v0 offset:208
	s_waitcnt lgkmcnt(0)
	v_mul_f64 v[0:1], v[58:59], v[0:1]
	scratch_store_dwordx2 off, v[0:1], off offset:208
.LBB26_508:
	s_or_b64 exec, exec, s[4:5]
.LBB26_509:
	scratch_load_dwordx4 v[58:61], off, off
	s_waitcnt vmcnt(0)
	global_store_dwordx2 v[2:3], v[58:59], off
	global_store_dwordx2 v[4:5], v[60:61], off
	scratch_load_dwordx4 v[0:3], off, off offset:16
	s_waitcnt vmcnt(0)
	global_store_dwordx2 v[6:7], v[0:1], off
	global_store_dwordx2 v[8:9], v[2:3], off
	scratch_load_dwordx4 v[0:3], off, off offset:32
	;; [unrolled: 4-line block ×12, first 2 shown]
	s_waitcnt vmcnt(0)
	global_store_dwordx2 v[54:55], v[0:1], off
	global_store_dwordx2 v[56:57], v[2:3], off
	scratch_load_dwordx2 v[0:1], off, off offset:208
	s_waitcnt vmcnt(0)
	global_store_dwordx2 v[50:51], v[0:1], off
.LBB26_510:
	s_endpgm
	.section	.rodata,"a",@progbits
	.p2align	6, 0x0
	.amdhsa_kernel _ZN9rocsolver6v33100L18trti2_kernel_smallILi27EdPdEEv13rocblas_fill_17rocblas_diagonal_T1_iil
		.amdhsa_group_segment_fixed_size 440
		.amdhsa_private_segment_fixed_size 224
		.amdhsa_kernarg_size 32
		.amdhsa_user_sgpr_count 2
		.amdhsa_user_sgpr_dispatch_ptr 0
		.amdhsa_user_sgpr_queue_ptr 0
		.amdhsa_user_sgpr_kernarg_segment_ptr 1
		.amdhsa_user_sgpr_dispatch_id 0
		.amdhsa_user_sgpr_kernarg_preload_length 0
		.amdhsa_user_sgpr_kernarg_preload_offset 0
		.amdhsa_user_sgpr_private_segment_size 0
		.amdhsa_uses_dynamic_stack 0
		.amdhsa_enable_private_segment 1
		.amdhsa_system_sgpr_workgroup_id_x 1
		.amdhsa_system_sgpr_workgroup_id_y 0
		.amdhsa_system_sgpr_workgroup_id_z 0
		.amdhsa_system_sgpr_workgroup_info 0
		.amdhsa_system_vgpr_workitem_id 0
		.amdhsa_next_free_vgpr 68
		.amdhsa_next_free_sgpr 23
		.amdhsa_accum_offset 68
		.amdhsa_reserve_vcc 1
		.amdhsa_float_round_mode_32 0
		.amdhsa_float_round_mode_16_64 0
		.amdhsa_float_denorm_mode_32 3
		.amdhsa_float_denorm_mode_16_64 3
		.amdhsa_dx10_clamp 1
		.amdhsa_ieee_mode 1
		.amdhsa_fp16_overflow 0
		.amdhsa_tg_split 0
		.amdhsa_exception_fp_ieee_invalid_op 0
		.amdhsa_exception_fp_denorm_src 0
		.amdhsa_exception_fp_ieee_div_zero 0
		.amdhsa_exception_fp_ieee_overflow 0
		.amdhsa_exception_fp_ieee_underflow 0
		.amdhsa_exception_fp_ieee_inexact 0
		.amdhsa_exception_int_div_zero 0
	.end_amdhsa_kernel
	.section	.text._ZN9rocsolver6v33100L18trti2_kernel_smallILi27EdPdEEv13rocblas_fill_17rocblas_diagonal_T1_iil,"axG",@progbits,_ZN9rocsolver6v33100L18trti2_kernel_smallILi27EdPdEEv13rocblas_fill_17rocblas_diagonal_T1_iil,comdat
.Lfunc_end26:
	.size	_ZN9rocsolver6v33100L18trti2_kernel_smallILi27EdPdEEv13rocblas_fill_17rocblas_diagonal_T1_iil, .Lfunc_end26-_ZN9rocsolver6v33100L18trti2_kernel_smallILi27EdPdEEv13rocblas_fill_17rocblas_diagonal_T1_iil
                                        ; -- End function
	.set _ZN9rocsolver6v33100L18trti2_kernel_smallILi27EdPdEEv13rocblas_fill_17rocblas_diagonal_T1_iil.num_vgpr, 68
	.set _ZN9rocsolver6v33100L18trti2_kernel_smallILi27EdPdEEv13rocblas_fill_17rocblas_diagonal_T1_iil.num_agpr, 0
	.set _ZN9rocsolver6v33100L18trti2_kernel_smallILi27EdPdEEv13rocblas_fill_17rocblas_diagonal_T1_iil.numbered_sgpr, 23
	.set _ZN9rocsolver6v33100L18trti2_kernel_smallILi27EdPdEEv13rocblas_fill_17rocblas_diagonal_T1_iil.num_named_barrier, 0
	.set _ZN9rocsolver6v33100L18trti2_kernel_smallILi27EdPdEEv13rocblas_fill_17rocblas_diagonal_T1_iil.private_seg_size, 224
	.set _ZN9rocsolver6v33100L18trti2_kernel_smallILi27EdPdEEv13rocblas_fill_17rocblas_diagonal_T1_iil.uses_vcc, 1
	.set _ZN9rocsolver6v33100L18trti2_kernel_smallILi27EdPdEEv13rocblas_fill_17rocblas_diagonal_T1_iil.uses_flat_scratch, 0
	.set _ZN9rocsolver6v33100L18trti2_kernel_smallILi27EdPdEEv13rocblas_fill_17rocblas_diagonal_T1_iil.has_dyn_sized_stack, 0
	.set _ZN9rocsolver6v33100L18trti2_kernel_smallILi27EdPdEEv13rocblas_fill_17rocblas_diagonal_T1_iil.has_recursion, 0
	.set _ZN9rocsolver6v33100L18trti2_kernel_smallILi27EdPdEEv13rocblas_fill_17rocblas_diagonal_T1_iil.has_indirect_call, 0
	.section	.AMDGPU.csdata,"",@progbits
; Kernel info:
; codeLenInByte = 12644
; TotalNumSgprs: 29
; NumVgprs: 68
; NumAgprs: 0
; TotalNumVgprs: 68
; ScratchSize: 224
; MemoryBound: 0
; FloatMode: 240
; IeeeMode: 1
; LDSByteSize: 440 bytes/workgroup (compile time only)
; SGPRBlocks: 3
; VGPRBlocks: 8
; NumSGPRsForWavesPerEU: 29
; NumVGPRsForWavesPerEU: 68
; AccumOffset: 68
; Occupancy: 7
; WaveLimiterHint : 0
; COMPUTE_PGM_RSRC2:SCRATCH_EN: 1
; COMPUTE_PGM_RSRC2:USER_SGPR: 2
; COMPUTE_PGM_RSRC2:TRAP_HANDLER: 0
; COMPUTE_PGM_RSRC2:TGID_X_EN: 1
; COMPUTE_PGM_RSRC2:TGID_Y_EN: 0
; COMPUTE_PGM_RSRC2:TGID_Z_EN: 0
; COMPUTE_PGM_RSRC2:TIDIG_COMP_CNT: 0
; COMPUTE_PGM_RSRC3_GFX90A:ACCUM_OFFSET: 16
; COMPUTE_PGM_RSRC3_GFX90A:TG_SPLIT: 0
	.section	.text._ZN9rocsolver6v33100L18trti2_kernel_smallILi28EdPdEEv13rocblas_fill_17rocblas_diagonal_T1_iil,"axG",@progbits,_ZN9rocsolver6v33100L18trti2_kernel_smallILi28EdPdEEv13rocblas_fill_17rocblas_diagonal_T1_iil,comdat
	.globl	_ZN9rocsolver6v33100L18trti2_kernel_smallILi28EdPdEEv13rocblas_fill_17rocblas_diagonal_T1_iil ; -- Begin function _ZN9rocsolver6v33100L18trti2_kernel_smallILi28EdPdEEv13rocblas_fill_17rocblas_diagonal_T1_iil
	.p2align	8
	.type	_ZN9rocsolver6v33100L18trti2_kernel_smallILi28EdPdEEv13rocblas_fill_17rocblas_diagonal_T1_iil,@function
_ZN9rocsolver6v33100L18trti2_kernel_smallILi28EdPdEEv13rocblas_fill_17rocblas_diagonal_T1_iil: ; @_ZN9rocsolver6v33100L18trti2_kernel_smallILi28EdPdEEv13rocblas_fill_17rocblas_diagonal_T1_iil
; %bb.0:
	v_cmp_gt_u32_e32 vcc, 28, v0
	s_and_saveexec_b64 s[4:5], vcc
	s_cbranch_execz .LBB27_530
; %bb.1:
	s_load_dwordx8 s[4:11], s[0:1], 0x0
	s_ashr_i32 s3, s2, 31
	v_lshlrev_b32_e32 v16, 3, v0
	v_mov_b32_e32 v17, 0
	s_waitcnt lgkmcnt(0)
	s_ashr_i32 s1, s8, 31
	s_mov_b32 s0, s8
	s_mul_hi_u32 s8, s10, s2
	s_mul_i32 s3, s10, s3
	s_add_i32 s3, s8, s3
	s_mul_i32 s8, s11, s2
	s_add_i32 s3, s3, s8
	s_mul_i32 s2, s10, s2
	s_lshl_b64 s[2:3], s[2:3], 3
	s_add_u32 s2, s6, s2
	s_addc_u32 s3, s7, s3
	s_lshl_b64 s[0:1], s[0:1], 3
	s_add_u32 s0, s2, s0
	s_addc_u32 s1, s3, s1
	v_lshl_add_u64 v[2:3], s[0:1], 0, v[16:17]
	s_ashr_i32 s3, s9, 31
	s_mov_b32 s2, s9
	v_lshl_add_u64 v[4:5], s[2:3], 3, v[2:3]
	global_load_dwordx2 v[6:7], v16, s[0:1]
	global_load_dwordx2 v[8:9], v[4:5], off
	s_add_i32 s2, s9, s9
	s_cmpk_lg_i32 s5, 0x84
	s_cselect_b64 s[6:7], -1, 0
	s_cmpk_eq_i32 s5, 0x84
	s_waitcnt vmcnt(0)
	scratch_store_dwordx4 off, v[6:9], off
	s_nop 1
	v_add_u32_e32 v8, s2, v0
	v_add_u32_e32 v10, s9, v8
	v_ashrrev_i32_e32 v9, 31, v8
	v_ashrrev_i32_e32 v11, 31, v10
	v_lshl_add_u64 v[6:7], v[8:9], 3, s[0:1]
	v_lshl_add_u64 v[8:9], v[10:11], 3, s[0:1]
	global_load_dwordx2 v[12:13], v[6:7], off
	global_load_dwordx2 v[14:15], v[8:9], off
	s_waitcnt vmcnt(0)
	scratch_store_dwordx4 off, v[12:15], off offset:16
	s_nop 1
	v_add_u32_e32 v12, s9, v10
	v_add_u32_e32 v14, s9, v12
	v_ashrrev_i32_e32 v13, 31, v12
	v_ashrrev_i32_e32 v15, 31, v14
	v_lshl_add_u64 v[10:11], v[12:13], 3, s[0:1]
	v_lshl_add_u64 v[12:13], v[14:15], 3, s[0:1]
	global_load_dwordx2 v[18:19], v[10:11], off
	global_load_dwordx2 v[20:21], v[12:13], off
	s_waitcnt vmcnt(0)
	scratch_store_dwordx4 off, v[18:21], off offset:32
	;; [unrolled: 11-line block ×10, first 2 shown]
	s_nop 1
	v_add_u32_e32 v50, s9, v48
	v_ashrrev_i32_e32 v51, 31, v50
	v_lshl_add_u64 v[48:49], v[50:51], 3, s[0:1]
	v_add_u32_e32 v50, s9, v50
	v_ashrrev_i32_e32 v51, 31, v50
	v_lshl_add_u64 v[52:53], v[50:51], 3, s[0:1]
	global_load_dwordx2 v[54:55], v[48:49], off
	global_load_dwordx2 v[56:57], v[52:53], off
	v_add_u32_e32 v50, s9, v50
	v_ashrrev_i32_e32 v51, 31, v50
	s_waitcnt vmcnt(0)
	scratch_store_dwordx4 off, v[54:57], off offset:176
	s_nop 1
	v_lshl_add_u64 v[56:57], v[50:51], 3, s[0:1]
	v_add_u32_e32 v50, s9, v50
	v_ashrrev_i32_e32 v51, 31, v50
	v_lshl_add_u64 v[58:59], v[50:51], 3, s[0:1]
	global_load_dwordx2 v[60:61], v[56:57], off
	global_load_dwordx2 v[62:63], v[58:59], off
	v_add_u32_e32 v54, s9, v50
	v_ashrrev_i32_e32 v55, 31, v54
	v_lshl_add_u64 v[50:51], v[54:55], 3, s[0:1]
	v_add_u32_e32 v54, s9, v54
	v_ashrrev_i32_e32 v55, 31, v54
	v_lshl_add_u64 v[54:55], v[54:55], 3, s[0:1]
	s_waitcnt vmcnt(0)
	scratch_store_dwordx4 off, v[60:63], off offset:192
	global_load_dwordx2 v[60:61], v[50:51], off
	s_nop 0
	global_load_dwordx2 v[62:63], v[54:55], off
	s_waitcnt vmcnt(0)
	scratch_store_dwordx4 off, v[60:63], off offset:208
	s_nop 1
	v_mov_b64_e32 v[60:61], -1.0
	s_cbranch_scc1 .LBB27_3
; %bb.2:
	scratch_load_dwordx2 v[60:61], v16, off
	s_waitcnt vmcnt(0)
	v_div_scale_f64 v[62:63], s[0:1], v[60:61], v[60:61], 1.0
	v_rcp_f64_e32 v[64:65], v[62:63]
	v_div_scale_f64 v[66:67], vcc, 1.0, v[60:61], 1.0
	v_fma_f64 v[68:69], -v[62:63], v[64:65], 1.0
	v_fmac_f64_e32 v[64:65], v[64:65], v[68:69]
	v_fma_f64 v[68:69], -v[62:63], v[64:65], 1.0
	v_fmac_f64_e32 v[64:65], v[64:65], v[68:69]
	v_mul_f64 v[68:69], v[66:67], v[64:65]
	v_fma_f64 v[62:63], -v[62:63], v[68:69], v[66:67]
	v_div_fmas_f64 v[62:63], v[62:63], v[64:65], v[68:69]
	v_div_fixup_f64 v[60:61], v[62:63], v[60:61], 1.0
	scratch_store_dwordx2 v16, v[60:61], off
	v_xor_b32_e32 v61, 0x80000000, v61
.LBB27_3:
	s_cmpk_eq_i32 s4, 0x79
	v_add_u32_e32 v1, 0xe0, v16
	v_mov_b32_e32 v17, v16
	s_mov_b64 s[0:1], -1
	ds_write_b64 v16, v[60:61]
	s_cbranch_scc1 .LBB27_267
; %bb.4:
	scratch_load_dwordx2 v[60:61], off, off offset:208
	s_movk_i32 s8, 0x50
	s_movk_i32 s9, 0x60
	;; [unrolled: 1-line block ×8, first 2 shown]
	v_cmp_eq_u32_e64 s[0:1], 27, v0
	s_waitcnt vmcnt(0)
	ds_write_b64 v1, v[60:61]
	s_waitcnt lgkmcnt(0)
	; wave barrier
	s_and_saveexec_b64 s[2:3], s[0:1]
	s_cbranch_execz .LBB27_10
; %bb.5:
	s_and_b64 vcc, exec, s[6:7]
	s_cbranch_vccz .LBB27_7
; %bb.6:
	scratch_load_dwordx2 v[60:61], v17, off
	ds_read_b64 v[62:63], v1
	s_waitcnt vmcnt(0) lgkmcnt(0)
	v_mul_f64 v[60:61], v[60:61], v[62:63]
	s_cbranch_execz .LBB27_8
	s_branch .LBB27_9
.LBB27_7:
                                        ; implicit-def: $vgpr60_vgpr61
.LBB27_8:
	ds_read_b64 v[60:61], v1
.LBB27_9:
	v_mov_b32_e32 v62, 0
	ds_read_b64 v[62:63], v62 offset:208
	s_waitcnt lgkmcnt(0)
	v_mul_f64 v[60:61], v[60:61], v[62:63]
	scratch_store_dwordx2 off, v[60:61], off offset:208
.LBB27_10:
	s_or_b64 exec, exec, s[2:3]
	scratch_load_dwordx2 v[60:61], off, off offset:200
	s_mov_b32 s10, 16
	s_mov_b32 s11, 32
	s_mov_b32 s12, 48
	s_mov_b32 s13, 64
	s_mov_b32 s14, s8
	s_mov_b32 s15, s9
	v_cmp_lt_u32_e64 s[2:3], 25, v0
	s_waitcnt vmcnt(0)
	ds_write_b64 v1, v[60:61]
	s_waitcnt lgkmcnt(0)
	; wave barrier
	s_and_saveexec_b64 s[4:5], s[2:3]
	s_cbranch_execz .LBB27_16
; %bb.11:
	s_andn2_b64 vcc, exec, s[6:7]
	s_cbranch_vccnz .LBB27_13
; %bb.12:
	scratch_load_dwordx2 v[60:61], v17, off
	ds_read_b64 v[62:63], v1
	s_waitcnt vmcnt(0) lgkmcnt(0)
	v_mul_f64 v[60:61], v[60:61], v[62:63]
	s_cbranch_execz .LBB27_14
	s_branch .LBB27_15
.LBB27_13:
                                        ; implicit-def: $vgpr60_vgpr61
.LBB27_14:
	ds_read_b64 v[60:61], v1
.LBB27_15:
	scratch_load_dwordx2 v[66:67], off, off offset:208
	v_mov_b32_e32 v62, 0
	ds_read2_b64 v[62:65], v62 offset0:25 offset1:54
	s_waitcnt vmcnt(0) lgkmcnt(0)
	v_fma_f64 v[64:65], v[66:67], v[64:65], v[60:61]
	v_cndmask_b32_e64 v61, v61, v65, s[0:1]
	v_cndmask_b32_e64 v60, v60, v64, s[0:1]
	v_mul_f64 v[60:61], v[60:61], v[62:63]
	scratch_store_dwordx2 off, v[60:61], off offset:200
.LBB27_16:
	s_or_b64 exec, exec, s[4:5]
	scratch_load_dwordx2 v[60:61], off, off offset:192
	v_cmp_lt_u32_e64 s[0:1], 24, v0
	s_waitcnt vmcnt(0)
	ds_write_b64 v1, v[60:61]
	s_waitcnt lgkmcnt(0)
	; wave barrier
	s_and_saveexec_b64 s[4:5], s[0:1]
	s_cbranch_execz .LBB27_26
; %bb.17:
	s_andn2_b64 vcc, exec, s[6:7]
	s_cbranch_vccnz .LBB27_19
; %bb.18:
	scratch_load_dwordx2 v[60:61], v17, off
	ds_read_b64 v[62:63], v1
	s_waitcnt vmcnt(0) lgkmcnt(0)
	v_mul_f64 v[60:61], v[60:61], v[62:63]
	s_cbranch_execz .LBB27_20
	s_branch .LBB27_21
.LBB27_19:
                                        ; implicit-def: $vgpr60_vgpr61
.LBB27_20:
	ds_read_b64 v[60:61], v1
.LBB27_21:
	s_and_saveexec_b64 s[8:9], s[2:3]
	s_cbranch_execz .LBB27_25
; %bb.22:
	s_movk_i32 s22, 0xc8
	v_subrev_u32_e32 v62, 25, v0
	s_movk_i32 s23, 0x1a8
	s_mov_b64 s[2:3], 0
.LBB27_23:                              ; =>This Inner Loop Header: Depth=1
	scratch_load_dwordx2 v[64:65], off, s22
	v_mov_b32_e32 v63, s23
	ds_read_b64 v[66:67], v63
	v_add_u32_e32 v62, -1, v62
	s_add_i32 s23, s23, 8
	s_add_i32 s22, s22, 8
	v_cmp_eq_u32_e32 vcc, 0, v62
	s_or_b64 s[2:3], vcc, s[2:3]
	s_waitcnt vmcnt(0) lgkmcnt(0)
	v_fmac_f64_e32 v[60:61], v[64:65], v[66:67]
	s_andn2_b64 exec, exec, s[2:3]
	s_cbranch_execnz .LBB27_23
; %bb.24:
	s_or_b64 exec, exec, s[2:3]
.LBB27_25:
	s_or_b64 exec, exec, s[8:9]
	v_mov_b32_e32 v62, 0
	ds_read_b64 v[62:63], v62 offset:192
	s_waitcnt lgkmcnt(0)
	v_mul_f64 v[60:61], v[60:61], v[62:63]
	scratch_store_dwordx2 off, v[60:61], off offset:192
.LBB27_26:
	s_or_b64 exec, exec, s[4:5]
	scratch_load_dwordx2 v[60:61], off, off offset:184
	v_cmp_lt_u32_e64 s[2:3], 23, v0
	s_waitcnt vmcnt(0)
	ds_write_b64 v1, v[60:61]
	s_waitcnt lgkmcnt(0)
	; wave barrier
	s_and_saveexec_b64 s[4:5], s[2:3]
	s_cbranch_execz .LBB27_36
; %bb.27:
	s_andn2_b64 vcc, exec, s[6:7]
	s_cbranch_vccnz .LBB27_29
; %bb.28:
	scratch_load_dwordx2 v[60:61], v17, off
	ds_read_b64 v[62:63], v1
	s_waitcnt vmcnt(0) lgkmcnt(0)
	v_mul_f64 v[60:61], v[60:61], v[62:63]
	s_cbranch_execz .LBB27_30
	s_branch .LBB27_31
.LBB27_29:
                                        ; implicit-def: $vgpr60_vgpr61
.LBB27_30:
	ds_read_b64 v[60:61], v1
.LBB27_31:
	s_and_saveexec_b64 s[8:9], s[0:1]
	s_cbranch_execz .LBB27_35
; %bb.32:
	v_subrev_u32_e32 v62, 24, v0
	s_movk_i32 s22, 0x1a0
	s_mov_b64 s[0:1], 0
.LBB27_33:                              ; =>This Inner Loop Header: Depth=1
	scratch_load_dwordx2 v[64:65], off, s21
	v_mov_b32_e32 v63, s22
	ds_read_b64 v[66:67], v63
	v_add_u32_e32 v62, -1, v62
	s_add_i32 s22, s22, 8
	s_add_i32 s21, s21, 8
	v_cmp_eq_u32_e32 vcc, 0, v62
	s_or_b64 s[0:1], vcc, s[0:1]
	s_waitcnt vmcnt(0) lgkmcnt(0)
	v_fmac_f64_e32 v[60:61], v[64:65], v[66:67]
	s_andn2_b64 exec, exec, s[0:1]
	s_cbranch_execnz .LBB27_33
; %bb.34:
	s_or_b64 exec, exec, s[0:1]
.LBB27_35:
	s_or_b64 exec, exec, s[8:9]
	v_mov_b32_e32 v62, 0
	ds_read_b64 v[62:63], v62 offset:184
	s_waitcnt lgkmcnt(0)
	v_mul_f64 v[60:61], v[60:61], v[62:63]
	scratch_store_dwordx2 off, v[60:61], off offset:184
.LBB27_36:
	s_or_b64 exec, exec, s[4:5]
	scratch_load_dwordx2 v[60:61], off, off offset:176
	v_cmp_lt_u32_e64 s[0:1], 22, v0
	s_waitcnt vmcnt(0)
	ds_write_b64 v1, v[60:61]
	s_waitcnt lgkmcnt(0)
	; wave barrier
	s_and_saveexec_b64 s[4:5], s[0:1]
	s_cbranch_execz .LBB27_46
; %bb.37:
	s_andn2_b64 vcc, exec, s[6:7]
	s_cbranch_vccnz .LBB27_39
; %bb.38:
	scratch_load_dwordx2 v[60:61], v17, off
	ds_read_b64 v[62:63], v1
	s_waitcnt vmcnt(0) lgkmcnt(0)
	v_mul_f64 v[60:61], v[60:61], v[62:63]
	s_cbranch_execz .LBB27_40
	s_branch .LBB27_41
.LBB27_39:
                                        ; implicit-def: $vgpr60_vgpr61
.LBB27_40:
	ds_read_b64 v[60:61], v1
.LBB27_41:
	s_and_saveexec_b64 s[8:9], s[2:3]
	s_cbranch_execz .LBB27_45
; %bb.42:
	s_movk_i32 s21, 0xb8
	v_subrev_u32_e32 v62, 23, v0
	s_movk_i32 s22, 0x198
	s_mov_b64 s[2:3], 0
.LBB27_43:                              ; =>This Inner Loop Header: Depth=1
	scratch_load_dwordx2 v[64:65], off, s21
	v_mov_b32_e32 v63, s22
	ds_read_b64 v[66:67], v63
	v_add_u32_e32 v62, -1, v62
	s_add_i32 s22, s22, 8
	s_add_i32 s21, s21, 8
	v_cmp_eq_u32_e32 vcc, 0, v62
	s_or_b64 s[2:3], vcc, s[2:3]
	s_waitcnt vmcnt(0) lgkmcnt(0)
	v_fmac_f64_e32 v[60:61], v[64:65], v[66:67]
	s_andn2_b64 exec, exec, s[2:3]
	s_cbranch_execnz .LBB27_43
; %bb.44:
	s_or_b64 exec, exec, s[2:3]
.LBB27_45:
	s_or_b64 exec, exec, s[8:9]
	v_mov_b32_e32 v62, 0
	ds_read_b64 v[62:63], v62 offset:176
	s_waitcnt lgkmcnt(0)
	v_mul_f64 v[60:61], v[60:61], v[62:63]
	scratch_store_dwordx2 off, v[60:61], off offset:176
.LBB27_46:
	s_or_b64 exec, exec, s[4:5]
	scratch_load_dwordx2 v[60:61], off, off offset:168
	v_cmp_lt_u32_e64 s[2:3], 21, v0
	s_waitcnt vmcnt(0)
	ds_write_b64 v1, v[60:61]
	s_waitcnt lgkmcnt(0)
	; wave barrier
	s_and_saveexec_b64 s[4:5], s[2:3]
	s_cbranch_execz .LBB27_56
; %bb.47:
	s_andn2_b64 vcc, exec, s[6:7]
	s_cbranch_vccnz .LBB27_49
; %bb.48:
	scratch_load_dwordx2 v[60:61], v17, off
	ds_read_b64 v[62:63], v1
	s_waitcnt vmcnt(0) lgkmcnt(0)
	v_mul_f64 v[60:61], v[60:61], v[62:63]
	s_cbranch_execz .LBB27_50
	s_branch .LBB27_51
.LBB27_49:
                                        ; implicit-def: $vgpr60_vgpr61
.LBB27_50:
	ds_read_b64 v[60:61], v1
.LBB27_51:
	s_and_saveexec_b64 s[8:9], s[0:1]
	s_cbranch_execz .LBB27_55
; %bb.52:
	v_subrev_u32_e32 v62, 22, v0
	s_movk_i32 s21, 0x190
	s_mov_b64 s[0:1], 0
.LBB27_53:                              ; =>This Inner Loop Header: Depth=1
	scratch_load_dwordx2 v[64:65], off, s20
	v_mov_b32_e32 v63, s21
	ds_read_b64 v[66:67], v63
	v_add_u32_e32 v62, -1, v62
	s_add_i32 s21, s21, 8
	s_add_i32 s20, s20, 8
	v_cmp_eq_u32_e32 vcc, 0, v62
	s_or_b64 s[0:1], vcc, s[0:1]
	s_waitcnt vmcnt(0) lgkmcnt(0)
	v_fmac_f64_e32 v[60:61], v[64:65], v[66:67]
	s_andn2_b64 exec, exec, s[0:1]
	s_cbranch_execnz .LBB27_53
; %bb.54:
	s_or_b64 exec, exec, s[0:1]
.LBB27_55:
	s_or_b64 exec, exec, s[8:9]
	v_mov_b32_e32 v62, 0
	ds_read_b64 v[62:63], v62 offset:168
	s_waitcnt lgkmcnt(0)
	v_mul_f64 v[60:61], v[60:61], v[62:63]
	scratch_store_dwordx2 off, v[60:61], off offset:168
.LBB27_56:
	s_or_b64 exec, exec, s[4:5]
	scratch_load_dwordx2 v[60:61], off, off offset:160
	v_cmp_lt_u32_e64 s[0:1], 20, v0
	s_waitcnt vmcnt(0)
	ds_write_b64 v1, v[60:61]
	s_waitcnt lgkmcnt(0)
	; wave barrier
	s_and_saveexec_b64 s[4:5], s[0:1]
	s_cbranch_execz .LBB27_66
; %bb.57:
	s_andn2_b64 vcc, exec, s[6:7]
	s_cbranch_vccnz .LBB27_59
; %bb.58:
	scratch_load_dwordx2 v[60:61], v17, off
	ds_read_b64 v[62:63], v1
	s_waitcnt vmcnt(0) lgkmcnt(0)
	v_mul_f64 v[60:61], v[60:61], v[62:63]
	s_cbranch_execz .LBB27_60
	s_branch .LBB27_61
.LBB27_59:
                                        ; implicit-def: $vgpr60_vgpr61
.LBB27_60:
	ds_read_b64 v[60:61], v1
.LBB27_61:
	s_and_saveexec_b64 s[8:9], s[2:3]
	s_cbranch_execz .LBB27_65
; %bb.62:
	s_movk_i32 s20, 0xa8
	v_subrev_u32_e32 v62, 21, v0
	s_movk_i32 s21, 0x188
	s_mov_b64 s[2:3], 0
.LBB27_63:                              ; =>This Inner Loop Header: Depth=1
	scratch_load_dwordx2 v[64:65], off, s20
	v_mov_b32_e32 v63, s21
	ds_read_b64 v[66:67], v63
	v_add_u32_e32 v62, -1, v62
	s_add_i32 s21, s21, 8
	s_add_i32 s20, s20, 8
	v_cmp_eq_u32_e32 vcc, 0, v62
	s_or_b64 s[2:3], vcc, s[2:3]
	s_waitcnt vmcnt(0) lgkmcnt(0)
	v_fmac_f64_e32 v[60:61], v[64:65], v[66:67]
	s_andn2_b64 exec, exec, s[2:3]
	s_cbranch_execnz .LBB27_63
; %bb.64:
	s_or_b64 exec, exec, s[2:3]
.LBB27_65:
	s_or_b64 exec, exec, s[8:9]
	v_mov_b32_e32 v62, 0
	ds_read_b64 v[62:63], v62 offset:160
	s_waitcnt lgkmcnt(0)
	v_mul_f64 v[60:61], v[60:61], v[62:63]
	scratch_store_dwordx2 off, v[60:61], off offset:160
.LBB27_66:
	s_or_b64 exec, exec, s[4:5]
	scratch_load_dwordx2 v[60:61], off, off offset:152
	v_cmp_lt_u32_e64 s[2:3], 19, v0
	s_waitcnt vmcnt(0)
	ds_write_b64 v1, v[60:61]
	s_waitcnt lgkmcnt(0)
	; wave barrier
	s_and_saveexec_b64 s[4:5], s[2:3]
	s_cbranch_execz .LBB27_76
; %bb.67:
	s_andn2_b64 vcc, exec, s[6:7]
	s_cbranch_vccnz .LBB27_69
; %bb.68:
	scratch_load_dwordx2 v[60:61], v17, off
	ds_read_b64 v[62:63], v1
	s_waitcnt vmcnt(0) lgkmcnt(0)
	v_mul_f64 v[60:61], v[60:61], v[62:63]
	s_cbranch_execz .LBB27_70
	s_branch .LBB27_71
.LBB27_69:
                                        ; implicit-def: $vgpr60_vgpr61
.LBB27_70:
	ds_read_b64 v[60:61], v1
.LBB27_71:
	s_and_saveexec_b64 s[8:9], s[0:1]
	s_cbranch_execz .LBB27_75
; %bb.72:
	v_subrev_u32_e32 v62, 20, v0
	s_movk_i32 s20, 0x180
	s_mov_b64 s[0:1], 0
.LBB27_73:                              ; =>This Inner Loop Header: Depth=1
	scratch_load_dwordx2 v[64:65], off, s19
	v_mov_b32_e32 v63, s20
	ds_read_b64 v[66:67], v63
	v_add_u32_e32 v62, -1, v62
	s_add_i32 s20, s20, 8
	s_add_i32 s19, s19, 8
	v_cmp_eq_u32_e32 vcc, 0, v62
	s_or_b64 s[0:1], vcc, s[0:1]
	s_waitcnt vmcnt(0) lgkmcnt(0)
	v_fmac_f64_e32 v[60:61], v[64:65], v[66:67]
	s_andn2_b64 exec, exec, s[0:1]
	s_cbranch_execnz .LBB27_73
; %bb.74:
	s_or_b64 exec, exec, s[0:1]
.LBB27_75:
	s_or_b64 exec, exec, s[8:9]
	v_mov_b32_e32 v62, 0
	ds_read_b64 v[62:63], v62 offset:152
	s_waitcnt lgkmcnt(0)
	v_mul_f64 v[60:61], v[60:61], v[62:63]
	scratch_store_dwordx2 off, v[60:61], off offset:152
.LBB27_76:
	s_or_b64 exec, exec, s[4:5]
	scratch_load_dwordx2 v[60:61], off, off offset:144
	v_cmp_lt_u32_e64 s[0:1], 18, v0
	s_waitcnt vmcnt(0)
	ds_write_b64 v1, v[60:61]
	s_waitcnt lgkmcnt(0)
	; wave barrier
	s_and_saveexec_b64 s[4:5], s[0:1]
	s_cbranch_execz .LBB27_86
; %bb.77:
	s_andn2_b64 vcc, exec, s[6:7]
	s_cbranch_vccnz .LBB27_79
; %bb.78:
	scratch_load_dwordx2 v[60:61], v17, off
	ds_read_b64 v[62:63], v1
	s_waitcnt vmcnt(0) lgkmcnt(0)
	v_mul_f64 v[60:61], v[60:61], v[62:63]
	s_cbranch_execz .LBB27_80
	s_branch .LBB27_81
.LBB27_79:
                                        ; implicit-def: $vgpr60_vgpr61
.LBB27_80:
	ds_read_b64 v[60:61], v1
.LBB27_81:
	s_and_saveexec_b64 s[8:9], s[2:3]
	s_cbranch_execz .LBB27_85
; %bb.82:
	s_movk_i32 s19, 0x98
	v_subrev_u32_e32 v62, 19, v0
	s_movk_i32 s20, 0x178
	s_mov_b64 s[2:3], 0
.LBB27_83:                              ; =>This Inner Loop Header: Depth=1
	scratch_load_dwordx2 v[64:65], off, s19
	v_mov_b32_e32 v63, s20
	ds_read_b64 v[66:67], v63
	v_add_u32_e32 v62, -1, v62
	s_add_i32 s20, s20, 8
	s_add_i32 s19, s19, 8
	v_cmp_eq_u32_e32 vcc, 0, v62
	s_or_b64 s[2:3], vcc, s[2:3]
	s_waitcnt vmcnt(0) lgkmcnt(0)
	v_fmac_f64_e32 v[60:61], v[64:65], v[66:67]
	s_andn2_b64 exec, exec, s[2:3]
	s_cbranch_execnz .LBB27_83
; %bb.84:
	s_or_b64 exec, exec, s[2:3]
.LBB27_85:
	s_or_b64 exec, exec, s[8:9]
	v_mov_b32_e32 v62, 0
	ds_read_b64 v[62:63], v62 offset:144
	s_waitcnt lgkmcnt(0)
	v_mul_f64 v[60:61], v[60:61], v[62:63]
	scratch_store_dwordx2 off, v[60:61], off offset:144
.LBB27_86:
	s_or_b64 exec, exec, s[4:5]
	scratch_load_dwordx2 v[60:61], off, off offset:136
	v_cmp_lt_u32_e64 s[2:3], 17, v0
	s_waitcnt vmcnt(0)
	ds_write_b64 v1, v[60:61]
	s_waitcnt lgkmcnt(0)
	; wave barrier
	s_and_saveexec_b64 s[4:5], s[2:3]
	s_cbranch_execz .LBB27_96
; %bb.87:
	s_andn2_b64 vcc, exec, s[6:7]
	s_cbranch_vccnz .LBB27_89
; %bb.88:
	scratch_load_dwordx2 v[60:61], v17, off
	ds_read_b64 v[62:63], v1
	s_waitcnt vmcnt(0) lgkmcnt(0)
	v_mul_f64 v[60:61], v[60:61], v[62:63]
	s_cbranch_execz .LBB27_90
	s_branch .LBB27_91
.LBB27_89:
                                        ; implicit-def: $vgpr60_vgpr61
.LBB27_90:
	ds_read_b64 v[60:61], v1
.LBB27_91:
	s_and_saveexec_b64 s[8:9], s[0:1]
	s_cbranch_execz .LBB27_95
; %bb.92:
	v_subrev_u32_e32 v62, 18, v0
	s_movk_i32 s19, 0x170
	s_mov_b64 s[0:1], 0
.LBB27_93:                              ; =>This Inner Loop Header: Depth=1
	scratch_load_dwordx2 v[64:65], off, s18
	v_mov_b32_e32 v63, s19
	ds_read_b64 v[66:67], v63
	v_add_u32_e32 v62, -1, v62
	s_add_i32 s19, s19, 8
	s_add_i32 s18, s18, 8
	v_cmp_eq_u32_e32 vcc, 0, v62
	s_or_b64 s[0:1], vcc, s[0:1]
	s_waitcnt vmcnt(0) lgkmcnt(0)
	v_fmac_f64_e32 v[60:61], v[64:65], v[66:67]
	s_andn2_b64 exec, exec, s[0:1]
	s_cbranch_execnz .LBB27_93
; %bb.94:
	s_or_b64 exec, exec, s[0:1]
.LBB27_95:
	s_or_b64 exec, exec, s[8:9]
	v_mov_b32_e32 v62, 0
	ds_read_b64 v[62:63], v62 offset:136
	s_waitcnt lgkmcnt(0)
	v_mul_f64 v[60:61], v[60:61], v[62:63]
	scratch_store_dwordx2 off, v[60:61], off offset:136
.LBB27_96:
	s_or_b64 exec, exec, s[4:5]
	scratch_load_dwordx2 v[60:61], off, off offset:128
	v_cmp_lt_u32_e64 s[0:1], 16, v0
	s_waitcnt vmcnt(0)
	ds_write_b64 v1, v[60:61]
	s_waitcnt lgkmcnt(0)
	; wave barrier
	s_and_saveexec_b64 s[4:5], s[0:1]
	s_cbranch_execz .LBB27_106
; %bb.97:
	s_andn2_b64 vcc, exec, s[6:7]
	s_cbranch_vccnz .LBB27_99
; %bb.98:
	scratch_load_dwordx2 v[60:61], v17, off
	ds_read_b64 v[62:63], v1
	s_waitcnt vmcnt(0) lgkmcnt(0)
	v_mul_f64 v[60:61], v[60:61], v[62:63]
	s_cbranch_execz .LBB27_100
	s_branch .LBB27_101
.LBB27_99:
                                        ; implicit-def: $vgpr60_vgpr61
.LBB27_100:
	ds_read_b64 v[60:61], v1
.LBB27_101:
	s_and_saveexec_b64 s[8:9], s[2:3]
	s_cbranch_execz .LBB27_105
; %bb.102:
	s_movk_i32 s18, 0x88
	v_subrev_u32_e32 v62, 17, v0
	s_movk_i32 s19, 0x168
	s_mov_b64 s[2:3], 0
.LBB27_103:                             ; =>This Inner Loop Header: Depth=1
	scratch_load_dwordx2 v[64:65], off, s18
	v_mov_b32_e32 v63, s19
	ds_read_b64 v[66:67], v63
	v_add_u32_e32 v62, -1, v62
	s_add_i32 s19, s19, 8
	s_add_i32 s18, s18, 8
	v_cmp_eq_u32_e32 vcc, 0, v62
	s_or_b64 s[2:3], vcc, s[2:3]
	s_waitcnt vmcnt(0) lgkmcnt(0)
	v_fmac_f64_e32 v[60:61], v[64:65], v[66:67]
	s_andn2_b64 exec, exec, s[2:3]
	s_cbranch_execnz .LBB27_103
; %bb.104:
	s_or_b64 exec, exec, s[2:3]
.LBB27_105:
	s_or_b64 exec, exec, s[8:9]
	v_mov_b32_e32 v62, 0
	ds_read_b64 v[62:63], v62 offset:128
	s_waitcnt lgkmcnt(0)
	v_mul_f64 v[60:61], v[60:61], v[62:63]
	scratch_store_dwordx2 off, v[60:61], off offset:128
.LBB27_106:
	s_or_b64 exec, exec, s[4:5]
	scratch_load_dwordx2 v[60:61], off, off offset:120
	v_cmp_lt_u32_e64 s[2:3], 15, v0
	s_waitcnt vmcnt(0)
	ds_write_b64 v1, v[60:61]
	s_waitcnt lgkmcnt(0)
	; wave barrier
	s_and_saveexec_b64 s[4:5], s[2:3]
	s_cbranch_execz .LBB27_116
; %bb.107:
	s_andn2_b64 vcc, exec, s[6:7]
	s_cbranch_vccnz .LBB27_109
; %bb.108:
	scratch_load_dwordx2 v[60:61], v17, off
	ds_read_b64 v[62:63], v1
	s_waitcnt vmcnt(0) lgkmcnt(0)
	v_mul_f64 v[60:61], v[60:61], v[62:63]
	s_cbranch_execz .LBB27_110
	s_branch .LBB27_111
.LBB27_109:
                                        ; implicit-def: $vgpr60_vgpr61
.LBB27_110:
	ds_read_b64 v[60:61], v1
.LBB27_111:
	s_and_saveexec_b64 s[8:9], s[0:1]
	s_cbranch_execz .LBB27_115
; %bb.112:
	v_add_u32_e32 v62, -16, v0
	s_movk_i32 s18, 0x160
	s_mov_b64 s[0:1], 0
.LBB27_113:                             ; =>This Inner Loop Header: Depth=1
	scratch_load_dwordx2 v[64:65], off, s17
	v_mov_b32_e32 v63, s18
	ds_read_b64 v[66:67], v63
	v_add_u32_e32 v62, -1, v62
	s_add_i32 s18, s18, 8
	s_add_i32 s17, s17, 8
	v_cmp_eq_u32_e32 vcc, 0, v62
	s_or_b64 s[0:1], vcc, s[0:1]
	s_waitcnt vmcnt(0) lgkmcnt(0)
	v_fmac_f64_e32 v[60:61], v[64:65], v[66:67]
	s_andn2_b64 exec, exec, s[0:1]
	s_cbranch_execnz .LBB27_113
; %bb.114:
	s_or_b64 exec, exec, s[0:1]
.LBB27_115:
	s_or_b64 exec, exec, s[8:9]
	v_mov_b32_e32 v62, 0
	ds_read_b64 v[62:63], v62 offset:120
	s_waitcnt lgkmcnt(0)
	v_mul_f64 v[60:61], v[60:61], v[62:63]
	scratch_store_dwordx2 off, v[60:61], off offset:120
.LBB27_116:
	s_or_b64 exec, exec, s[4:5]
	scratch_load_dwordx2 v[60:61], off, off offset:112
	v_cmp_lt_u32_e64 s[0:1], 14, v0
	s_waitcnt vmcnt(0)
	ds_write_b64 v1, v[60:61]
	s_waitcnt lgkmcnt(0)
	; wave barrier
	s_and_saveexec_b64 s[4:5], s[0:1]
	s_cbranch_execz .LBB27_126
; %bb.117:
	s_andn2_b64 vcc, exec, s[6:7]
	s_cbranch_vccnz .LBB27_119
; %bb.118:
	scratch_load_dwordx2 v[60:61], v17, off
	ds_read_b64 v[62:63], v1
	s_waitcnt vmcnt(0) lgkmcnt(0)
	v_mul_f64 v[60:61], v[60:61], v[62:63]
	s_cbranch_execz .LBB27_120
	s_branch .LBB27_121
.LBB27_119:
                                        ; implicit-def: $vgpr60_vgpr61
.LBB27_120:
	ds_read_b64 v[60:61], v1
.LBB27_121:
	s_and_saveexec_b64 s[8:9], s[2:3]
	s_cbranch_execz .LBB27_125
; %bb.122:
	s_movk_i32 s17, 0x78
	v_add_u32_e32 v62, -15, v0
	s_movk_i32 s18, 0x158
	s_mov_b64 s[2:3], 0
.LBB27_123:                             ; =>This Inner Loop Header: Depth=1
	scratch_load_dwordx2 v[64:65], off, s17
	v_mov_b32_e32 v63, s18
	ds_read_b64 v[66:67], v63
	v_add_u32_e32 v62, -1, v62
	s_add_i32 s18, s18, 8
	s_add_i32 s17, s17, 8
	v_cmp_eq_u32_e32 vcc, 0, v62
	s_or_b64 s[2:3], vcc, s[2:3]
	s_waitcnt vmcnt(0) lgkmcnt(0)
	v_fmac_f64_e32 v[60:61], v[64:65], v[66:67]
	s_andn2_b64 exec, exec, s[2:3]
	s_cbranch_execnz .LBB27_123
; %bb.124:
	s_or_b64 exec, exec, s[2:3]
.LBB27_125:
	s_or_b64 exec, exec, s[8:9]
	v_mov_b32_e32 v62, 0
	ds_read_b64 v[62:63], v62 offset:112
	s_waitcnt lgkmcnt(0)
	v_mul_f64 v[60:61], v[60:61], v[62:63]
	scratch_store_dwordx2 off, v[60:61], off offset:112
.LBB27_126:
	s_or_b64 exec, exec, s[4:5]
	scratch_load_dwordx2 v[60:61], off, off offset:104
	v_cmp_lt_u32_e64 s[2:3], 13, v0
	s_waitcnt vmcnt(0)
	ds_write_b64 v1, v[60:61]
	s_waitcnt lgkmcnt(0)
	; wave barrier
	s_and_saveexec_b64 s[4:5], s[2:3]
	s_cbranch_execz .LBB27_136
; %bb.127:
	s_andn2_b64 vcc, exec, s[6:7]
	s_cbranch_vccnz .LBB27_129
; %bb.128:
	scratch_load_dwordx2 v[60:61], v17, off
	ds_read_b64 v[62:63], v1
	s_waitcnt vmcnt(0) lgkmcnt(0)
	v_mul_f64 v[60:61], v[60:61], v[62:63]
	s_cbranch_execz .LBB27_130
	s_branch .LBB27_131
.LBB27_129:
                                        ; implicit-def: $vgpr60_vgpr61
.LBB27_130:
	ds_read_b64 v[60:61], v1
.LBB27_131:
	s_and_saveexec_b64 s[8:9], s[0:1]
	s_cbranch_execz .LBB27_135
; %bb.132:
	v_add_u32_e32 v62, -14, v0
	s_movk_i32 s17, 0x150
	s_mov_b64 s[0:1], 0
.LBB27_133:                             ; =>This Inner Loop Header: Depth=1
	scratch_load_dwordx2 v[64:65], off, s16
	v_mov_b32_e32 v63, s17
	ds_read_b64 v[66:67], v63
	v_add_u32_e32 v62, -1, v62
	s_add_i32 s17, s17, 8
	s_add_i32 s16, s16, 8
	v_cmp_eq_u32_e32 vcc, 0, v62
	s_or_b64 s[0:1], vcc, s[0:1]
	s_waitcnt vmcnt(0) lgkmcnt(0)
	v_fmac_f64_e32 v[60:61], v[64:65], v[66:67]
	s_andn2_b64 exec, exec, s[0:1]
	s_cbranch_execnz .LBB27_133
; %bb.134:
	s_or_b64 exec, exec, s[0:1]
.LBB27_135:
	s_or_b64 exec, exec, s[8:9]
	v_mov_b32_e32 v62, 0
	ds_read_b64 v[62:63], v62 offset:104
	s_waitcnt lgkmcnt(0)
	v_mul_f64 v[60:61], v[60:61], v[62:63]
	scratch_store_dwordx2 off, v[60:61], off offset:104
.LBB27_136:
	s_or_b64 exec, exec, s[4:5]
	scratch_load_dwordx2 v[60:61], off, off offset:96
	v_cmp_lt_u32_e64 s[0:1], 12, v0
	s_waitcnt vmcnt(0)
	ds_write_b64 v1, v[60:61]
	s_waitcnt lgkmcnt(0)
	; wave barrier
	s_and_saveexec_b64 s[4:5], s[0:1]
	s_cbranch_execz .LBB27_146
; %bb.137:
	s_andn2_b64 vcc, exec, s[6:7]
	s_cbranch_vccnz .LBB27_139
; %bb.138:
	scratch_load_dwordx2 v[60:61], v17, off
	ds_read_b64 v[62:63], v1
	s_waitcnt vmcnt(0) lgkmcnt(0)
	v_mul_f64 v[60:61], v[60:61], v[62:63]
	s_cbranch_execz .LBB27_140
	s_branch .LBB27_141
.LBB27_139:
                                        ; implicit-def: $vgpr60_vgpr61
.LBB27_140:
	ds_read_b64 v[60:61], v1
.LBB27_141:
	s_and_saveexec_b64 s[8:9], s[2:3]
	s_cbranch_execz .LBB27_145
; %bb.142:
	s_movk_i32 s16, 0x68
	v_add_u32_e32 v62, -13, v0
	s_movk_i32 s17, 0x148
	s_mov_b64 s[2:3], 0
.LBB27_143:                             ; =>This Inner Loop Header: Depth=1
	scratch_load_dwordx2 v[64:65], off, s16
	v_mov_b32_e32 v63, s17
	ds_read_b64 v[66:67], v63
	v_add_u32_e32 v62, -1, v62
	s_add_i32 s17, s17, 8
	s_add_i32 s16, s16, 8
	v_cmp_eq_u32_e32 vcc, 0, v62
	s_or_b64 s[2:3], vcc, s[2:3]
	s_waitcnt vmcnt(0) lgkmcnt(0)
	v_fmac_f64_e32 v[60:61], v[64:65], v[66:67]
	s_andn2_b64 exec, exec, s[2:3]
	s_cbranch_execnz .LBB27_143
; %bb.144:
	s_or_b64 exec, exec, s[2:3]
.LBB27_145:
	s_or_b64 exec, exec, s[8:9]
	v_mov_b32_e32 v62, 0
	ds_read_b64 v[62:63], v62 offset:96
	s_waitcnt lgkmcnt(0)
	v_mul_f64 v[60:61], v[60:61], v[62:63]
	scratch_store_dwordx2 off, v[60:61], off offset:96
.LBB27_146:
	s_or_b64 exec, exec, s[4:5]
	scratch_load_dwordx2 v[60:61], off, off offset:88
	v_cmp_lt_u32_e64 s[2:3], 11, v0
	s_waitcnt vmcnt(0)
	ds_write_b64 v1, v[60:61]
	s_waitcnt lgkmcnt(0)
	; wave barrier
	s_and_saveexec_b64 s[4:5], s[2:3]
	s_cbranch_execz .LBB27_156
; %bb.147:
	s_andn2_b64 vcc, exec, s[6:7]
	s_cbranch_vccnz .LBB27_149
; %bb.148:
	scratch_load_dwordx2 v[60:61], v17, off
	ds_read_b64 v[62:63], v1
	s_waitcnt vmcnt(0) lgkmcnt(0)
	v_mul_f64 v[60:61], v[60:61], v[62:63]
	s_cbranch_execz .LBB27_150
	s_branch .LBB27_151
.LBB27_149:
                                        ; implicit-def: $vgpr60_vgpr61
.LBB27_150:
	ds_read_b64 v[60:61], v1
.LBB27_151:
	s_and_saveexec_b64 s[8:9], s[0:1]
	s_cbranch_execz .LBB27_155
; %bb.152:
	v_add_u32_e32 v62, -12, v0
	s_movk_i32 s16, 0x140
	s_mov_b64 s[0:1], 0
.LBB27_153:                             ; =>This Inner Loop Header: Depth=1
	scratch_load_dwordx2 v[64:65], off, s15
	v_mov_b32_e32 v63, s16
	ds_read_b64 v[66:67], v63
	v_add_u32_e32 v62, -1, v62
	s_add_i32 s16, s16, 8
	s_add_i32 s15, s15, 8
	v_cmp_eq_u32_e32 vcc, 0, v62
	s_or_b64 s[0:1], vcc, s[0:1]
	s_waitcnt vmcnt(0) lgkmcnt(0)
	v_fmac_f64_e32 v[60:61], v[64:65], v[66:67]
	s_andn2_b64 exec, exec, s[0:1]
	s_cbranch_execnz .LBB27_153
; %bb.154:
	s_or_b64 exec, exec, s[0:1]
.LBB27_155:
	s_or_b64 exec, exec, s[8:9]
	v_mov_b32_e32 v62, 0
	ds_read_b64 v[62:63], v62 offset:88
	s_waitcnt lgkmcnt(0)
	v_mul_f64 v[60:61], v[60:61], v[62:63]
	scratch_store_dwordx2 off, v[60:61], off offset:88
.LBB27_156:
	s_or_b64 exec, exec, s[4:5]
	scratch_load_dwordx2 v[60:61], off, off offset:80
	v_cmp_lt_u32_e64 s[0:1], 10, v0
	s_waitcnt vmcnt(0)
	ds_write_b64 v1, v[60:61]
	s_waitcnt lgkmcnt(0)
	; wave barrier
	s_and_saveexec_b64 s[4:5], s[0:1]
	s_cbranch_execz .LBB27_166
; %bb.157:
	s_andn2_b64 vcc, exec, s[6:7]
	s_cbranch_vccnz .LBB27_159
; %bb.158:
	scratch_load_dwordx2 v[60:61], v17, off
	ds_read_b64 v[62:63], v1
	s_waitcnt vmcnt(0) lgkmcnt(0)
	v_mul_f64 v[60:61], v[60:61], v[62:63]
	s_cbranch_execz .LBB27_160
	s_branch .LBB27_161
.LBB27_159:
                                        ; implicit-def: $vgpr60_vgpr61
.LBB27_160:
	ds_read_b64 v[60:61], v1
.LBB27_161:
	s_and_saveexec_b64 s[8:9], s[2:3]
	s_cbranch_execz .LBB27_165
; %bb.162:
	s_movk_i32 s15, 0x58
	v_add_u32_e32 v62, -11, v0
	s_movk_i32 s16, 0x138
	s_mov_b64 s[2:3], 0
.LBB27_163:                             ; =>This Inner Loop Header: Depth=1
	scratch_load_dwordx2 v[64:65], off, s15
	v_mov_b32_e32 v63, s16
	ds_read_b64 v[66:67], v63
	v_add_u32_e32 v62, -1, v62
	s_add_i32 s16, s16, 8
	s_add_i32 s15, s15, 8
	v_cmp_eq_u32_e32 vcc, 0, v62
	s_or_b64 s[2:3], vcc, s[2:3]
	s_waitcnt vmcnt(0) lgkmcnt(0)
	v_fmac_f64_e32 v[60:61], v[64:65], v[66:67]
	s_andn2_b64 exec, exec, s[2:3]
	s_cbranch_execnz .LBB27_163
; %bb.164:
	s_or_b64 exec, exec, s[2:3]
.LBB27_165:
	s_or_b64 exec, exec, s[8:9]
	v_mov_b32_e32 v62, 0
	ds_read_b64 v[62:63], v62 offset:80
	s_waitcnt lgkmcnt(0)
	v_mul_f64 v[60:61], v[60:61], v[62:63]
	scratch_store_dwordx2 off, v[60:61], off offset:80
.LBB27_166:
	s_or_b64 exec, exec, s[4:5]
	scratch_load_dwordx2 v[60:61], off, off offset:72
	v_cmp_lt_u32_e64 s[2:3], 9, v0
	s_waitcnt vmcnt(0)
	ds_write_b64 v1, v[60:61]
	s_waitcnt lgkmcnt(0)
	; wave barrier
	s_and_saveexec_b64 s[4:5], s[2:3]
	s_cbranch_execz .LBB27_176
; %bb.167:
	s_andn2_b64 vcc, exec, s[6:7]
	s_cbranch_vccnz .LBB27_169
; %bb.168:
	scratch_load_dwordx2 v[60:61], v17, off
	ds_read_b64 v[62:63], v1
	s_waitcnt vmcnt(0) lgkmcnt(0)
	v_mul_f64 v[60:61], v[60:61], v[62:63]
	s_cbranch_execz .LBB27_170
	s_branch .LBB27_171
.LBB27_169:
                                        ; implicit-def: $vgpr60_vgpr61
.LBB27_170:
	ds_read_b64 v[60:61], v1
.LBB27_171:
	s_and_saveexec_b64 s[8:9], s[0:1]
	s_cbranch_execz .LBB27_175
; %bb.172:
	v_add_u32_e32 v62, -10, v0
	s_movk_i32 s15, 0x130
	s_mov_b64 s[0:1], 0
.LBB27_173:                             ; =>This Inner Loop Header: Depth=1
	scratch_load_dwordx2 v[64:65], off, s14
	v_mov_b32_e32 v63, s15
	ds_read_b64 v[66:67], v63
	v_add_u32_e32 v62, -1, v62
	s_add_i32 s15, s15, 8
	s_add_i32 s14, s14, 8
	v_cmp_eq_u32_e32 vcc, 0, v62
	s_or_b64 s[0:1], vcc, s[0:1]
	s_waitcnt vmcnt(0) lgkmcnt(0)
	v_fmac_f64_e32 v[60:61], v[64:65], v[66:67]
	s_andn2_b64 exec, exec, s[0:1]
	s_cbranch_execnz .LBB27_173
; %bb.174:
	s_or_b64 exec, exec, s[0:1]
.LBB27_175:
	s_or_b64 exec, exec, s[8:9]
	v_mov_b32_e32 v62, 0
	ds_read_b64 v[62:63], v62 offset:72
	s_waitcnt lgkmcnt(0)
	v_mul_f64 v[60:61], v[60:61], v[62:63]
	scratch_store_dwordx2 off, v[60:61], off offset:72
.LBB27_176:
	s_or_b64 exec, exec, s[4:5]
	scratch_load_dwordx2 v[60:61], off, off offset:64
	v_cmp_lt_u32_e64 s[0:1], 8, v0
	s_waitcnt vmcnt(0)
	ds_write_b64 v1, v[60:61]
	s_waitcnt lgkmcnt(0)
	; wave barrier
	s_and_saveexec_b64 s[4:5], s[0:1]
	s_cbranch_execz .LBB27_186
; %bb.177:
	s_andn2_b64 vcc, exec, s[6:7]
	s_cbranch_vccnz .LBB27_179
; %bb.178:
	scratch_load_dwordx2 v[60:61], v17, off
	ds_read_b64 v[62:63], v1
	s_waitcnt vmcnt(0) lgkmcnt(0)
	v_mul_f64 v[60:61], v[60:61], v[62:63]
	s_cbranch_execz .LBB27_180
	s_branch .LBB27_181
.LBB27_179:
                                        ; implicit-def: $vgpr60_vgpr61
.LBB27_180:
	ds_read_b64 v[60:61], v1
.LBB27_181:
	s_and_saveexec_b64 s[8:9], s[2:3]
	s_cbranch_execz .LBB27_185
; %bb.182:
	s_movk_i32 s14, 0x48
	v_add_u32_e32 v62, -9, v0
	s_movk_i32 s15, 0x128
	s_mov_b64 s[2:3], 0
.LBB27_183:                             ; =>This Inner Loop Header: Depth=1
	scratch_load_dwordx2 v[64:65], off, s14
	v_mov_b32_e32 v63, s15
	ds_read_b64 v[66:67], v63
	v_add_u32_e32 v62, -1, v62
	s_add_i32 s15, s15, 8
	s_add_i32 s14, s14, 8
	v_cmp_eq_u32_e32 vcc, 0, v62
	s_or_b64 s[2:3], vcc, s[2:3]
	s_waitcnt vmcnt(0) lgkmcnt(0)
	v_fmac_f64_e32 v[60:61], v[64:65], v[66:67]
	s_andn2_b64 exec, exec, s[2:3]
	s_cbranch_execnz .LBB27_183
; %bb.184:
	s_or_b64 exec, exec, s[2:3]
.LBB27_185:
	s_or_b64 exec, exec, s[8:9]
	v_mov_b32_e32 v62, 0
	ds_read_b64 v[62:63], v62 offset:64
	s_waitcnt lgkmcnt(0)
	v_mul_f64 v[60:61], v[60:61], v[62:63]
	scratch_store_dwordx2 off, v[60:61], off offset:64
.LBB27_186:
	s_or_b64 exec, exec, s[4:5]
	scratch_load_dwordx2 v[60:61], off, off offset:56
	v_cmp_lt_u32_e64 s[2:3], 7, v0
	s_waitcnt vmcnt(0)
	ds_write_b64 v1, v[60:61]
	s_waitcnt lgkmcnt(0)
	; wave barrier
	s_and_saveexec_b64 s[4:5], s[2:3]
	s_cbranch_execz .LBB27_196
; %bb.187:
	s_andn2_b64 vcc, exec, s[6:7]
	s_cbranch_vccnz .LBB27_189
; %bb.188:
	scratch_load_dwordx2 v[60:61], v17, off
	ds_read_b64 v[62:63], v1
	s_waitcnt vmcnt(0) lgkmcnt(0)
	v_mul_f64 v[60:61], v[60:61], v[62:63]
	s_cbranch_execz .LBB27_190
	s_branch .LBB27_191
.LBB27_189:
                                        ; implicit-def: $vgpr60_vgpr61
.LBB27_190:
	ds_read_b64 v[60:61], v1
.LBB27_191:
	s_and_saveexec_b64 s[8:9], s[0:1]
	s_cbranch_execz .LBB27_195
; %bb.192:
	v_add_u32_e32 v62, -8, v0
	s_movk_i32 s14, 0x120
	s_mov_b64 s[0:1], 0
.LBB27_193:                             ; =>This Inner Loop Header: Depth=1
	scratch_load_dwordx2 v[64:65], off, s13
	v_mov_b32_e32 v63, s14
	ds_read_b64 v[66:67], v63
	v_add_u32_e32 v62, -1, v62
	s_add_i32 s14, s14, 8
	s_add_i32 s13, s13, 8
	v_cmp_eq_u32_e32 vcc, 0, v62
	s_or_b64 s[0:1], vcc, s[0:1]
	s_waitcnt vmcnt(0) lgkmcnt(0)
	v_fmac_f64_e32 v[60:61], v[64:65], v[66:67]
	s_andn2_b64 exec, exec, s[0:1]
	s_cbranch_execnz .LBB27_193
; %bb.194:
	s_or_b64 exec, exec, s[0:1]
.LBB27_195:
	s_or_b64 exec, exec, s[8:9]
	v_mov_b32_e32 v62, 0
	ds_read_b64 v[62:63], v62 offset:56
	s_waitcnt lgkmcnt(0)
	v_mul_f64 v[60:61], v[60:61], v[62:63]
	scratch_store_dwordx2 off, v[60:61], off offset:56
.LBB27_196:
	s_or_b64 exec, exec, s[4:5]
	scratch_load_dwordx2 v[60:61], off, off offset:48
	v_cmp_lt_u32_e64 s[0:1], 6, v0
	s_waitcnt vmcnt(0)
	ds_write_b64 v1, v[60:61]
	s_waitcnt lgkmcnt(0)
	; wave barrier
	s_and_saveexec_b64 s[4:5], s[0:1]
	s_cbranch_execz .LBB27_206
; %bb.197:
	s_andn2_b64 vcc, exec, s[6:7]
	s_cbranch_vccnz .LBB27_199
; %bb.198:
	scratch_load_dwordx2 v[60:61], v17, off
	ds_read_b64 v[62:63], v1
	s_waitcnt vmcnt(0) lgkmcnt(0)
	v_mul_f64 v[60:61], v[60:61], v[62:63]
	s_cbranch_execz .LBB27_200
	s_branch .LBB27_201
.LBB27_199:
                                        ; implicit-def: $vgpr60_vgpr61
.LBB27_200:
	ds_read_b64 v[60:61], v1
.LBB27_201:
	s_and_saveexec_b64 s[8:9], s[2:3]
	s_cbranch_execz .LBB27_205
; %bb.202:
	s_mov_b32 s13, 56
	v_add_u32_e32 v62, -7, v0
	s_movk_i32 s14, 0x118
	s_mov_b64 s[2:3], 0
.LBB27_203:                             ; =>This Inner Loop Header: Depth=1
	scratch_load_dwordx2 v[64:65], off, s13
	v_mov_b32_e32 v63, s14
	ds_read_b64 v[66:67], v63
	v_add_u32_e32 v62, -1, v62
	s_add_i32 s14, s14, 8
	s_add_i32 s13, s13, 8
	v_cmp_eq_u32_e32 vcc, 0, v62
	s_or_b64 s[2:3], vcc, s[2:3]
	s_waitcnt vmcnt(0) lgkmcnt(0)
	v_fmac_f64_e32 v[60:61], v[64:65], v[66:67]
	s_andn2_b64 exec, exec, s[2:3]
	s_cbranch_execnz .LBB27_203
; %bb.204:
	s_or_b64 exec, exec, s[2:3]
.LBB27_205:
	s_or_b64 exec, exec, s[8:9]
	v_mov_b32_e32 v62, 0
	ds_read_b64 v[62:63], v62 offset:48
	s_waitcnt lgkmcnt(0)
	v_mul_f64 v[60:61], v[60:61], v[62:63]
	scratch_store_dwordx2 off, v[60:61], off offset:48
.LBB27_206:
	s_or_b64 exec, exec, s[4:5]
	scratch_load_dwordx2 v[60:61], off, off offset:40
	v_cmp_lt_u32_e64 s[2:3], 5, v0
	s_waitcnt vmcnt(0)
	ds_write_b64 v1, v[60:61]
	s_waitcnt lgkmcnt(0)
	; wave barrier
	s_and_saveexec_b64 s[4:5], s[2:3]
	s_cbranch_execz .LBB27_216
; %bb.207:
	s_andn2_b64 vcc, exec, s[6:7]
	s_cbranch_vccnz .LBB27_209
; %bb.208:
	scratch_load_dwordx2 v[60:61], v17, off
	ds_read_b64 v[62:63], v1
	s_waitcnt vmcnt(0) lgkmcnt(0)
	v_mul_f64 v[60:61], v[60:61], v[62:63]
	s_cbranch_execz .LBB27_210
	s_branch .LBB27_211
.LBB27_209:
                                        ; implicit-def: $vgpr60_vgpr61
.LBB27_210:
	ds_read_b64 v[60:61], v1
.LBB27_211:
	s_and_saveexec_b64 s[8:9], s[0:1]
	s_cbranch_execz .LBB27_215
; %bb.212:
	v_add_u32_e32 v62, -6, v0
	s_movk_i32 s13, 0x110
	s_mov_b64 s[0:1], 0
.LBB27_213:                             ; =>This Inner Loop Header: Depth=1
	scratch_load_dwordx2 v[64:65], off, s12
	v_mov_b32_e32 v63, s13
	ds_read_b64 v[66:67], v63
	v_add_u32_e32 v62, -1, v62
	s_add_i32 s13, s13, 8
	s_add_i32 s12, s12, 8
	v_cmp_eq_u32_e32 vcc, 0, v62
	s_or_b64 s[0:1], vcc, s[0:1]
	s_waitcnt vmcnt(0) lgkmcnt(0)
	v_fmac_f64_e32 v[60:61], v[64:65], v[66:67]
	s_andn2_b64 exec, exec, s[0:1]
	s_cbranch_execnz .LBB27_213
; %bb.214:
	s_or_b64 exec, exec, s[0:1]
.LBB27_215:
	s_or_b64 exec, exec, s[8:9]
	v_mov_b32_e32 v62, 0
	ds_read_b64 v[62:63], v62 offset:40
	s_waitcnt lgkmcnt(0)
	v_mul_f64 v[60:61], v[60:61], v[62:63]
	scratch_store_dwordx2 off, v[60:61], off offset:40
.LBB27_216:
	s_or_b64 exec, exec, s[4:5]
	scratch_load_dwordx2 v[60:61], off, off offset:32
	v_cmp_lt_u32_e64 s[0:1], 4, v0
	s_waitcnt vmcnt(0)
	ds_write_b64 v1, v[60:61]
	s_waitcnt lgkmcnt(0)
	; wave barrier
	s_and_saveexec_b64 s[4:5], s[0:1]
	s_cbranch_execz .LBB27_226
; %bb.217:
	s_andn2_b64 vcc, exec, s[6:7]
	s_cbranch_vccnz .LBB27_219
; %bb.218:
	scratch_load_dwordx2 v[60:61], v17, off
	ds_read_b64 v[62:63], v1
	s_waitcnt vmcnt(0) lgkmcnt(0)
	v_mul_f64 v[60:61], v[60:61], v[62:63]
	s_cbranch_execz .LBB27_220
	s_branch .LBB27_221
.LBB27_219:
                                        ; implicit-def: $vgpr60_vgpr61
.LBB27_220:
	ds_read_b64 v[60:61], v1
.LBB27_221:
	s_and_saveexec_b64 s[8:9], s[2:3]
	s_cbranch_execz .LBB27_225
; %bb.222:
	s_mov_b32 s12, 40
	v_add_u32_e32 v62, -5, v0
	s_movk_i32 s13, 0x108
	s_mov_b64 s[2:3], 0
.LBB27_223:                             ; =>This Inner Loop Header: Depth=1
	scratch_load_dwordx2 v[64:65], off, s12
	v_mov_b32_e32 v63, s13
	ds_read_b64 v[66:67], v63
	v_add_u32_e32 v62, -1, v62
	s_add_i32 s13, s13, 8
	s_add_i32 s12, s12, 8
	v_cmp_eq_u32_e32 vcc, 0, v62
	s_or_b64 s[2:3], vcc, s[2:3]
	s_waitcnt vmcnt(0) lgkmcnt(0)
	v_fmac_f64_e32 v[60:61], v[64:65], v[66:67]
	s_andn2_b64 exec, exec, s[2:3]
	s_cbranch_execnz .LBB27_223
; %bb.224:
	s_or_b64 exec, exec, s[2:3]
.LBB27_225:
	s_or_b64 exec, exec, s[8:9]
	v_mov_b32_e32 v62, 0
	ds_read_b64 v[62:63], v62 offset:32
	s_waitcnt lgkmcnt(0)
	v_mul_f64 v[60:61], v[60:61], v[62:63]
	scratch_store_dwordx2 off, v[60:61], off offset:32
.LBB27_226:
	s_or_b64 exec, exec, s[4:5]
	scratch_load_dwordx2 v[60:61], off, off offset:24
	v_cmp_lt_u32_e64 s[2:3], 3, v0
	s_waitcnt vmcnt(0)
	ds_write_b64 v1, v[60:61]
	s_waitcnt lgkmcnt(0)
	; wave barrier
	s_and_saveexec_b64 s[4:5], s[2:3]
	s_cbranch_execz .LBB27_236
; %bb.227:
	s_andn2_b64 vcc, exec, s[6:7]
	s_cbranch_vccnz .LBB27_229
; %bb.228:
	scratch_load_dwordx2 v[60:61], v17, off
	ds_read_b64 v[62:63], v1
	s_waitcnt vmcnt(0) lgkmcnt(0)
	v_mul_f64 v[60:61], v[60:61], v[62:63]
	s_cbranch_execz .LBB27_230
	s_branch .LBB27_231
.LBB27_229:
                                        ; implicit-def: $vgpr60_vgpr61
.LBB27_230:
	ds_read_b64 v[60:61], v1
.LBB27_231:
	s_and_saveexec_b64 s[8:9], s[0:1]
	s_cbranch_execz .LBB27_235
; %bb.232:
	v_add_u32_e32 v62, -4, v0
	s_movk_i32 s12, 0x100
	s_mov_b64 s[0:1], 0
.LBB27_233:                             ; =>This Inner Loop Header: Depth=1
	scratch_load_dwordx2 v[64:65], off, s11
	v_mov_b32_e32 v63, s12
	ds_read_b64 v[66:67], v63
	v_add_u32_e32 v62, -1, v62
	s_add_i32 s12, s12, 8
	s_add_i32 s11, s11, 8
	v_cmp_eq_u32_e32 vcc, 0, v62
	s_or_b64 s[0:1], vcc, s[0:1]
	s_waitcnt vmcnt(0) lgkmcnt(0)
	v_fmac_f64_e32 v[60:61], v[64:65], v[66:67]
	s_andn2_b64 exec, exec, s[0:1]
	s_cbranch_execnz .LBB27_233
; %bb.234:
	s_or_b64 exec, exec, s[0:1]
.LBB27_235:
	s_or_b64 exec, exec, s[8:9]
	v_mov_b32_e32 v62, 0
	ds_read_b64 v[62:63], v62 offset:24
	s_waitcnt lgkmcnt(0)
	v_mul_f64 v[60:61], v[60:61], v[62:63]
	scratch_store_dwordx2 off, v[60:61], off offset:24
.LBB27_236:
	s_or_b64 exec, exec, s[4:5]
	scratch_load_dwordx2 v[60:61], off, off offset:16
	v_cmp_lt_u32_e64 s[0:1], 2, v0
	s_waitcnt vmcnt(0)
	ds_write_b64 v1, v[60:61]
	s_waitcnt lgkmcnt(0)
	; wave barrier
	s_and_saveexec_b64 s[4:5], s[0:1]
	s_cbranch_execz .LBB27_246
; %bb.237:
	s_andn2_b64 vcc, exec, s[6:7]
	s_cbranch_vccnz .LBB27_239
; %bb.238:
	scratch_load_dwordx2 v[60:61], v17, off
	ds_read_b64 v[62:63], v1
	s_waitcnt vmcnt(0) lgkmcnt(0)
	v_mul_f64 v[60:61], v[60:61], v[62:63]
	s_cbranch_execz .LBB27_240
	s_branch .LBB27_241
.LBB27_239:
                                        ; implicit-def: $vgpr60_vgpr61
.LBB27_240:
	ds_read_b64 v[60:61], v1
.LBB27_241:
	s_and_saveexec_b64 s[8:9], s[2:3]
	s_cbranch_execz .LBB27_245
; %bb.242:
	s_mov_b32 s11, 24
	v_add_u32_e32 v62, -3, v0
	s_movk_i32 s12, 0xf8
	s_mov_b64 s[2:3], 0
.LBB27_243:                             ; =>This Inner Loop Header: Depth=1
	scratch_load_dwordx2 v[64:65], off, s11
	v_mov_b32_e32 v63, s12
	ds_read_b64 v[66:67], v63
	v_add_u32_e32 v62, -1, v62
	s_add_i32 s12, s12, 8
	s_add_i32 s11, s11, 8
	v_cmp_eq_u32_e32 vcc, 0, v62
	s_or_b64 s[2:3], vcc, s[2:3]
	s_waitcnt vmcnt(0) lgkmcnt(0)
	v_fmac_f64_e32 v[60:61], v[64:65], v[66:67]
	s_andn2_b64 exec, exec, s[2:3]
	s_cbranch_execnz .LBB27_243
; %bb.244:
	s_or_b64 exec, exec, s[2:3]
.LBB27_245:
	s_or_b64 exec, exec, s[8:9]
	v_mov_b32_e32 v62, 0
	ds_read_b64 v[62:63], v62 offset:16
	s_waitcnt lgkmcnt(0)
	v_mul_f64 v[60:61], v[60:61], v[62:63]
	scratch_store_dwordx2 off, v[60:61], off offset:16
.LBB27_246:
	s_or_b64 exec, exec, s[4:5]
	scratch_load_dwordx2 v[60:61], off, off offset:8
	v_cmp_lt_u32_e64 s[2:3], 1, v0
	s_waitcnt vmcnt(0)
	ds_write_b64 v1, v[60:61]
	s_waitcnt lgkmcnt(0)
	; wave barrier
	s_and_saveexec_b64 s[4:5], s[2:3]
	s_cbranch_execz .LBB27_256
; %bb.247:
	s_andn2_b64 vcc, exec, s[6:7]
	s_cbranch_vccnz .LBB27_249
; %bb.248:
	scratch_load_dwordx2 v[60:61], v17, off
	ds_read_b64 v[62:63], v1
	s_waitcnt vmcnt(0) lgkmcnt(0)
	v_mul_f64 v[60:61], v[60:61], v[62:63]
	s_cbranch_execz .LBB27_250
	s_branch .LBB27_251
.LBB27_249:
                                        ; implicit-def: $vgpr60_vgpr61
.LBB27_250:
	ds_read_b64 v[60:61], v1
.LBB27_251:
	s_and_saveexec_b64 s[8:9], s[0:1]
	s_cbranch_execz .LBB27_255
; %bb.252:
	v_add_u32_e32 v62, -2, v0
	s_movk_i32 s11, 0xf0
	s_mov_b64 s[0:1], 0
.LBB27_253:                             ; =>This Inner Loop Header: Depth=1
	scratch_load_dwordx2 v[64:65], off, s10
	v_mov_b32_e32 v63, s11
	ds_read_b64 v[66:67], v63
	v_add_u32_e32 v62, -1, v62
	s_add_i32 s11, s11, 8
	s_add_i32 s10, s10, 8
	v_cmp_eq_u32_e32 vcc, 0, v62
	s_or_b64 s[0:1], vcc, s[0:1]
	s_waitcnt vmcnt(0) lgkmcnt(0)
	v_fmac_f64_e32 v[60:61], v[64:65], v[66:67]
	s_andn2_b64 exec, exec, s[0:1]
	s_cbranch_execnz .LBB27_253
; %bb.254:
	s_or_b64 exec, exec, s[0:1]
.LBB27_255:
	s_or_b64 exec, exec, s[8:9]
	v_mov_b32_e32 v62, 0
	ds_read_b64 v[62:63], v62 offset:8
	s_waitcnt lgkmcnt(0)
	v_mul_f64 v[60:61], v[60:61], v[62:63]
	scratch_store_dwordx2 off, v[60:61], off offset:8
.LBB27_256:
	s_or_b64 exec, exec, s[4:5]
	scratch_load_dwordx2 v[60:61], off, off
	v_cmp_ne_u32_e32 vcc, 0, v0
	s_waitcnt vmcnt(0)
	ds_write_b64 v1, v[60:61]
	s_waitcnt lgkmcnt(0)
	; wave barrier
	s_and_saveexec_b64 s[0:1], vcc
	s_cbranch_execz .LBB27_266
; %bb.257:
	s_andn2_b64 vcc, exec, s[6:7]
	s_cbranch_vccnz .LBB27_259
; %bb.258:
	scratch_load_dwordx2 v[60:61], v17, off
	ds_read_b64 v[62:63], v1
	s_waitcnt vmcnt(0) lgkmcnt(0)
	v_mul_f64 v[60:61], v[60:61], v[62:63]
	s_cbranch_execz .LBB27_260
	s_branch .LBB27_261
.LBB27_259:
                                        ; implicit-def: $vgpr60_vgpr61
.LBB27_260:
	ds_read_b64 v[60:61], v1
.LBB27_261:
	s_and_saveexec_b64 s[4:5], s[2:3]
	s_cbranch_execz .LBB27_265
; %bb.262:
	s_or_b32 s8, 0, 8
	v_add_u32_e32 v62, -1, v0
	s_movk_i32 s9, 0xe8
	s_mov_b64 s[2:3], 0
.LBB27_263:                             ; =>This Inner Loop Header: Depth=1
	scratch_load_dwordx2 v[64:65], off, s8
	v_mov_b32_e32 v63, s9
	ds_read_b64 v[66:67], v63
	v_add_u32_e32 v62, -1, v62
	s_add_i32 s9, s9, 8
	s_add_i32 s8, s8, 8
	v_cmp_eq_u32_e32 vcc, 0, v62
	s_or_b64 s[2:3], vcc, s[2:3]
	s_waitcnt vmcnt(0) lgkmcnt(0)
	v_fmac_f64_e32 v[60:61], v[64:65], v[66:67]
	s_andn2_b64 exec, exec, s[2:3]
	s_cbranch_execnz .LBB27_263
; %bb.264:
	s_or_b64 exec, exec, s[2:3]
.LBB27_265:
	s_or_b64 exec, exec, s[4:5]
	v_mov_b32_e32 v62, 0
	ds_read_b64 v[62:63], v62
	s_waitcnt lgkmcnt(0)
	v_mul_f64 v[60:61], v[60:61], v[62:63]
	scratch_store_dwordx2 off, v[60:61], off
.LBB27_266:
	s_or_b64 exec, exec, s[0:1]
	s_mov_b64 s[0:1], 0
.LBB27_267:
	s_and_b64 vcc, exec, s[0:1]
	s_cbranch_vccz .LBB27_529
; %bb.268:
	scratch_load_dwordx2 v[60:61], off, off offset:8
	v_cmp_eq_u32_e64 s[2:3], 0, v0
	s_waitcnt vmcnt(0)
	ds_write_b64 v1, v[60:61]
	s_waitcnt lgkmcnt(0)
	; wave barrier
	s_and_saveexec_b64 s[0:1], s[2:3]
	s_cbranch_execz .LBB27_274
; %bb.269:
	s_and_b64 vcc, exec, s[6:7]
	s_cbranch_vccz .LBB27_271
; %bb.270:
	scratch_load_dwordx2 v[60:61], v17, off
	ds_read_b64 v[62:63], v1
	s_waitcnt vmcnt(0) lgkmcnt(0)
	v_mul_f64 v[60:61], v[60:61], v[62:63]
	s_cbranch_execz .LBB27_272
	s_branch .LBB27_273
.LBB27_271:
                                        ; implicit-def: $vgpr60_vgpr61
.LBB27_272:
	ds_read_b64 v[60:61], v1
.LBB27_273:
	v_mov_b32_e32 v62, 0
	ds_read_b64 v[62:63], v62 offset:8
	s_waitcnt lgkmcnt(0)
	v_mul_f64 v[60:61], v[60:61], v[62:63]
	scratch_store_dwordx2 off, v[60:61], off offset:8
.LBB27_274:
	s_or_b64 exec, exec, s[0:1]
	scratch_load_dwordx2 v[60:61], off, off offset:16
	v_cndmask_b32_e64 v62, 0, 1, s[6:7]
	v_cmp_gt_u32_e32 vcc, 2, v0
	v_cmp_ne_u32_e64 s[0:1], 1, v62
	s_waitcnt vmcnt(0)
	ds_write_b64 v1, v[60:61]
	s_waitcnt lgkmcnt(0)
	; wave barrier
	s_and_saveexec_b64 s[4:5], vcc
	s_cbranch_execz .LBB27_280
; %bb.275:
	s_and_b64 vcc, exec, s[0:1]
	s_cbranch_vccnz .LBB27_277
; %bb.276:
	scratch_load_dwordx2 v[60:61], v17, off
	ds_read_b64 v[62:63], v1
	s_waitcnt vmcnt(0) lgkmcnt(0)
	v_mul_f64 v[60:61], v[60:61], v[62:63]
	s_cbranch_execz .LBB27_278
	s_branch .LBB27_279
.LBB27_277:
                                        ; implicit-def: $vgpr60_vgpr61
.LBB27_278:
	ds_read_b64 v[60:61], v1
.LBB27_279:
	scratch_load_dwordx2 v[66:67], off, off offset:8
	v_mov_b32_e32 v62, 0
	ds_read2_b64 v[62:65], v62 offset0:2 offset1:29
	s_waitcnt vmcnt(0) lgkmcnt(0)
	v_fma_f64 v[64:65], v[66:67], v[64:65], v[60:61]
	v_cndmask_b32_e64 v61, v61, v65, s[2:3]
	v_cndmask_b32_e64 v60, v60, v64, s[2:3]
	v_mul_f64 v[60:61], v[60:61], v[62:63]
	scratch_store_dwordx2 off, v[60:61], off offset:16
.LBB27_280:
	s_or_b64 exec, exec, s[4:5]
	scratch_load_dwordx2 v[60:61], off, off offset:24
	v_cmp_gt_u32_e32 vcc, 3, v0
	s_waitcnt vmcnt(0)
	ds_write_b64 v1, v[60:61]
	s_waitcnt lgkmcnt(0)
	; wave barrier
	s_and_saveexec_b64 s[4:5], vcc
	s_cbranch_execz .LBB27_288
; %bb.281:
	s_and_b64 vcc, exec, s[0:1]
	s_cbranch_vccnz .LBB27_283
; %bb.282:
	scratch_load_dwordx2 v[60:61], v17, off
	ds_read_b64 v[62:63], v1
	s_waitcnt vmcnt(0) lgkmcnt(0)
	v_mul_f64 v[60:61], v[60:61], v[62:63]
	s_cbranch_execz .LBB27_284
	s_branch .LBB27_285
.LBB27_283:
                                        ; implicit-def: $vgpr60_vgpr61
.LBB27_284:
	ds_read_b64 v[60:61], v1
.LBB27_285:
	v_cmp_ne_u32_e32 vcc, 2, v0
	s_and_saveexec_b64 s[6:7], vcc
	s_cbranch_execz .LBB27_287
; %bb.286:
	scratch_load_dwordx2 v[62:63], v17, off offset:8
	scratch_load_dwordx2 v[64:65], off, off offset:16
	ds_read_b64 v[66:67], v1 offset:8
	v_mov_b32_e32 v68, 0
	ds_read_b64 v[68:69], v68 offset:240
	s_waitcnt vmcnt(1) lgkmcnt(1)
	v_fmac_f64_e32 v[60:61], v[62:63], v[66:67]
	s_waitcnt vmcnt(0) lgkmcnt(0)
	v_fma_f64 v[62:63], v[64:65], v[68:69], v[60:61]
	v_cndmask_b32_e64 v61, v61, v63, s[2:3]
	v_cndmask_b32_e64 v60, v60, v62, s[2:3]
.LBB27_287:
	s_or_b64 exec, exec, s[6:7]
	v_mov_b32_e32 v62, 0
	ds_read_b64 v[62:63], v62 offset:24
	s_waitcnt lgkmcnt(0)
	v_mul_f64 v[60:61], v[60:61], v[62:63]
	scratch_store_dwordx2 off, v[60:61], off offset:24
.LBB27_288:
	s_or_b64 exec, exec, s[4:5]
	scratch_load_dwordx2 v[60:61], off, off offset:32
	v_cmp_gt_u32_e32 vcc, 4, v0
	s_waitcnt vmcnt(0)
	ds_write_b64 v1, v[60:61]
	s_waitcnt lgkmcnt(0)
	; wave barrier
	s_and_saveexec_b64 s[2:3], vcc
	s_cbranch_execz .LBB27_298
; %bb.289:
	s_and_b64 vcc, exec, s[0:1]
	s_cbranch_vccnz .LBB27_291
; %bb.290:
	scratch_load_dwordx2 v[60:61], v17, off
	ds_read_b64 v[62:63], v1
	s_waitcnt vmcnt(0) lgkmcnt(0)
	v_mul_f64 v[60:61], v[60:61], v[62:63]
	s_cbranch_execz .LBB27_292
	s_branch .LBB27_293
.LBB27_291:
                                        ; implicit-def: $vgpr60_vgpr61
.LBB27_292:
	ds_read_b64 v[60:61], v1
.LBB27_293:
	v_cmp_ne_u32_e32 vcc, 3, v0
	s_and_saveexec_b64 s[4:5], vcc
	s_cbranch_execz .LBB27_297
; %bb.294:
	s_mov_b32 s6, 0
	v_add_u32_e32 v62, 0xe8, v16
	v_add3_u32 v63, v16, s6, 8
	s_mov_b64 s[6:7], 0
	v_mov_b32_e32 v64, v0
.LBB27_295:                             ; =>This Inner Loop Header: Depth=1
	scratch_load_dwordx2 v[66:67], v63, off
	ds_read_b64 v[68:69], v62
	v_add_u32_e32 v64, 1, v64
	v_cmp_lt_u32_e32 vcc, 2, v64
	v_add_u32_e32 v62, 8, v62
	v_add_u32_e32 v63, 8, v63
	s_or_b64 s[6:7], vcc, s[6:7]
	s_waitcnt vmcnt(0) lgkmcnt(0)
	v_fmac_f64_e32 v[60:61], v[66:67], v[68:69]
	s_andn2_b64 exec, exec, s[6:7]
	s_cbranch_execnz .LBB27_295
; %bb.296:
	s_or_b64 exec, exec, s[6:7]
.LBB27_297:
	s_or_b64 exec, exec, s[4:5]
	v_mov_b32_e32 v62, 0
	ds_read_b64 v[62:63], v62 offset:32
	s_waitcnt lgkmcnt(0)
	v_mul_f64 v[60:61], v[60:61], v[62:63]
	scratch_store_dwordx2 off, v[60:61], off offset:32
.LBB27_298:
	s_or_b64 exec, exec, s[2:3]
	scratch_load_dwordx2 v[60:61], off, off offset:40
	v_cmp_gt_u32_e32 vcc, 5, v0
	s_waitcnt vmcnt(0)
	ds_write_b64 v1, v[60:61]
	s_waitcnt lgkmcnt(0)
	; wave barrier
	s_and_saveexec_b64 s[2:3], vcc
	s_cbranch_execz .LBB27_308
; %bb.299:
	s_and_b64 vcc, exec, s[0:1]
	s_cbranch_vccnz .LBB27_301
; %bb.300:
	scratch_load_dwordx2 v[60:61], v17, off
	ds_read_b64 v[62:63], v1
	s_waitcnt vmcnt(0) lgkmcnt(0)
	v_mul_f64 v[60:61], v[60:61], v[62:63]
	s_cbranch_execz .LBB27_302
	s_branch .LBB27_303
.LBB27_301:
                                        ; implicit-def: $vgpr60_vgpr61
.LBB27_302:
	ds_read_b64 v[60:61], v1
.LBB27_303:
	v_cmp_ne_u32_e32 vcc, 4, v0
	s_and_saveexec_b64 s[4:5], vcc
	s_cbranch_execz .LBB27_307
; %bb.304:
	s_mov_b32 s6, 0
	v_add_u32_e32 v62, 0xe8, v16
	v_add3_u32 v63, v16, s6, 8
	s_mov_b64 s[6:7], 0
	v_mov_b32_e32 v64, v0
.LBB27_305:                             ; =>This Inner Loop Header: Depth=1
	scratch_load_dwordx2 v[66:67], v63, off
	ds_read_b64 v[68:69], v62
	v_add_u32_e32 v64, 1, v64
	v_cmp_lt_u32_e32 vcc, 3, v64
	v_add_u32_e32 v62, 8, v62
	v_add_u32_e32 v63, 8, v63
	s_or_b64 s[6:7], vcc, s[6:7]
	s_waitcnt vmcnt(0) lgkmcnt(0)
	v_fmac_f64_e32 v[60:61], v[66:67], v[68:69]
	s_andn2_b64 exec, exec, s[6:7]
	s_cbranch_execnz .LBB27_305
; %bb.306:
	s_or_b64 exec, exec, s[6:7]
.LBB27_307:
	s_or_b64 exec, exec, s[4:5]
	v_mov_b32_e32 v62, 0
	ds_read_b64 v[62:63], v62 offset:40
	s_waitcnt lgkmcnt(0)
	v_mul_f64 v[60:61], v[60:61], v[62:63]
	scratch_store_dwordx2 off, v[60:61], off offset:40
.LBB27_308:
	;; [unrolled: 55-line block ×22, first 2 shown]
	s_or_b64 exec, exec, s[2:3]
	scratch_load_dwordx2 v[60:61], off, off offset:208
	v_cmp_gt_u32_e64 s[2:3], 26, v0
	s_waitcnt vmcnt(0)
	ds_write_b64 v1, v[60:61]
	s_waitcnt lgkmcnt(0)
	; wave barrier
	s_and_saveexec_b64 s[4:5], s[2:3]
	s_cbranch_execz .LBB27_518
; %bb.509:
	s_and_b64 vcc, exec, s[0:1]
	s_cbranch_vccnz .LBB27_511
; %bb.510:
	scratch_load_dwordx2 v[60:61], v17, off
	ds_read_b64 v[62:63], v1
	s_waitcnt vmcnt(0) lgkmcnt(0)
	v_mul_f64 v[60:61], v[60:61], v[62:63]
	s_cbranch_execz .LBB27_512
	s_branch .LBB27_513
.LBB27_511:
                                        ; implicit-def: $vgpr60_vgpr61
.LBB27_512:
	ds_read_b64 v[60:61], v1
.LBB27_513:
	v_cmp_ne_u32_e32 vcc, 25, v0
	s_and_saveexec_b64 s[6:7], vcc
	s_cbranch_execz .LBB27_517
; %bb.514:
	s_mov_b32 s8, 0
	v_add_u32_e32 v62, 0xe8, v16
	v_add3_u32 v63, v16, s8, 8
	s_mov_b64 s[8:9], 0
	v_mov_b32_e32 v64, v0
.LBB27_515:                             ; =>This Inner Loop Header: Depth=1
	scratch_load_dwordx2 v[66:67], v63, off
	ds_read_b64 v[68:69], v62
	v_add_u32_e32 v64, 1, v64
	v_cmp_lt_u32_e32 vcc, 24, v64
	v_add_u32_e32 v62, 8, v62
	v_add_u32_e32 v63, 8, v63
	s_or_b64 s[8:9], vcc, s[8:9]
	s_waitcnt vmcnt(0) lgkmcnt(0)
	v_fmac_f64_e32 v[60:61], v[66:67], v[68:69]
	s_andn2_b64 exec, exec, s[8:9]
	s_cbranch_execnz .LBB27_515
; %bb.516:
	s_or_b64 exec, exec, s[8:9]
.LBB27_517:
	s_or_b64 exec, exec, s[6:7]
	v_mov_b32_e32 v62, 0
	ds_read_b64 v[62:63], v62 offset:208
	s_waitcnt lgkmcnt(0)
	v_mul_f64 v[60:61], v[60:61], v[62:63]
	scratch_store_dwordx2 off, v[60:61], off offset:208
.LBB27_518:
	s_or_b64 exec, exec, s[4:5]
	scratch_load_dwordx2 v[60:61], off, off offset:216
	v_cmp_ne_u32_e32 vcc, 27, v0
	s_waitcnt vmcnt(0)
	ds_write_b64 v1, v[60:61]
	s_waitcnt lgkmcnt(0)
	; wave barrier
	s_and_saveexec_b64 s[4:5], vcc
	s_cbranch_execz .LBB27_528
; %bb.519:
	s_and_b64 vcc, exec, s[0:1]
	s_cbranch_vccnz .LBB27_521
; %bb.520:
	scratch_load_dwordx2 v[60:61], v17, off
	ds_read_b64 v[62:63], v1
	s_waitcnt vmcnt(0) lgkmcnt(0)
	v_mul_f64 v[60:61], v[60:61], v[62:63]
	s_cbranch_execz .LBB27_522
	s_branch .LBB27_523
.LBB27_521:
                                        ; implicit-def: $vgpr60_vgpr61
.LBB27_522:
	ds_read_b64 v[60:61], v1
.LBB27_523:
	s_and_saveexec_b64 s[0:1], s[2:3]
	s_cbranch_execz .LBB27_527
; %bb.524:
	s_mov_b32 s2, 0
	v_add_u32_e32 v1, 0xe8, v16
	v_add3_u32 v16, v16, s2, 8
	s_mov_b64 s[2:3], 0
.LBB27_525:                             ; =>This Inner Loop Header: Depth=1
	scratch_load_dwordx2 v[62:63], v16, off
	ds_read_b64 v[64:65], v1
	v_add_u32_e32 v0, 1, v0
	v_cmp_lt_u32_e32 vcc, 25, v0
	v_add_u32_e32 v1, 8, v1
	v_add_u32_e32 v16, 8, v16
	s_or_b64 s[2:3], vcc, s[2:3]
	s_waitcnt vmcnt(0) lgkmcnt(0)
	v_fmac_f64_e32 v[60:61], v[62:63], v[64:65]
	s_andn2_b64 exec, exec, s[2:3]
	s_cbranch_execnz .LBB27_525
; %bb.526:
	s_or_b64 exec, exec, s[2:3]
.LBB27_527:
	s_or_b64 exec, exec, s[0:1]
	v_mov_b32_e32 v0, 0
	ds_read_b64 v[0:1], v0 offset:216
	s_waitcnt lgkmcnt(0)
	v_mul_f64 v[0:1], v[60:61], v[0:1]
	scratch_store_dwordx2 off, v[0:1], off offset:216
.LBB27_528:
	s_or_b64 exec, exec, s[4:5]
.LBB27_529:
	scratch_load_dwordx4 v[60:63], off, off
	s_waitcnt vmcnt(0)
	global_store_dwordx2 v[2:3], v[60:61], off
	global_store_dwordx2 v[4:5], v[62:63], off
	scratch_load_dwordx4 v[0:3], off, off offset:16
	s_waitcnt vmcnt(0)
	global_store_dwordx2 v[6:7], v[0:1], off
	global_store_dwordx2 v[8:9], v[2:3], off
	scratch_load_dwordx4 v[0:3], off, off offset:32
	;; [unrolled: 4-line block ×13, first 2 shown]
	s_waitcnt vmcnt(0)
	global_store_dwordx2 v[50:51], v[0:1], off
	global_store_dwordx2 v[54:55], v[2:3], off
.LBB27_530:
	s_endpgm
	.section	.rodata,"a",@progbits
	.p2align	6, 0x0
	.amdhsa_kernel _ZN9rocsolver6v33100L18trti2_kernel_smallILi28EdPdEEv13rocblas_fill_17rocblas_diagonal_T1_iil
		.amdhsa_group_segment_fixed_size 448
		.amdhsa_private_segment_fixed_size 240
		.amdhsa_kernarg_size 32
		.amdhsa_user_sgpr_count 2
		.amdhsa_user_sgpr_dispatch_ptr 0
		.amdhsa_user_sgpr_queue_ptr 0
		.amdhsa_user_sgpr_kernarg_segment_ptr 1
		.amdhsa_user_sgpr_dispatch_id 0
		.amdhsa_user_sgpr_kernarg_preload_length 0
		.amdhsa_user_sgpr_kernarg_preload_offset 0
		.amdhsa_user_sgpr_private_segment_size 0
		.amdhsa_uses_dynamic_stack 0
		.amdhsa_enable_private_segment 1
		.amdhsa_system_sgpr_workgroup_id_x 1
		.amdhsa_system_sgpr_workgroup_id_y 0
		.amdhsa_system_sgpr_workgroup_id_z 0
		.amdhsa_system_sgpr_workgroup_info 0
		.amdhsa_system_vgpr_workitem_id 0
		.amdhsa_next_free_vgpr 70
		.amdhsa_next_free_sgpr 24
		.amdhsa_accum_offset 72
		.amdhsa_reserve_vcc 1
		.amdhsa_float_round_mode_32 0
		.amdhsa_float_round_mode_16_64 0
		.amdhsa_float_denorm_mode_32 3
		.amdhsa_float_denorm_mode_16_64 3
		.amdhsa_dx10_clamp 1
		.amdhsa_ieee_mode 1
		.amdhsa_fp16_overflow 0
		.amdhsa_tg_split 0
		.amdhsa_exception_fp_ieee_invalid_op 0
		.amdhsa_exception_fp_denorm_src 0
		.amdhsa_exception_fp_ieee_div_zero 0
		.amdhsa_exception_fp_ieee_overflow 0
		.amdhsa_exception_fp_ieee_underflow 0
		.amdhsa_exception_fp_ieee_inexact 0
		.amdhsa_exception_int_div_zero 0
	.end_amdhsa_kernel
	.section	.text._ZN9rocsolver6v33100L18trti2_kernel_smallILi28EdPdEEv13rocblas_fill_17rocblas_diagonal_T1_iil,"axG",@progbits,_ZN9rocsolver6v33100L18trti2_kernel_smallILi28EdPdEEv13rocblas_fill_17rocblas_diagonal_T1_iil,comdat
.Lfunc_end27:
	.size	_ZN9rocsolver6v33100L18trti2_kernel_smallILi28EdPdEEv13rocblas_fill_17rocblas_diagonal_T1_iil, .Lfunc_end27-_ZN9rocsolver6v33100L18trti2_kernel_smallILi28EdPdEEv13rocblas_fill_17rocblas_diagonal_T1_iil
                                        ; -- End function
	.set _ZN9rocsolver6v33100L18trti2_kernel_smallILi28EdPdEEv13rocblas_fill_17rocblas_diagonal_T1_iil.num_vgpr, 70
	.set _ZN9rocsolver6v33100L18trti2_kernel_smallILi28EdPdEEv13rocblas_fill_17rocblas_diagonal_T1_iil.num_agpr, 0
	.set _ZN9rocsolver6v33100L18trti2_kernel_smallILi28EdPdEEv13rocblas_fill_17rocblas_diagonal_T1_iil.numbered_sgpr, 24
	.set _ZN9rocsolver6v33100L18trti2_kernel_smallILi28EdPdEEv13rocblas_fill_17rocblas_diagonal_T1_iil.num_named_barrier, 0
	.set _ZN9rocsolver6v33100L18trti2_kernel_smallILi28EdPdEEv13rocblas_fill_17rocblas_diagonal_T1_iil.private_seg_size, 240
	.set _ZN9rocsolver6v33100L18trti2_kernel_smallILi28EdPdEEv13rocblas_fill_17rocblas_diagonal_T1_iil.uses_vcc, 1
	.set _ZN9rocsolver6v33100L18trti2_kernel_smallILi28EdPdEEv13rocblas_fill_17rocblas_diagonal_T1_iil.uses_flat_scratch, 0
	.set _ZN9rocsolver6v33100L18trti2_kernel_smallILi28EdPdEEv13rocblas_fill_17rocblas_diagonal_T1_iil.has_dyn_sized_stack, 0
	.set _ZN9rocsolver6v33100L18trti2_kernel_smallILi28EdPdEEv13rocblas_fill_17rocblas_diagonal_T1_iil.has_recursion, 0
	.set _ZN9rocsolver6v33100L18trti2_kernel_smallILi28EdPdEEv13rocblas_fill_17rocblas_diagonal_T1_iil.has_indirect_call, 0
	.section	.AMDGPU.csdata,"",@progbits
; Kernel info:
; codeLenInByte = 13124
; TotalNumSgprs: 30
; NumVgprs: 70
; NumAgprs: 0
; TotalNumVgprs: 70
; ScratchSize: 240
; MemoryBound: 0
; FloatMode: 240
; IeeeMode: 1
; LDSByteSize: 448 bytes/workgroup (compile time only)
; SGPRBlocks: 3
; VGPRBlocks: 8
; NumSGPRsForWavesPerEU: 30
; NumVGPRsForWavesPerEU: 70
; AccumOffset: 72
; Occupancy: 7
; WaveLimiterHint : 0
; COMPUTE_PGM_RSRC2:SCRATCH_EN: 1
; COMPUTE_PGM_RSRC2:USER_SGPR: 2
; COMPUTE_PGM_RSRC2:TRAP_HANDLER: 0
; COMPUTE_PGM_RSRC2:TGID_X_EN: 1
; COMPUTE_PGM_RSRC2:TGID_Y_EN: 0
; COMPUTE_PGM_RSRC2:TGID_Z_EN: 0
; COMPUTE_PGM_RSRC2:TIDIG_COMP_CNT: 0
; COMPUTE_PGM_RSRC3_GFX90A:ACCUM_OFFSET: 17
; COMPUTE_PGM_RSRC3_GFX90A:TG_SPLIT: 0
	.section	.text._ZN9rocsolver6v33100L18trti2_kernel_smallILi29EdPdEEv13rocblas_fill_17rocblas_diagonal_T1_iil,"axG",@progbits,_ZN9rocsolver6v33100L18trti2_kernel_smallILi29EdPdEEv13rocblas_fill_17rocblas_diagonal_T1_iil,comdat
	.globl	_ZN9rocsolver6v33100L18trti2_kernel_smallILi29EdPdEEv13rocblas_fill_17rocblas_diagonal_T1_iil ; -- Begin function _ZN9rocsolver6v33100L18trti2_kernel_smallILi29EdPdEEv13rocblas_fill_17rocblas_diagonal_T1_iil
	.p2align	8
	.type	_ZN9rocsolver6v33100L18trti2_kernel_smallILi29EdPdEEv13rocblas_fill_17rocblas_diagonal_T1_iil,@function
_ZN9rocsolver6v33100L18trti2_kernel_smallILi29EdPdEEv13rocblas_fill_17rocblas_diagonal_T1_iil: ; @_ZN9rocsolver6v33100L18trti2_kernel_smallILi29EdPdEEv13rocblas_fill_17rocblas_diagonal_T1_iil
; %bb.0:
	v_cmp_gt_u32_e32 vcc, 29, v0
	s_and_saveexec_b64 s[4:5], vcc
	s_cbranch_execz .LBB28_550
; %bb.1:
	s_load_dwordx8 s[4:11], s[0:1], 0x0
	s_ashr_i32 s3, s2, 31
	v_lshlrev_b32_e32 v10, 3, v0
	v_mov_b32_e32 v11, 0
	s_waitcnt lgkmcnt(0)
	s_ashr_i32 s1, s8, 31
	s_mov_b32 s0, s8
	s_mul_hi_u32 s8, s10, s2
	s_mul_i32 s3, s10, s3
	s_add_i32 s3, s8, s3
	s_mul_i32 s8, s11, s2
	s_add_i32 s3, s3, s8
	s_mul_i32 s2, s10, s2
	s_lshl_b64 s[2:3], s[2:3], 3
	s_add_u32 s2, s6, s2
	s_addc_u32 s3, s7, s3
	s_lshl_b64 s[0:1], s[0:1], 3
	s_add_u32 s0, s2, s0
	s_addc_u32 s1, s3, s1
	v_lshl_add_u64 v[2:3], s[0:1], 0, v[10:11]
	s_ashr_i32 s3, s9, 31
	s_mov_b32 s2, s9
	v_lshl_add_u64 v[4:5], s[2:3], 3, v[2:3]
	global_load_dwordx2 v[6:7], v10, s[0:1]
	global_load_dwordx2 v[8:9], v[4:5], off
	s_add_i32 s2, s9, s9
	s_cmpk_lg_i32 s5, 0x84
	s_cselect_b64 s[6:7], -1, 0
	s_cmpk_eq_i32 s5, 0x84
	s_waitcnt vmcnt(0)
	scratch_store_dwordx4 off, v[6:9], off
	s_nop 1
	v_add_u32_e32 v8, s2, v0
	v_add_u32_e32 v12, s9, v8
	v_ashrrev_i32_e32 v9, 31, v8
	v_ashrrev_i32_e32 v13, 31, v12
	v_lshl_add_u64 v[6:7], v[8:9], 3, s[0:1]
	v_lshl_add_u64 v[8:9], v[12:13], 3, s[0:1]
	global_load_dwordx2 v[14:15], v[6:7], off
	global_load_dwordx2 v[16:17], v[8:9], off
	s_waitcnt vmcnt(0)
	scratch_store_dwordx4 off, v[14:17], off offset:16
	s_nop 1
	v_add_u32_e32 v14, s9, v12
	v_add_u32_e32 v16, s9, v14
	v_ashrrev_i32_e32 v15, 31, v14
	v_ashrrev_i32_e32 v17, 31, v16
	v_lshl_add_u64 v[12:13], v[14:15], 3, s[0:1]
	v_lshl_add_u64 v[14:15], v[16:17], 3, s[0:1]
	global_load_dwordx2 v[18:19], v[12:13], off
	global_load_dwordx2 v[20:21], v[14:15], off
	s_waitcnt vmcnt(0)
	scratch_store_dwordx4 off, v[18:21], off offset:32
	;; [unrolled: 11-line block ×11, first 2 shown]
	s_nop 1
	v_add_u32_e32 v54, s9, v52
	v_add_u32_e32 v56, s9, v54
	v_ashrrev_i32_e32 v55, 31, v54
	v_ashrrev_i32_e32 v57, 31, v56
	v_lshl_add_u64 v[52:53], v[54:55], 3, s[0:1]
	v_lshl_add_u64 v[54:55], v[56:57], 3, s[0:1]
	global_load_dwordx2 v[58:59], v[52:53], off
	global_load_dwordx2 v[60:61], v[54:55], off
	v_add_u32_e32 v56, s9, v56
	v_ashrrev_i32_e32 v57, 31, v56
	s_waitcnt vmcnt(0)
	scratch_store_dwordx4 off, v[58:61], off offset:192
	s_nop 1
	v_lshl_add_u64 v[58:59], v[56:57], 3, s[0:1]
	v_add_u32_e32 v56, s9, v56
	v_ashrrev_i32_e32 v57, 31, v56
	v_lshl_add_u64 v[60:61], v[56:57], 3, s[0:1]
	global_load_dwordx2 v[62:63], v[58:59], off
	global_load_dwordx2 v[64:65], v[60:61], off
	v_add_u32_e32 v56, s9, v56
	v_ashrrev_i32_e32 v57, 31, v56
	v_lshl_add_u64 v[56:57], v[56:57], 3, s[0:1]
	s_waitcnt vmcnt(0)
	scratch_store_dwordx4 off, v[62:65], off offset:208
	global_load_dwordx2 v[62:63], v[56:57], off
	s_waitcnt vmcnt(0)
	scratch_store_dwordx2 off, v[62:63], off offset:224
	v_mov_b64_e32 v[62:63], -1.0
	s_cbranch_scc1 .LBB28_3
; %bb.2:
	scratch_load_dwordx2 v[62:63], v10, off
	s_waitcnt vmcnt(0)
	v_div_scale_f64 v[64:65], s[0:1], v[62:63], v[62:63], 1.0
	v_rcp_f64_e32 v[66:67], v[64:65]
	v_div_scale_f64 v[68:69], vcc, 1.0, v[62:63], 1.0
	v_fma_f64 v[70:71], -v[64:65], v[66:67], 1.0
	v_fmac_f64_e32 v[66:67], v[66:67], v[70:71]
	v_fma_f64 v[70:71], -v[64:65], v[66:67], 1.0
	v_fmac_f64_e32 v[66:67], v[66:67], v[70:71]
	v_mul_f64 v[70:71], v[68:69], v[66:67]
	v_fma_f64 v[64:65], -v[64:65], v[70:71], v[68:69]
	v_div_fmas_f64 v[64:65], v[64:65], v[66:67], v[70:71]
	v_div_fixup_f64 v[62:63], v[64:65], v[62:63], 1.0
	scratch_store_dwordx2 v10, v[62:63], off
	v_xor_b32_e32 v63, 0x80000000, v63
.LBB28_3:
	s_cmpk_eq_i32 s4, 0x79
	v_add_u32_e32 v1, 0xf0, v10
	v_mov_b32_e32 v11, v10
	s_mov_b64 s[0:1], -1
	ds_write_b64 v10, v[62:63]
	s_cbranch_scc1 .LBB28_277
; %bb.4:
	scratch_load_dwordx2 v[62:63], off, off offset:216
	s_movk_i32 s8, 0x50
	s_movk_i32 s9, 0x60
	;; [unrolled: 1-line block ×9, first 2 shown]
	v_cmp_eq_u32_e64 s[0:1], 28, v0
	s_waitcnt vmcnt(0)
	ds_write_b64 v1, v[62:63]
	s_waitcnt lgkmcnt(0)
	; wave barrier
	s_and_saveexec_b64 s[2:3], s[0:1]
	s_cbranch_execz .LBB28_10
; %bb.5:
	s_and_b64 vcc, exec, s[6:7]
	s_cbranch_vccz .LBB28_7
; %bb.6:
	scratch_load_dwordx2 v[62:63], v11, off
	ds_read_b64 v[64:65], v1
	s_waitcnt vmcnt(0) lgkmcnt(0)
	v_mul_f64 v[62:63], v[62:63], v[64:65]
	s_cbranch_execz .LBB28_8
	s_branch .LBB28_9
.LBB28_7:
                                        ; implicit-def: $vgpr62_vgpr63
.LBB28_8:
	ds_read_b64 v[62:63], v1
.LBB28_9:
	v_mov_b32_e32 v64, 0
	ds_read_b64 v[64:65], v64 offset:216
	s_waitcnt lgkmcnt(0)
	v_mul_f64 v[62:63], v[62:63], v[64:65]
	scratch_store_dwordx2 off, v[62:63], off offset:216
.LBB28_10:
	s_or_b64 exec, exec, s[2:3]
	scratch_load_dwordx2 v[62:63], off, off offset:208
	s_mov_b32 s10, 16
	s_mov_b32 s11, 32
	;; [unrolled: 1-line block ×6, first 2 shown]
	v_cmp_lt_u32_e64 s[4:5], 26, v0
	s_waitcnt vmcnt(0)
	ds_write_b64 v1, v[62:63]
	s_waitcnt lgkmcnt(0)
	; wave barrier
	s_and_saveexec_b64 s[2:3], s[4:5]
	s_cbranch_execz .LBB28_16
; %bb.11:
	s_andn2_b64 vcc, exec, s[6:7]
	s_cbranch_vccnz .LBB28_13
; %bb.12:
	scratch_load_dwordx2 v[62:63], v11, off
	ds_read_b64 v[64:65], v1
	s_waitcnt vmcnt(0) lgkmcnt(0)
	v_mul_f64 v[62:63], v[62:63], v[64:65]
	s_cbranch_execz .LBB28_14
	s_branch .LBB28_15
.LBB28_13:
                                        ; implicit-def: $vgpr62_vgpr63
.LBB28_14:
	ds_read_b64 v[62:63], v1
.LBB28_15:
	scratch_load_dwordx2 v[68:69], off, off offset:216
	v_mov_b32_e32 v64, 0
	ds_read2_b64 v[64:67], v64 offset0:26 offset1:57
	s_waitcnt vmcnt(0) lgkmcnt(0)
	v_fma_f64 v[66:67], v[68:69], v[66:67], v[62:63]
	v_cndmask_b32_e64 v63, v63, v67, s[0:1]
	v_cndmask_b32_e64 v62, v62, v66, s[0:1]
	v_mul_f64 v[62:63], v[62:63], v[64:65]
	scratch_store_dwordx2 off, v[62:63], off offset:208
.LBB28_16:
	s_or_b64 exec, exec, s[2:3]
	scratch_load_dwordx2 v[62:63], off, off offset:200
	v_cmp_lt_u32_e64 s[2:3], 25, v0
	s_waitcnt vmcnt(0)
	ds_write_b64 v1, v[62:63]
	s_waitcnt lgkmcnt(0)
	; wave barrier
	s_and_saveexec_b64 s[0:1], s[2:3]
	s_cbranch_execz .LBB28_26
; %bb.17:
	s_andn2_b64 vcc, exec, s[6:7]
	s_cbranch_vccnz .LBB28_19
; %bb.18:
	scratch_load_dwordx2 v[62:63], v11, off
	ds_read_b64 v[64:65], v1
	s_waitcnt vmcnt(0) lgkmcnt(0)
	v_mul_f64 v[62:63], v[62:63], v[64:65]
	s_cbranch_execz .LBB28_20
	s_branch .LBB28_21
.LBB28_19:
                                        ; implicit-def: $vgpr62_vgpr63
.LBB28_20:
	ds_read_b64 v[62:63], v1
.LBB28_21:
	s_and_saveexec_b64 s[8:9], s[4:5]
	s_cbranch_execz .LBB28_25
; %bb.22:
	v_subrev_u32_e32 v64, 26, v0
	s_movk_i32 s23, 0x1c0
	s_mov_b64 s[4:5], 0
.LBB28_23:                              ; =>This Inner Loop Header: Depth=1
	scratch_load_dwordx2 v[66:67], off, s22
	v_mov_b32_e32 v65, s23
	ds_read_b64 v[68:69], v65
	v_add_u32_e32 v64, -1, v64
	s_add_i32 s23, s23, 8
	s_add_i32 s22, s22, 8
	v_cmp_eq_u32_e32 vcc, 0, v64
	s_or_b64 s[4:5], vcc, s[4:5]
	s_waitcnt vmcnt(0) lgkmcnt(0)
	v_fmac_f64_e32 v[62:63], v[66:67], v[68:69]
	s_andn2_b64 exec, exec, s[4:5]
	s_cbranch_execnz .LBB28_23
; %bb.24:
	s_or_b64 exec, exec, s[4:5]
.LBB28_25:
	s_or_b64 exec, exec, s[8:9]
	v_mov_b32_e32 v64, 0
	ds_read_b64 v[64:65], v64 offset:200
	s_waitcnt lgkmcnt(0)
	v_mul_f64 v[62:63], v[62:63], v[64:65]
	scratch_store_dwordx2 off, v[62:63], off offset:200
.LBB28_26:
	s_or_b64 exec, exec, s[0:1]
	scratch_load_dwordx2 v[62:63], off, off offset:192
	v_cmp_lt_u32_e64 s[0:1], 24, v0
	s_waitcnt vmcnt(0)
	ds_write_b64 v1, v[62:63]
	s_waitcnt lgkmcnt(0)
	; wave barrier
	s_and_saveexec_b64 s[4:5], s[0:1]
	s_cbranch_execz .LBB28_36
; %bb.27:
	s_andn2_b64 vcc, exec, s[6:7]
	s_cbranch_vccnz .LBB28_29
; %bb.28:
	scratch_load_dwordx2 v[62:63], v11, off
	ds_read_b64 v[64:65], v1
	s_waitcnt vmcnt(0) lgkmcnt(0)
	v_mul_f64 v[62:63], v[62:63], v[64:65]
	s_cbranch_execz .LBB28_30
	s_branch .LBB28_31
.LBB28_29:
                                        ; implicit-def: $vgpr62_vgpr63
.LBB28_30:
	ds_read_b64 v[62:63], v1
.LBB28_31:
	s_and_saveexec_b64 s[8:9], s[2:3]
	s_cbranch_execz .LBB28_35
; %bb.32:
	s_movk_i32 s22, 0xc8
	v_subrev_u32_e32 v64, 25, v0
	s_movk_i32 s23, 0x1b8
	s_mov_b64 s[2:3], 0
.LBB28_33:                              ; =>This Inner Loop Header: Depth=1
	scratch_load_dwordx2 v[66:67], off, s22
	v_mov_b32_e32 v65, s23
	ds_read_b64 v[68:69], v65
	v_add_u32_e32 v64, -1, v64
	s_add_i32 s23, s23, 8
	s_add_i32 s22, s22, 8
	v_cmp_eq_u32_e32 vcc, 0, v64
	s_or_b64 s[2:3], vcc, s[2:3]
	s_waitcnt vmcnt(0) lgkmcnt(0)
	v_fmac_f64_e32 v[62:63], v[66:67], v[68:69]
	s_andn2_b64 exec, exec, s[2:3]
	s_cbranch_execnz .LBB28_33
; %bb.34:
	s_or_b64 exec, exec, s[2:3]
.LBB28_35:
	s_or_b64 exec, exec, s[8:9]
	v_mov_b32_e32 v64, 0
	ds_read_b64 v[64:65], v64 offset:192
	s_waitcnt lgkmcnt(0)
	v_mul_f64 v[62:63], v[62:63], v[64:65]
	scratch_store_dwordx2 off, v[62:63], off offset:192
.LBB28_36:
	s_or_b64 exec, exec, s[4:5]
	scratch_load_dwordx2 v[62:63], off, off offset:184
	v_cmp_lt_u32_e64 s[2:3], 23, v0
	s_waitcnt vmcnt(0)
	ds_write_b64 v1, v[62:63]
	s_waitcnt lgkmcnt(0)
	; wave barrier
	s_and_saveexec_b64 s[4:5], s[2:3]
	s_cbranch_execz .LBB28_46
; %bb.37:
	s_andn2_b64 vcc, exec, s[6:7]
	s_cbranch_vccnz .LBB28_39
; %bb.38:
	scratch_load_dwordx2 v[62:63], v11, off
	ds_read_b64 v[64:65], v1
	s_waitcnt vmcnt(0) lgkmcnt(0)
	v_mul_f64 v[62:63], v[62:63], v[64:65]
	s_cbranch_execz .LBB28_40
	s_branch .LBB28_41
.LBB28_39:
                                        ; implicit-def: $vgpr62_vgpr63
.LBB28_40:
	ds_read_b64 v[62:63], v1
.LBB28_41:
	s_and_saveexec_b64 s[8:9], s[0:1]
	s_cbranch_execz .LBB28_45
; %bb.42:
	v_subrev_u32_e32 v64, 24, v0
	s_movk_i32 s22, 0x1b0
	s_mov_b64 s[0:1], 0
.LBB28_43:                              ; =>This Inner Loop Header: Depth=1
	scratch_load_dwordx2 v[66:67], off, s21
	v_mov_b32_e32 v65, s22
	ds_read_b64 v[68:69], v65
	v_add_u32_e32 v64, -1, v64
	s_add_i32 s22, s22, 8
	s_add_i32 s21, s21, 8
	v_cmp_eq_u32_e32 vcc, 0, v64
	s_or_b64 s[0:1], vcc, s[0:1]
	s_waitcnt vmcnt(0) lgkmcnt(0)
	v_fmac_f64_e32 v[62:63], v[66:67], v[68:69]
	s_andn2_b64 exec, exec, s[0:1]
	s_cbranch_execnz .LBB28_43
; %bb.44:
	s_or_b64 exec, exec, s[0:1]
.LBB28_45:
	s_or_b64 exec, exec, s[8:9]
	v_mov_b32_e32 v64, 0
	ds_read_b64 v[64:65], v64 offset:184
	s_waitcnt lgkmcnt(0)
	v_mul_f64 v[62:63], v[62:63], v[64:65]
	scratch_store_dwordx2 off, v[62:63], off offset:184
.LBB28_46:
	s_or_b64 exec, exec, s[4:5]
	scratch_load_dwordx2 v[62:63], off, off offset:176
	v_cmp_lt_u32_e64 s[0:1], 22, v0
	s_waitcnt vmcnt(0)
	ds_write_b64 v1, v[62:63]
	s_waitcnt lgkmcnt(0)
	; wave barrier
	s_and_saveexec_b64 s[4:5], s[0:1]
	s_cbranch_execz .LBB28_56
; %bb.47:
	s_andn2_b64 vcc, exec, s[6:7]
	s_cbranch_vccnz .LBB28_49
; %bb.48:
	scratch_load_dwordx2 v[62:63], v11, off
	ds_read_b64 v[64:65], v1
	s_waitcnt vmcnt(0) lgkmcnt(0)
	v_mul_f64 v[62:63], v[62:63], v[64:65]
	s_cbranch_execz .LBB28_50
	s_branch .LBB28_51
.LBB28_49:
                                        ; implicit-def: $vgpr62_vgpr63
.LBB28_50:
	ds_read_b64 v[62:63], v1
.LBB28_51:
	s_and_saveexec_b64 s[8:9], s[2:3]
	s_cbranch_execz .LBB28_55
; %bb.52:
	s_movk_i32 s21, 0xb8
	v_subrev_u32_e32 v64, 23, v0
	s_movk_i32 s22, 0x1a8
	s_mov_b64 s[2:3], 0
.LBB28_53:                              ; =>This Inner Loop Header: Depth=1
	scratch_load_dwordx2 v[66:67], off, s21
	v_mov_b32_e32 v65, s22
	ds_read_b64 v[68:69], v65
	v_add_u32_e32 v64, -1, v64
	s_add_i32 s22, s22, 8
	s_add_i32 s21, s21, 8
	v_cmp_eq_u32_e32 vcc, 0, v64
	s_or_b64 s[2:3], vcc, s[2:3]
	s_waitcnt vmcnt(0) lgkmcnt(0)
	v_fmac_f64_e32 v[62:63], v[66:67], v[68:69]
	s_andn2_b64 exec, exec, s[2:3]
	s_cbranch_execnz .LBB28_53
; %bb.54:
	s_or_b64 exec, exec, s[2:3]
.LBB28_55:
	s_or_b64 exec, exec, s[8:9]
	v_mov_b32_e32 v64, 0
	ds_read_b64 v[64:65], v64 offset:176
	s_waitcnt lgkmcnt(0)
	v_mul_f64 v[62:63], v[62:63], v[64:65]
	scratch_store_dwordx2 off, v[62:63], off offset:176
.LBB28_56:
	s_or_b64 exec, exec, s[4:5]
	scratch_load_dwordx2 v[62:63], off, off offset:168
	v_cmp_lt_u32_e64 s[2:3], 21, v0
	s_waitcnt vmcnt(0)
	ds_write_b64 v1, v[62:63]
	s_waitcnt lgkmcnt(0)
	; wave barrier
	s_and_saveexec_b64 s[4:5], s[2:3]
	s_cbranch_execz .LBB28_66
; %bb.57:
	s_andn2_b64 vcc, exec, s[6:7]
	s_cbranch_vccnz .LBB28_59
; %bb.58:
	scratch_load_dwordx2 v[62:63], v11, off
	ds_read_b64 v[64:65], v1
	s_waitcnt vmcnt(0) lgkmcnt(0)
	v_mul_f64 v[62:63], v[62:63], v[64:65]
	s_cbranch_execz .LBB28_60
	s_branch .LBB28_61
.LBB28_59:
                                        ; implicit-def: $vgpr62_vgpr63
.LBB28_60:
	ds_read_b64 v[62:63], v1
.LBB28_61:
	s_and_saveexec_b64 s[8:9], s[0:1]
	s_cbranch_execz .LBB28_65
; %bb.62:
	v_subrev_u32_e32 v64, 22, v0
	s_movk_i32 s21, 0x1a0
	s_mov_b64 s[0:1], 0
.LBB28_63:                              ; =>This Inner Loop Header: Depth=1
	scratch_load_dwordx2 v[66:67], off, s20
	v_mov_b32_e32 v65, s21
	ds_read_b64 v[68:69], v65
	v_add_u32_e32 v64, -1, v64
	s_add_i32 s21, s21, 8
	s_add_i32 s20, s20, 8
	v_cmp_eq_u32_e32 vcc, 0, v64
	s_or_b64 s[0:1], vcc, s[0:1]
	s_waitcnt vmcnt(0) lgkmcnt(0)
	v_fmac_f64_e32 v[62:63], v[66:67], v[68:69]
	s_andn2_b64 exec, exec, s[0:1]
	s_cbranch_execnz .LBB28_63
; %bb.64:
	s_or_b64 exec, exec, s[0:1]
.LBB28_65:
	s_or_b64 exec, exec, s[8:9]
	v_mov_b32_e32 v64, 0
	ds_read_b64 v[64:65], v64 offset:168
	s_waitcnt lgkmcnt(0)
	v_mul_f64 v[62:63], v[62:63], v[64:65]
	scratch_store_dwordx2 off, v[62:63], off offset:168
.LBB28_66:
	s_or_b64 exec, exec, s[4:5]
	scratch_load_dwordx2 v[62:63], off, off offset:160
	v_cmp_lt_u32_e64 s[0:1], 20, v0
	s_waitcnt vmcnt(0)
	ds_write_b64 v1, v[62:63]
	s_waitcnt lgkmcnt(0)
	; wave barrier
	s_and_saveexec_b64 s[4:5], s[0:1]
	s_cbranch_execz .LBB28_76
; %bb.67:
	s_andn2_b64 vcc, exec, s[6:7]
	s_cbranch_vccnz .LBB28_69
; %bb.68:
	scratch_load_dwordx2 v[62:63], v11, off
	ds_read_b64 v[64:65], v1
	s_waitcnt vmcnt(0) lgkmcnt(0)
	v_mul_f64 v[62:63], v[62:63], v[64:65]
	s_cbranch_execz .LBB28_70
	s_branch .LBB28_71
.LBB28_69:
                                        ; implicit-def: $vgpr62_vgpr63
.LBB28_70:
	ds_read_b64 v[62:63], v1
.LBB28_71:
	s_and_saveexec_b64 s[8:9], s[2:3]
	s_cbranch_execz .LBB28_75
; %bb.72:
	s_movk_i32 s20, 0xa8
	v_subrev_u32_e32 v64, 21, v0
	s_movk_i32 s21, 0x198
	s_mov_b64 s[2:3], 0
.LBB28_73:                              ; =>This Inner Loop Header: Depth=1
	scratch_load_dwordx2 v[66:67], off, s20
	v_mov_b32_e32 v65, s21
	ds_read_b64 v[68:69], v65
	v_add_u32_e32 v64, -1, v64
	s_add_i32 s21, s21, 8
	s_add_i32 s20, s20, 8
	v_cmp_eq_u32_e32 vcc, 0, v64
	s_or_b64 s[2:3], vcc, s[2:3]
	s_waitcnt vmcnt(0) lgkmcnt(0)
	v_fmac_f64_e32 v[62:63], v[66:67], v[68:69]
	s_andn2_b64 exec, exec, s[2:3]
	s_cbranch_execnz .LBB28_73
; %bb.74:
	s_or_b64 exec, exec, s[2:3]
.LBB28_75:
	s_or_b64 exec, exec, s[8:9]
	v_mov_b32_e32 v64, 0
	ds_read_b64 v[64:65], v64 offset:160
	s_waitcnt lgkmcnt(0)
	v_mul_f64 v[62:63], v[62:63], v[64:65]
	scratch_store_dwordx2 off, v[62:63], off offset:160
.LBB28_76:
	s_or_b64 exec, exec, s[4:5]
	scratch_load_dwordx2 v[62:63], off, off offset:152
	v_cmp_lt_u32_e64 s[2:3], 19, v0
	s_waitcnt vmcnt(0)
	ds_write_b64 v1, v[62:63]
	s_waitcnt lgkmcnt(0)
	; wave barrier
	s_and_saveexec_b64 s[4:5], s[2:3]
	s_cbranch_execz .LBB28_86
; %bb.77:
	s_andn2_b64 vcc, exec, s[6:7]
	s_cbranch_vccnz .LBB28_79
; %bb.78:
	scratch_load_dwordx2 v[62:63], v11, off
	ds_read_b64 v[64:65], v1
	s_waitcnt vmcnt(0) lgkmcnt(0)
	v_mul_f64 v[62:63], v[62:63], v[64:65]
	s_cbranch_execz .LBB28_80
	s_branch .LBB28_81
.LBB28_79:
                                        ; implicit-def: $vgpr62_vgpr63
.LBB28_80:
	ds_read_b64 v[62:63], v1
.LBB28_81:
	s_and_saveexec_b64 s[8:9], s[0:1]
	s_cbranch_execz .LBB28_85
; %bb.82:
	v_subrev_u32_e32 v64, 20, v0
	s_movk_i32 s20, 0x190
	s_mov_b64 s[0:1], 0
.LBB28_83:                              ; =>This Inner Loop Header: Depth=1
	scratch_load_dwordx2 v[66:67], off, s19
	v_mov_b32_e32 v65, s20
	ds_read_b64 v[68:69], v65
	v_add_u32_e32 v64, -1, v64
	s_add_i32 s20, s20, 8
	s_add_i32 s19, s19, 8
	v_cmp_eq_u32_e32 vcc, 0, v64
	s_or_b64 s[0:1], vcc, s[0:1]
	s_waitcnt vmcnt(0) lgkmcnt(0)
	v_fmac_f64_e32 v[62:63], v[66:67], v[68:69]
	s_andn2_b64 exec, exec, s[0:1]
	s_cbranch_execnz .LBB28_83
; %bb.84:
	s_or_b64 exec, exec, s[0:1]
.LBB28_85:
	s_or_b64 exec, exec, s[8:9]
	v_mov_b32_e32 v64, 0
	ds_read_b64 v[64:65], v64 offset:152
	s_waitcnt lgkmcnt(0)
	v_mul_f64 v[62:63], v[62:63], v[64:65]
	scratch_store_dwordx2 off, v[62:63], off offset:152
.LBB28_86:
	s_or_b64 exec, exec, s[4:5]
	scratch_load_dwordx2 v[62:63], off, off offset:144
	v_cmp_lt_u32_e64 s[0:1], 18, v0
	s_waitcnt vmcnt(0)
	ds_write_b64 v1, v[62:63]
	s_waitcnt lgkmcnt(0)
	; wave barrier
	s_and_saveexec_b64 s[4:5], s[0:1]
	s_cbranch_execz .LBB28_96
; %bb.87:
	s_andn2_b64 vcc, exec, s[6:7]
	s_cbranch_vccnz .LBB28_89
; %bb.88:
	scratch_load_dwordx2 v[62:63], v11, off
	ds_read_b64 v[64:65], v1
	s_waitcnt vmcnt(0) lgkmcnt(0)
	v_mul_f64 v[62:63], v[62:63], v[64:65]
	s_cbranch_execz .LBB28_90
	s_branch .LBB28_91
.LBB28_89:
                                        ; implicit-def: $vgpr62_vgpr63
.LBB28_90:
	ds_read_b64 v[62:63], v1
.LBB28_91:
	s_and_saveexec_b64 s[8:9], s[2:3]
	s_cbranch_execz .LBB28_95
; %bb.92:
	s_movk_i32 s19, 0x98
	v_subrev_u32_e32 v64, 19, v0
	s_movk_i32 s20, 0x188
	s_mov_b64 s[2:3], 0
.LBB28_93:                              ; =>This Inner Loop Header: Depth=1
	scratch_load_dwordx2 v[66:67], off, s19
	v_mov_b32_e32 v65, s20
	ds_read_b64 v[68:69], v65
	v_add_u32_e32 v64, -1, v64
	s_add_i32 s20, s20, 8
	s_add_i32 s19, s19, 8
	v_cmp_eq_u32_e32 vcc, 0, v64
	s_or_b64 s[2:3], vcc, s[2:3]
	s_waitcnt vmcnt(0) lgkmcnt(0)
	v_fmac_f64_e32 v[62:63], v[66:67], v[68:69]
	s_andn2_b64 exec, exec, s[2:3]
	s_cbranch_execnz .LBB28_93
; %bb.94:
	s_or_b64 exec, exec, s[2:3]
.LBB28_95:
	s_or_b64 exec, exec, s[8:9]
	v_mov_b32_e32 v64, 0
	ds_read_b64 v[64:65], v64 offset:144
	s_waitcnt lgkmcnt(0)
	v_mul_f64 v[62:63], v[62:63], v[64:65]
	scratch_store_dwordx2 off, v[62:63], off offset:144
.LBB28_96:
	s_or_b64 exec, exec, s[4:5]
	scratch_load_dwordx2 v[62:63], off, off offset:136
	v_cmp_lt_u32_e64 s[2:3], 17, v0
	s_waitcnt vmcnt(0)
	ds_write_b64 v1, v[62:63]
	s_waitcnt lgkmcnt(0)
	; wave barrier
	s_and_saveexec_b64 s[4:5], s[2:3]
	s_cbranch_execz .LBB28_106
; %bb.97:
	s_andn2_b64 vcc, exec, s[6:7]
	s_cbranch_vccnz .LBB28_99
; %bb.98:
	scratch_load_dwordx2 v[62:63], v11, off
	ds_read_b64 v[64:65], v1
	s_waitcnt vmcnt(0) lgkmcnt(0)
	v_mul_f64 v[62:63], v[62:63], v[64:65]
	s_cbranch_execz .LBB28_100
	s_branch .LBB28_101
.LBB28_99:
                                        ; implicit-def: $vgpr62_vgpr63
.LBB28_100:
	ds_read_b64 v[62:63], v1
.LBB28_101:
	s_and_saveexec_b64 s[8:9], s[0:1]
	s_cbranch_execz .LBB28_105
; %bb.102:
	v_subrev_u32_e32 v64, 18, v0
	s_movk_i32 s19, 0x180
	s_mov_b64 s[0:1], 0
.LBB28_103:                             ; =>This Inner Loop Header: Depth=1
	scratch_load_dwordx2 v[66:67], off, s18
	v_mov_b32_e32 v65, s19
	ds_read_b64 v[68:69], v65
	v_add_u32_e32 v64, -1, v64
	s_add_i32 s19, s19, 8
	s_add_i32 s18, s18, 8
	v_cmp_eq_u32_e32 vcc, 0, v64
	s_or_b64 s[0:1], vcc, s[0:1]
	s_waitcnt vmcnt(0) lgkmcnt(0)
	v_fmac_f64_e32 v[62:63], v[66:67], v[68:69]
	s_andn2_b64 exec, exec, s[0:1]
	s_cbranch_execnz .LBB28_103
; %bb.104:
	s_or_b64 exec, exec, s[0:1]
.LBB28_105:
	s_or_b64 exec, exec, s[8:9]
	v_mov_b32_e32 v64, 0
	ds_read_b64 v[64:65], v64 offset:136
	s_waitcnt lgkmcnt(0)
	v_mul_f64 v[62:63], v[62:63], v[64:65]
	scratch_store_dwordx2 off, v[62:63], off offset:136
.LBB28_106:
	s_or_b64 exec, exec, s[4:5]
	scratch_load_dwordx2 v[62:63], off, off offset:128
	v_cmp_lt_u32_e64 s[0:1], 16, v0
	s_waitcnt vmcnt(0)
	ds_write_b64 v1, v[62:63]
	s_waitcnt lgkmcnt(0)
	; wave barrier
	s_and_saveexec_b64 s[4:5], s[0:1]
	s_cbranch_execz .LBB28_116
; %bb.107:
	s_andn2_b64 vcc, exec, s[6:7]
	s_cbranch_vccnz .LBB28_109
; %bb.108:
	scratch_load_dwordx2 v[62:63], v11, off
	ds_read_b64 v[64:65], v1
	s_waitcnt vmcnt(0) lgkmcnt(0)
	v_mul_f64 v[62:63], v[62:63], v[64:65]
	s_cbranch_execz .LBB28_110
	s_branch .LBB28_111
.LBB28_109:
                                        ; implicit-def: $vgpr62_vgpr63
.LBB28_110:
	ds_read_b64 v[62:63], v1
.LBB28_111:
	s_and_saveexec_b64 s[8:9], s[2:3]
	s_cbranch_execz .LBB28_115
; %bb.112:
	s_movk_i32 s18, 0x88
	v_subrev_u32_e32 v64, 17, v0
	s_movk_i32 s19, 0x178
	s_mov_b64 s[2:3], 0
.LBB28_113:                             ; =>This Inner Loop Header: Depth=1
	scratch_load_dwordx2 v[66:67], off, s18
	v_mov_b32_e32 v65, s19
	ds_read_b64 v[68:69], v65
	v_add_u32_e32 v64, -1, v64
	s_add_i32 s19, s19, 8
	s_add_i32 s18, s18, 8
	v_cmp_eq_u32_e32 vcc, 0, v64
	s_or_b64 s[2:3], vcc, s[2:3]
	s_waitcnt vmcnt(0) lgkmcnt(0)
	v_fmac_f64_e32 v[62:63], v[66:67], v[68:69]
	s_andn2_b64 exec, exec, s[2:3]
	s_cbranch_execnz .LBB28_113
; %bb.114:
	s_or_b64 exec, exec, s[2:3]
.LBB28_115:
	s_or_b64 exec, exec, s[8:9]
	v_mov_b32_e32 v64, 0
	ds_read_b64 v[64:65], v64 offset:128
	s_waitcnt lgkmcnt(0)
	v_mul_f64 v[62:63], v[62:63], v[64:65]
	scratch_store_dwordx2 off, v[62:63], off offset:128
.LBB28_116:
	s_or_b64 exec, exec, s[4:5]
	scratch_load_dwordx2 v[62:63], off, off offset:120
	v_cmp_lt_u32_e64 s[2:3], 15, v0
	s_waitcnt vmcnt(0)
	ds_write_b64 v1, v[62:63]
	s_waitcnt lgkmcnt(0)
	; wave barrier
	s_and_saveexec_b64 s[4:5], s[2:3]
	s_cbranch_execz .LBB28_126
; %bb.117:
	s_andn2_b64 vcc, exec, s[6:7]
	s_cbranch_vccnz .LBB28_119
; %bb.118:
	scratch_load_dwordx2 v[62:63], v11, off
	ds_read_b64 v[64:65], v1
	s_waitcnt vmcnt(0) lgkmcnt(0)
	v_mul_f64 v[62:63], v[62:63], v[64:65]
	s_cbranch_execz .LBB28_120
	s_branch .LBB28_121
.LBB28_119:
                                        ; implicit-def: $vgpr62_vgpr63
.LBB28_120:
	ds_read_b64 v[62:63], v1
.LBB28_121:
	s_and_saveexec_b64 s[8:9], s[0:1]
	s_cbranch_execz .LBB28_125
; %bb.122:
	v_add_u32_e32 v64, -16, v0
	s_movk_i32 s18, 0x170
	s_mov_b64 s[0:1], 0
.LBB28_123:                             ; =>This Inner Loop Header: Depth=1
	scratch_load_dwordx2 v[66:67], off, s17
	v_mov_b32_e32 v65, s18
	ds_read_b64 v[68:69], v65
	v_add_u32_e32 v64, -1, v64
	s_add_i32 s18, s18, 8
	s_add_i32 s17, s17, 8
	v_cmp_eq_u32_e32 vcc, 0, v64
	s_or_b64 s[0:1], vcc, s[0:1]
	s_waitcnt vmcnt(0) lgkmcnt(0)
	v_fmac_f64_e32 v[62:63], v[66:67], v[68:69]
	s_andn2_b64 exec, exec, s[0:1]
	s_cbranch_execnz .LBB28_123
; %bb.124:
	s_or_b64 exec, exec, s[0:1]
.LBB28_125:
	s_or_b64 exec, exec, s[8:9]
	v_mov_b32_e32 v64, 0
	ds_read_b64 v[64:65], v64 offset:120
	s_waitcnt lgkmcnt(0)
	v_mul_f64 v[62:63], v[62:63], v[64:65]
	scratch_store_dwordx2 off, v[62:63], off offset:120
.LBB28_126:
	s_or_b64 exec, exec, s[4:5]
	scratch_load_dwordx2 v[62:63], off, off offset:112
	v_cmp_lt_u32_e64 s[0:1], 14, v0
	s_waitcnt vmcnt(0)
	ds_write_b64 v1, v[62:63]
	s_waitcnt lgkmcnt(0)
	; wave barrier
	s_and_saveexec_b64 s[4:5], s[0:1]
	s_cbranch_execz .LBB28_136
; %bb.127:
	s_andn2_b64 vcc, exec, s[6:7]
	s_cbranch_vccnz .LBB28_129
; %bb.128:
	scratch_load_dwordx2 v[62:63], v11, off
	ds_read_b64 v[64:65], v1
	s_waitcnt vmcnt(0) lgkmcnt(0)
	v_mul_f64 v[62:63], v[62:63], v[64:65]
	s_cbranch_execz .LBB28_130
	s_branch .LBB28_131
.LBB28_129:
                                        ; implicit-def: $vgpr62_vgpr63
.LBB28_130:
	ds_read_b64 v[62:63], v1
.LBB28_131:
	s_and_saveexec_b64 s[8:9], s[2:3]
	s_cbranch_execz .LBB28_135
; %bb.132:
	s_movk_i32 s17, 0x78
	v_add_u32_e32 v64, -15, v0
	s_movk_i32 s18, 0x168
	s_mov_b64 s[2:3], 0
.LBB28_133:                             ; =>This Inner Loop Header: Depth=1
	scratch_load_dwordx2 v[66:67], off, s17
	v_mov_b32_e32 v65, s18
	ds_read_b64 v[68:69], v65
	v_add_u32_e32 v64, -1, v64
	s_add_i32 s18, s18, 8
	s_add_i32 s17, s17, 8
	v_cmp_eq_u32_e32 vcc, 0, v64
	s_or_b64 s[2:3], vcc, s[2:3]
	s_waitcnt vmcnt(0) lgkmcnt(0)
	v_fmac_f64_e32 v[62:63], v[66:67], v[68:69]
	s_andn2_b64 exec, exec, s[2:3]
	s_cbranch_execnz .LBB28_133
; %bb.134:
	s_or_b64 exec, exec, s[2:3]
.LBB28_135:
	s_or_b64 exec, exec, s[8:9]
	v_mov_b32_e32 v64, 0
	ds_read_b64 v[64:65], v64 offset:112
	s_waitcnt lgkmcnt(0)
	v_mul_f64 v[62:63], v[62:63], v[64:65]
	scratch_store_dwordx2 off, v[62:63], off offset:112
.LBB28_136:
	s_or_b64 exec, exec, s[4:5]
	scratch_load_dwordx2 v[62:63], off, off offset:104
	v_cmp_lt_u32_e64 s[2:3], 13, v0
	s_waitcnt vmcnt(0)
	ds_write_b64 v1, v[62:63]
	s_waitcnt lgkmcnt(0)
	; wave barrier
	s_and_saveexec_b64 s[4:5], s[2:3]
	s_cbranch_execz .LBB28_146
; %bb.137:
	s_andn2_b64 vcc, exec, s[6:7]
	s_cbranch_vccnz .LBB28_139
; %bb.138:
	scratch_load_dwordx2 v[62:63], v11, off
	ds_read_b64 v[64:65], v1
	s_waitcnt vmcnt(0) lgkmcnt(0)
	v_mul_f64 v[62:63], v[62:63], v[64:65]
	s_cbranch_execz .LBB28_140
	s_branch .LBB28_141
.LBB28_139:
                                        ; implicit-def: $vgpr62_vgpr63
.LBB28_140:
	ds_read_b64 v[62:63], v1
.LBB28_141:
	s_and_saveexec_b64 s[8:9], s[0:1]
	s_cbranch_execz .LBB28_145
; %bb.142:
	v_add_u32_e32 v64, -14, v0
	s_movk_i32 s17, 0x160
	s_mov_b64 s[0:1], 0
.LBB28_143:                             ; =>This Inner Loop Header: Depth=1
	scratch_load_dwordx2 v[66:67], off, s16
	v_mov_b32_e32 v65, s17
	ds_read_b64 v[68:69], v65
	v_add_u32_e32 v64, -1, v64
	s_add_i32 s17, s17, 8
	s_add_i32 s16, s16, 8
	v_cmp_eq_u32_e32 vcc, 0, v64
	s_or_b64 s[0:1], vcc, s[0:1]
	s_waitcnt vmcnt(0) lgkmcnt(0)
	v_fmac_f64_e32 v[62:63], v[66:67], v[68:69]
	s_andn2_b64 exec, exec, s[0:1]
	s_cbranch_execnz .LBB28_143
; %bb.144:
	s_or_b64 exec, exec, s[0:1]
.LBB28_145:
	s_or_b64 exec, exec, s[8:9]
	v_mov_b32_e32 v64, 0
	ds_read_b64 v[64:65], v64 offset:104
	s_waitcnt lgkmcnt(0)
	v_mul_f64 v[62:63], v[62:63], v[64:65]
	scratch_store_dwordx2 off, v[62:63], off offset:104
.LBB28_146:
	s_or_b64 exec, exec, s[4:5]
	scratch_load_dwordx2 v[62:63], off, off offset:96
	v_cmp_lt_u32_e64 s[0:1], 12, v0
	s_waitcnt vmcnt(0)
	ds_write_b64 v1, v[62:63]
	s_waitcnt lgkmcnt(0)
	; wave barrier
	s_and_saveexec_b64 s[4:5], s[0:1]
	s_cbranch_execz .LBB28_156
; %bb.147:
	s_andn2_b64 vcc, exec, s[6:7]
	s_cbranch_vccnz .LBB28_149
; %bb.148:
	scratch_load_dwordx2 v[62:63], v11, off
	ds_read_b64 v[64:65], v1
	s_waitcnt vmcnt(0) lgkmcnt(0)
	v_mul_f64 v[62:63], v[62:63], v[64:65]
	s_cbranch_execz .LBB28_150
	s_branch .LBB28_151
.LBB28_149:
                                        ; implicit-def: $vgpr62_vgpr63
.LBB28_150:
	ds_read_b64 v[62:63], v1
.LBB28_151:
	s_and_saveexec_b64 s[8:9], s[2:3]
	s_cbranch_execz .LBB28_155
; %bb.152:
	s_movk_i32 s16, 0x68
	v_add_u32_e32 v64, -13, v0
	s_movk_i32 s17, 0x158
	s_mov_b64 s[2:3], 0
.LBB28_153:                             ; =>This Inner Loop Header: Depth=1
	scratch_load_dwordx2 v[66:67], off, s16
	v_mov_b32_e32 v65, s17
	ds_read_b64 v[68:69], v65
	v_add_u32_e32 v64, -1, v64
	s_add_i32 s17, s17, 8
	s_add_i32 s16, s16, 8
	v_cmp_eq_u32_e32 vcc, 0, v64
	s_or_b64 s[2:3], vcc, s[2:3]
	s_waitcnt vmcnt(0) lgkmcnt(0)
	v_fmac_f64_e32 v[62:63], v[66:67], v[68:69]
	s_andn2_b64 exec, exec, s[2:3]
	s_cbranch_execnz .LBB28_153
; %bb.154:
	s_or_b64 exec, exec, s[2:3]
.LBB28_155:
	s_or_b64 exec, exec, s[8:9]
	v_mov_b32_e32 v64, 0
	ds_read_b64 v[64:65], v64 offset:96
	s_waitcnt lgkmcnt(0)
	v_mul_f64 v[62:63], v[62:63], v[64:65]
	scratch_store_dwordx2 off, v[62:63], off offset:96
.LBB28_156:
	s_or_b64 exec, exec, s[4:5]
	scratch_load_dwordx2 v[62:63], off, off offset:88
	v_cmp_lt_u32_e64 s[2:3], 11, v0
	s_waitcnt vmcnt(0)
	ds_write_b64 v1, v[62:63]
	s_waitcnt lgkmcnt(0)
	; wave barrier
	s_and_saveexec_b64 s[4:5], s[2:3]
	s_cbranch_execz .LBB28_166
; %bb.157:
	s_andn2_b64 vcc, exec, s[6:7]
	s_cbranch_vccnz .LBB28_159
; %bb.158:
	scratch_load_dwordx2 v[62:63], v11, off
	ds_read_b64 v[64:65], v1
	s_waitcnt vmcnt(0) lgkmcnt(0)
	v_mul_f64 v[62:63], v[62:63], v[64:65]
	s_cbranch_execz .LBB28_160
	s_branch .LBB28_161
.LBB28_159:
                                        ; implicit-def: $vgpr62_vgpr63
.LBB28_160:
	ds_read_b64 v[62:63], v1
.LBB28_161:
	s_and_saveexec_b64 s[8:9], s[0:1]
	s_cbranch_execz .LBB28_165
; %bb.162:
	v_add_u32_e32 v64, -12, v0
	s_movk_i32 s16, 0x150
	s_mov_b64 s[0:1], 0
.LBB28_163:                             ; =>This Inner Loop Header: Depth=1
	scratch_load_dwordx2 v[66:67], off, s15
	v_mov_b32_e32 v65, s16
	ds_read_b64 v[68:69], v65
	v_add_u32_e32 v64, -1, v64
	s_add_i32 s16, s16, 8
	s_add_i32 s15, s15, 8
	v_cmp_eq_u32_e32 vcc, 0, v64
	s_or_b64 s[0:1], vcc, s[0:1]
	s_waitcnt vmcnt(0) lgkmcnt(0)
	v_fmac_f64_e32 v[62:63], v[66:67], v[68:69]
	s_andn2_b64 exec, exec, s[0:1]
	s_cbranch_execnz .LBB28_163
; %bb.164:
	s_or_b64 exec, exec, s[0:1]
.LBB28_165:
	s_or_b64 exec, exec, s[8:9]
	v_mov_b32_e32 v64, 0
	ds_read_b64 v[64:65], v64 offset:88
	s_waitcnt lgkmcnt(0)
	v_mul_f64 v[62:63], v[62:63], v[64:65]
	scratch_store_dwordx2 off, v[62:63], off offset:88
.LBB28_166:
	s_or_b64 exec, exec, s[4:5]
	scratch_load_dwordx2 v[62:63], off, off offset:80
	v_cmp_lt_u32_e64 s[0:1], 10, v0
	s_waitcnt vmcnt(0)
	ds_write_b64 v1, v[62:63]
	s_waitcnt lgkmcnt(0)
	; wave barrier
	s_and_saveexec_b64 s[4:5], s[0:1]
	s_cbranch_execz .LBB28_176
; %bb.167:
	s_andn2_b64 vcc, exec, s[6:7]
	s_cbranch_vccnz .LBB28_169
; %bb.168:
	scratch_load_dwordx2 v[62:63], v11, off
	ds_read_b64 v[64:65], v1
	s_waitcnt vmcnt(0) lgkmcnt(0)
	v_mul_f64 v[62:63], v[62:63], v[64:65]
	s_cbranch_execz .LBB28_170
	s_branch .LBB28_171
.LBB28_169:
                                        ; implicit-def: $vgpr62_vgpr63
.LBB28_170:
	ds_read_b64 v[62:63], v1
.LBB28_171:
	s_and_saveexec_b64 s[8:9], s[2:3]
	s_cbranch_execz .LBB28_175
; %bb.172:
	s_movk_i32 s15, 0x58
	v_add_u32_e32 v64, -11, v0
	s_movk_i32 s16, 0x148
	s_mov_b64 s[2:3], 0
.LBB28_173:                             ; =>This Inner Loop Header: Depth=1
	scratch_load_dwordx2 v[66:67], off, s15
	v_mov_b32_e32 v65, s16
	ds_read_b64 v[68:69], v65
	v_add_u32_e32 v64, -1, v64
	s_add_i32 s16, s16, 8
	s_add_i32 s15, s15, 8
	v_cmp_eq_u32_e32 vcc, 0, v64
	s_or_b64 s[2:3], vcc, s[2:3]
	s_waitcnt vmcnt(0) lgkmcnt(0)
	v_fmac_f64_e32 v[62:63], v[66:67], v[68:69]
	s_andn2_b64 exec, exec, s[2:3]
	s_cbranch_execnz .LBB28_173
; %bb.174:
	s_or_b64 exec, exec, s[2:3]
.LBB28_175:
	s_or_b64 exec, exec, s[8:9]
	v_mov_b32_e32 v64, 0
	ds_read_b64 v[64:65], v64 offset:80
	s_waitcnt lgkmcnt(0)
	v_mul_f64 v[62:63], v[62:63], v[64:65]
	scratch_store_dwordx2 off, v[62:63], off offset:80
.LBB28_176:
	s_or_b64 exec, exec, s[4:5]
	scratch_load_dwordx2 v[62:63], off, off offset:72
	v_cmp_lt_u32_e64 s[2:3], 9, v0
	s_waitcnt vmcnt(0)
	ds_write_b64 v1, v[62:63]
	s_waitcnt lgkmcnt(0)
	; wave barrier
	s_and_saveexec_b64 s[4:5], s[2:3]
	s_cbranch_execz .LBB28_186
; %bb.177:
	s_andn2_b64 vcc, exec, s[6:7]
	s_cbranch_vccnz .LBB28_179
; %bb.178:
	scratch_load_dwordx2 v[62:63], v11, off
	ds_read_b64 v[64:65], v1
	s_waitcnt vmcnt(0) lgkmcnt(0)
	v_mul_f64 v[62:63], v[62:63], v[64:65]
	s_cbranch_execz .LBB28_180
	s_branch .LBB28_181
.LBB28_179:
                                        ; implicit-def: $vgpr62_vgpr63
.LBB28_180:
	ds_read_b64 v[62:63], v1
.LBB28_181:
	s_and_saveexec_b64 s[8:9], s[0:1]
	s_cbranch_execz .LBB28_185
; %bb.182:
	v_add_u32_e32 v64, -10, v0
	s_movk_i32 s15, 0x140
	s_mov_b64 s[0:1], 0
.LBB28_183:                             ; =>This Inner Loop Header: Depth=1
	scratch_load_dwordx2 v[66:67], off, s14
	v_mov_b32_e32 v65, s15
	ds_read_b64 v[68:69], v65
	v_add_u32_e32 v64, -1, v64
	s_add_i32 s15, s15, 8
	s_add_i32 s14, s14, 8
	v_cmp_eq_u32_e32 vcc, 0, v64
	s_or_b64 s[0:1], vcc, s[0:1]
	s_waitcnt vmcnt(0) lgkmcnt(0)
	v_fmac_f64_e32 v[62:63], v[66:67], v[68:69]
	s_andn2_b64 exec, exec, s[0:1]
	s_cbranch_execnz .LBB28_183
; %bb.184:
	s_or_b64 exec, exec, s[0:1]
.LBB28_185:
	s_or_b64 exec, exec, s[8:9]
	v_mov_b32_e32 v64, 0
	ds_read_b64 v[64:65], v64 offset:72
	s_waitcnt lgkmcnt(0)
	v_mul_f64 v[62:63], v[62:63], v[64:65]
	scratch_store_dwordx2 off, v[62:63], off offset:72
.LBB28_186:
	s_or_b64 exec, exec, s[4:5]
	scratch_load_dwordx2 v[62:63], off, off offset:64
	v_cmp_lt_u32_e64 s[0:1], 8, v0
	s_waitcnt vmcnt(0)
	ds_write_b64 v1, v[62:63]
	s_waitcnt lgkmcnt(0)
	; wave barrier
	s_and_saveexec_b64 s[4:5], s[0:1]
	s_cbranch_execz .LBB28_196
; %bb.187:
	s_andn2_b64 vcc, exec, s[6:7]
	s_cbranch_vccnz .LBB28_189
; %bb.188:
	scratch_load_dwordx2 v[62:63], v11, off
	ds_read_b64 v[64:65], v1
	s_waitcnt vmcnt(0) lgkmcnt(0)
	v_mul_f64 v[62:63], v[62:63], v[64:65]
	s_cbranch_execz .LBB28_190
	s_branch .LBB28_191
.LBB28_189:
                                        ; implicit-def: $vgpr62_vgpr63
.LBB28_190:
	ds_read_b64 v[62:63], v1
.LBB28_191:
	s_and_saveexec_b64 s[8:9], s[2:3]
	s_cbranch_execz .LBB28_195
; %bb.192:
	s_movk_i32 s14, 0x48
	v_add_u32_e32 v64, -9, v0
	s_movk_i32 s15, 0x138
	s_mov_b64 s[2:3], 0
.LBB28_193:                             ; =>This Inner Loop Header: Depth=1
	scratch_load_dwordx2 v[66:67], off, s14
	v_mov_b32_e32 v65, s15
	ds_read_b64 v[68:69], v65
	v_add_u32_e32 v64, -1, v64
	s_add_i32 s15, s15, 8
	s_add_i32 s14, s14, 8
	v_cmp_eq_u32_e32 vcc, 0, v64
	s_or_b64 s[2:3], vcc, s[2:3]
	s_waitcnt vmcnt(0) lgkmcnt(0)
	v_fmac_f64_e32 v[62:63], v[66:67], v[68:69]
	s_andn2_b64 exec, exec, s[2:3]
	s_cbranch_execnz .LBB28_193
; %bb.194:
	s_or_b64 exec, exec, s[2:3]
.LBB28_195:
	s_or_b64 exec, exec, s[8:9]
	v_mov_b32_e32 v64, 0
	ds_read_b64 v[64:65], v64 offset:64
	s_waitcnt lgkmcnt(0)
	v_mul_f64 v[62:63], v[62:63], v[64:65]
	scratch_store_dwordx2 off, v[62:63], off offset:64
.LBB28_196:
	s_or_b64 exec, exec, s[4:5]
	scratch_load_dwordx2 v[62:63], off, off offset:56
	v_cmp_lt_u32_e64 s[2:3], 7, v0
	s_waitcnt vmcnt(0)
	ds_write_b64 v1, v[62:63]
	s_waitcnt lgkmcnt(0)
	; wave barrier
	s_and_saveexec_b64 s[4:5], s[2:3]
	s_cbranch_execz .LBB28_206
; %bb.197:
	s_andn2_b64 vcc, exec, s[6:7]
	s_cbranch_vccnz .LBB28_199
; %bb.198:
	scratch_load_dwordx2 v[62:63], v11, off
	ds_read_b64 v[64:65], v1
	s_waitcnt vmcnt(0) lgkmcnt(0)
	v_mul_f64 v[62:63], v[62:63], v[64:65]
	s_cbranch_execz .LBB28_200
	s_branch .LBB28_201
.LBB28_199:
                                        ; implicit-def: $vgpr62_vgpr63
.LBB28_200:
	ds_read_b64 v[62:63], v1
.LBB28_201:
	s_and_saveexec_b64 s[8:9], s[0:1]
	s_cbranch_execz .LBB28_205
; %bb.202:
	v_add_u32_e32 v64, -8, v0
	s_movk_i32 s14, 0x130
	s_mov_b64 s[0:1], 0
.LBB28_203:                             ; =>This Inner Loop Header: Depth=1
	scratch_load_dwordx2 v[66:67], off, s13
	v_mov_b32_e32 v65, s14
	ds_read_b64 v[68:69], v65
	v_add_u32_e32 v64, -1, v64
	s_add_i32 s14, s14, 8
	s_add_i32 s13, s13, 8
	v_cmp_eq_u32_e32 vcc, 0, v64
	s_or_b64 s[0:1], vcc, s[0:1]
	s_waitcnt vmcnt(0) lgkmcnt(0)
	v_fmac_f64_e32 v[62:63], v[66:67], v[68:69]
	s_andn2_b64 exec, exec, s[0:1]
	s_cbranch_execnz .LBB28_203
; %bb.204:
	s_or_b64 exec, exec, s[0:1]
.LBB28_205:
	s_or_b64 exec, exec, s[8:9]
	v_mov_b32_e32 v64, 0
	ds_read_b64 v[64:65], v64 offset:56
	s_waitcnt lgkmcnt(0)
	v_mul_f64 v[62:63], v[62:63], v[64:65]
	scratch_store_dwordx2 off, v[62:63], off offset:56
.LBB28_206:
	s_or_b64 exec, exec, s[4:5]
	scratch_load_dwordx2 v[62:63], off, off offset:48
	v_cmp_lt_u32_e64 s[0:1], 6, v0
	s_waitcnt vmcnt(0)
	ds_write_b64 v1, v[62:63]
	s_waitcnt lgkmcnt(0)
	; wave barrier
	s_and_saveexec_b64 s[4:5], s[0:1]
	s_cbranch_execz .LBB28_216
; %bb.207:
	s_andn2_b64 vcc, exec, s[6:7]
	s_cbranch_vccnz .LBB28_209
; %bb.208:
	scratch_load_dwordx2 v[62:63], v11, off
	ds_read_b64 v[64:65], v1
	s_waitcnt vmcnt(0) lgkmcnt(0)
	v_mul_f64 v[62:63], v[62:63], v[64:65]
	s_cbranch_execz .LBB28_210
	s_branch .LBB28_211
.LBB28_209:
                                        ; implicit-def: $vgpr62_vgpr63
.LBB28_210:
	ds_read_b64 v[62:63], v1
.LBB28_211:
	s_and_saveexec_b64 s[8:9], s[2:3]
	s_cbranch_execz .LBB28_215
; %bb.212:
	s_mov_b32 s13, 56
	v_add_u32_e32 v64, -7, v0
	s_movk_i32 s14, 0x128
	s_mov_b64 s[2:3], 0
.LBB28_213:                             ; =>This Inner Loop Header: Depth=1
	scratch_load_dwordx2 v[66:67], off, s13
	v_mov_b32_e32 v65, s14
	ds_read_b64 v[68:69], v65
	v_add_u32_e32 v64, -1, v64
	s_add_i32 s14, s14, 8
	s_add_i32 s13, s13, 8
	v_cmp_eq_u32_e32 vcc, 0, v64
	s_or_b64 s[2:3], vcc, s[2:3]
	s_waitcnt vmcnt(0) lgkmcnt(0)
	v_fmac_f64_e32 v[62:63], v[66:67], v[68:69]
	s_andn2_b64 exec, exec, s[2:3]
	s_cbranch_execnz .LBB28_213
; %bb.214:
	s_or_b64 exec, exec, s[2:3]
.LBB28_215:
	s_or_b64 exec, exec, s[8:9]
	v_mov_b32_e32 v64, 0
	ds_read_b64 v[64:65], v64 offset:48
	s_waitcnt lgkmcnt(0)
	v_mul_f64 v[62:63], v[62:63], v[64:65]
	scratch_store_dwordx2 off, v[62:63], off offset:48
.LBB28_216:
	s_or_b64 exec, exec, s[4:5]
	scratch_load_dwordx2 v[62:63], off, off offset:40
	v_cmp_lt_u32_e64 s[2:3], 5, v0
	s_waitcnt vmcnt(0)
	ds_write_b64 v1, v[62:63]
	s_waitcnt lgkmcnt(0)
	; wave barrier
	s_and_saveexec_b64 s[4:5], s[2:3]
	s_cbranch_execz .LBB28_226
; %bb.217:
	s_andn2_b64 vcc, exec, s[6:7]
	s_cbranch_vccnz .LBB28_219
; %bb.218:
	scratch_load_dwordx2 v[62:63], v11, off
	ds_read_b64 v[64:65], v1
	s_waitcnt vmcnt(0) lgkmcnt(0)
	v_mul_f64 v[62:63], v[62:63], v[64:65]
	s_cbranch_execz .LBB28_220
	s_branch .LBB28_221
.LBB28_219:
                                        ; implicit-def: $vgpr62_vgpr63
.LBB28_220:
	ds_read_b64 v[62:63], v1
.LBB28_221:
	s_and_saveexec_b64 s[8:9], s[0:1]
	s_cbranch_execz .LBB28_225
; %bb.222:
	v_add_u32_e32 v64, -6, v0
	s_movk_i32 s13, 0x120
	s_mov_b64 s[0:1], 0
.LBB28_223:                             ; =>This Inner Loop Header: Depth=1
	scratch_load_dwordx2 v[66:67], off, s12
	v_mov_b32_e32 v65, s13
	ds_read_b64 v[68:69], v65
	v_add_u32_e32 v64, -1, v64
	s_add_i32 s13, s13, 8
	s_add_i32 s12, s12, 8
	v_cmp_eq_u32_e32 vcc, 0, v64
	s_or_b64 s[0:1], vcc, s[0:1]
	s_waitcnt vmcnt(0) lgkmcnt(0)
	v_fmac_f64_e32 v[62:63], v[66:67], v[68:69]
	s_andn2_b64 exec, exec, s[0:1]
	s_cbranch_execnz .LBB28_223
; %bb.224:
	s_or_b64 exec, exec, s[0:1]
.LBB28_225:
	s_or_b64 exec, exec, s[8:9]
	v_mov_b32_e32 v64, 0
	ds_read_b64 v[64:65], v64 offset:40
	s_waitcnt lgkmcnt(0)
	v_mul_f64 v[62:63], v[62:63], v[64:65]
	scratch_store_dwordx2 off, v[62:63], off offset:40
.LBB28_226:
	s_or_b64 exec, exec, s[4:5]
	scratch_load_dwordx2 v[62:63], off, off offset:32
	v_cmp_lt_u32_e64 s[0:1], 4, v0
	s_waitcnt vmcnt(0)
	ds_write_b64 v1, v[62:63]
	s_waitcnt lgkmcnt(0)
	; wave barrier
	s_and_saveexec_b64 s[4:5], s[0:1]
	s_cbranch_execz .LBB28_236
; %bb.227:
	s_andn2_b64 vcc, exec, s[6:7]
	s_cbranch_vccnz .LBB28_229
; %bb.228:
	scratch_load_dwordx2 v[62:63], v11, off
	ds_read_b64 v[64:65], v1
	s_waitcnt vmcnt(0) lgkmcnt(0)
	v_mul_f64 v[62:63], v[62:63], v[64:65]
	s_cbranch_execz .LBB28_230
	s_branch .LBB28_231
.LBB28_229:
                                        ; implicit-def: $vgpr62_vgpr63
.LBB28_230:
	ds_read_b64 v[62:63], v1
.LBB28_231:
	s_and_saveexec_b64 s[8:9], s[2:3]
	s_cbranch_execz .LBB28_235
; %bb.232:
	s_mov_b32 s12, 40
	v_add_u32_e32 v64, -5, v0
	s_movk_i32 s13, 0x118
	s_mov_b64 s[2:3], 0
.LBB28_233:                             ; =>This Inner Loop Header: Depth=1
	scratch_load_dwordx2 v[66:67], off, s12
	v_mov_b32_e32 v65, s13
	ds_read_b64 v[68:69], v65
	v_add_u32_e32 v64, -1, v64
	s_add_i32 s13, s13, 8
	s_add_i32 s12, s12, 8
	v_cmp_eq_u32_e32 vcc, 0, v64
	s_or_b64 s[2:3], vcc, s[2:3]
	s_waitcnt vmcnt(0) lgkmcnt(0)
	v_fmac_f64_e32 v[62:63], v[66:67], v[68:69]
	s_andn2_b64 exec, exec, s[2:3]
	s_cbranch_execnz .LBB28_233
; %bb.234:
	s_or_b64 exec, exec, s[2:3]
.LBB28_235:
	s_or_b64 exec, exec, s[8:9]
	v_mov_b32_e32 v64, 0
	ds_read_b64 v[64:65], v64 offset:32
	s_waitcnt lgkmcnt(0)
	v_mul_f64 v[62:63], v[62:63], v[64:65]
	scratch_store_dwordx2 off, v[62:63], off offset:32
.LBB28_236:
	s_or_b64 exec, exec, s[4:5]
	scratch_load_dwordx2 v[62:63], off, off offset:24
	v_cmp_lt_u32_e64 s[2:3], 3, v0
	s_waitcnt vmcnt(0)
	ds_write_b64 v1, v[62:63]
	s_waitcnt lgkmcnt(0)
	; wave barrier
	s_and_saveexec_b64 s[4:5], s[2:3]
	s_cbranch_execz .LBB28_246
; %bb.237:
	s_andn2_b64 vcc, exec, s[6:7]
	s_cbranch_vccnz .LBB28_239
; %bb.238:
	scratch_load_dwordx2 v[62:63], v11, off
	ds_read_b64 v[64:65], v1
	s_waitcnt vmcnt(0) lgkmcnt(0)
	v_mul_f64 v[62:63], v[62:63], v[64:65]
	s_cbranch_execz .LBB28_240
	s_branch .LBB28_241
.LBB28_239:
                                        ; implicit-def: $vgpr62_vgpr63
.LBB28_240:
	ds_read_b64 v[62:63], v1
.LBB28_241:
	s_and_saveexec_b64 s[8:9], s[0:1]
	s_cbranch_execz .LBB28_245
; %bb.242:
	v_add_u32_e32 v64, -4, v0
	s_movk_i32 s12, 0x110
	s_mov_b64 s[0:1], 0
.LBB28_243:                             ; =>This Inner Loop Header: Depth=1
	scratch_load_dwordx2 v[66:67], off, s11
	v_mov_b32_e32 v65, s12
	ds_read_b64 v[68:69], v65
	v_add_u32_e32 v64, -1, v64
	s_add_i32 s12, s12, 8
	s_add_i32 s11, s11, 8
	v_cmp_eq_u32_e32 vcc, 0, v64
	s_or_b64 s[0:1], vcc, s[0:1]
	s_waitcnt vmcnt(0) lgkmcnt(0)
	v_fmac_f64_e32 v[62:63], v[66:67], v[68:69]
	s_andn2_b64 exec, exec, s[0:1]
	s_cbranch_execnz .LBB28_243
; %bb.244:
	s_or_b64 exec, exec, s[0:1]
.LBB28_245:
	s_or_b64 exec, exec, s[8:9]
	v_mov_b32_e32 v64, 0
	ds_read_b64 v[64:65], v64 offset:24
	s_waitcnt lgkmcnt(0)
	v_mul_f64 v[62:63], v[62:63], v[64:65]
	scratch_store_dwordx2 off, v[62:63], off offset:24
.LBB28_246:
	s_or_b64 exec, exec, s[4:5]
	scratch_load_dwordx2 v[62:63], off, off offset:16
	v_cmp_lt_u32_e64 s[0:1], 2, v0
	s_waitcnt vmcnt(0)
	ds_write_b64 v1, v[62:63]
	s_waitcnt lgkmcnt(0)
	; wave barrier
	s_and_saveexec_b64 s[4:5], s[0:1]
	s_cbranch_execz .LBB28_256
; %bb.247:
	s_andn2_b64 vcc, exec, s[6:7]
	s_cbranch_vccnz .LBB28_249
; %bb.248:
	scratch_load_dwordx2 v[62:63], v11, off
	ds_read_b64 v[64:65], v1
	s_waitcnt vmcnt(0) lgkmcnt(0)
	v_mul_f64 v[62:63], v[62:63], v[64:65]
	s_cbranch_execz .LBB28_250
	s_branch .LBB28_251
.LBB28_249:
                                        ; implicit-def: $vgpr62_vgpr63
.LBB28_250:
	ds_read_b64 v[62:63], v1
.LBB28_251:
	s_and_saveexec_b64 s[8:9], s[2:3]
	s_cbranch_execz .LBB28_255
; %bb.252:
	s_mov_b32 s11, 24
	v_add_u32_e32 v64, -3, v0
	s_movk_i32 s12, 0x108
	s_mov_b64 s[2:3], 0
.LBB28_253:                             ; =>This Inner Loop Header: Depth=1
	scratch_load_dwordx2 v[66:67], off, s11
	v_mov_b32_e32 v65, s12
	ds_read_b64 v[68:69], v65
	v_add_u32_e32 v64, -1, v64
	s_add_i32 s12, s12, 8
	s_add_i32 s11, s11, 8
	v_cmp_eq_u32_e32 vcc, 0, v64
	s_or_b64 s[2:3], vcc, s[2:3]
	s_waitcnt vmcnt(0) lgkmcnt(0)
	v_fmac_f64_e32 v[62:63], v[66:67], v[68:69]
	s_andn2_b64 exec, exec, s[2:3]
	s_cbranch_execnz .LBB28_253
; %bb.254:
	s_or_b64 exec, exec, s[2:3]
.LBB28_255:
	s_or_b64 exec, exec, s[8:9]
	v_mov_b32_e32 v64, 0
	ds_read_b64 v[64:65], v64 offset:16
	s_waitcnt lgkmcnt(0)
	v_mul_f64 v[62:63], v[62:63], v[64:65]
	scratch_store_dwordx2 off, v[62:63], off offset:16
.LBB28_256:
	s_or_b64 exec, exec, s[4:5]
	scratch_load_dwordx2 v[62:63], off, off offset:8
	v_cmp_lt_u32_e64 s[2:3], 1, v0
	s_waitcnt vmcnt(0)
	ds_write_b64 v1, v[62:63]
	s_waitcnt lgkmcnt(0)
	; wave barrier
	s_and_saveexec_b64 s[4:5], s[2:3]
	s_cbranch_execz .LBB28_266
; %bb.257:
	s_andn2_b64 vcc, exec, s[6:7]
	s_cbranch_vccnz .LBB28_259
; %bb.258:
	scratch_load_dwordx2 v[62:63], v11, off
	ds_read_b64 v[64:65], v1
	s_waitcnt vmcnt(0) lgkmcnt(0)
	v_mul_f64 v[62:63], v[62:63], v[64:65]
	s_cbranch_execz .LBB28_260
	s_branch .LBB28_261
.LBB28_259:
                                        ; implicit-def: $vgpr62_vgpr63
.LBB28_260:
	ds_read_b64 v[62:63], v1
.LBB28_261:
	s_and_saveexec_b64 s[8:9], s[0:1]
	s_cbranch_execz .LBB28_265
; %bb.262:
	v_add_u32_e32 v64, -2, v0
	s_movk_i32 s11, 0x100
	s_mov_b64 s[0:1], 0
.LBB28_263:                             ; =>This Inner Loop Header: Depth=1
	scratch_load_dwordx2 v[66:67], off, s10
	v_mov_b32_e32 v65, s11
	ds_read_b64 v[68:69], v65
	v_add_u32_e32 v64, -1, v64
	s_add_i32 s11, s11, 8
	s_add_i32 s10, s10, 8
	v_cmp_eq_u32_e32 vcc, 0, v64
	s_or_b64 s[0:1], vcc, s[0:1]
	s_waitcnt vmcnt(0) lgkmcnt(0)
	v_fmac_f64_e32 v[62:63], v[66:67], v[68:69]
	s_andn2_b64 exec, exec, s[0:1]
	s_cbranch_execnz .LBB28_263
; %bb.264:
	s_or_b64 exec, exec, s[0:1]
.LBB28_265:
	s_or_b64 exec, exec, s[8:9]
	v_mov_b32_e32 v64, 0
	ds_read_b64 v[64:65], v64 offset:8
	s_waitcnt lgkmcnt(0)
	v_mul_f64 v[62:63], v[62:63], v[64:65]
	scratch_store_dwordx2 off, v[62:63], off offset:8
.LBB28_266:
	s_or_b64 exec, exec, s[4:5]
	scratch_load_dwordx2 v[62:63], off, off
	v_cmp_ne_u32_e32 vcc, 0, v0
	s_waitcnt vmcnt(0)
	ds_write_b64 v1, v[62:63]
	s_waitcnt lgkmcnt(0)
	; wave barrier
	s_and_saveexec_b64 s[0:1], vcc
	s_cbranch_execz .LBB28_276
; %bb.267:
	s_andn2_b64 vcc, exec, s[6:7]
	s_cbranch_vccnz .LBB28_269
; %bb.268:
	scratch_load_dwordx2 v[62:63], v11, off
	ds_read_b64 v[64:65], v1
	s_waitcnt vmcnt(0) lgkmcnt(0)
	v_mul_f64 v[62:63], v[62:63], v[64:65]
	s_cbranch_execz .LBB28_270
	s_branch .LBB28_271
.LBB28_269:
                                        ; implicit-def: $vgpr62_vgpr63
.LBB28_270:
	ds_read_b64 v[62:63], v1
.LBB28_271:
	s_and_saveexec_b64 s[4:5], s[2:3]
	s_cbranch_execz .LBB28_275
; %bb.272:
	s_or_b32 s8, 0, 8
	v_add_u32_e32 v64, -1, v0
	s_movk_i32 s9, 0xf8
	s_mov_b64 s[2:3], 0
.LBB28_273:                             ; =>This Inner Loop Header: Depth=1
	scratch_load_dwordx2 v[66:67], off, s8
	v_mov_b32_e32 v65, s9
	ds_read_b64 v[68:69], v65
	v_add_u32_e32 v64, -1, v64
	s_add_i32 s9, s9, 8
	s_add_i32 s8, s8, 8
	v_cmp_eq_u32_e32 vcc, 0, v64
	s_or_b64 s[2:3], vcc, s[2:3]
	s_waitcnt vmcnt(0) lgkmcnt(0)
	v_fmac_f64_e32 v[62:63], v[66:67], v[68:69]
	s_andn2_b64 exec, exec, s[2:3]
	s_cbranch_execnz .LBB28_273
; %bb.274:
	s_or_b64 exec, exec, s[2:3]
.LBB28_275:
	s_or_b64 exec, exec, s[4:5]
	v_mov_b32_e32 v64, 0
	ds_read_b64 v[64:65], v64
	s_waitcnt lgkmcnt(0)
	v_mul_f64 v[62:63], v[62:63], v[64:65]
	scratch_store_dwordx2 off, v[62:63], off
.LBB28_276:
	s_or_b64 exec, exec, s[0:1]
	s_mov_b64 s[0:1], 0
.LBB28_277:
	s_and_b64 vcc, exec, s[0:1]
	s_cbranch_vccz .LBB28_549
; %bb.278:
	scratch_load_dwordx2 v[62:63], off, off offset:8
	v_cmp_eq_u32_e64 s[2:3], 0, v0
	s_waitcnt vmcnt(0)
	ds_write_b64 v1, v[62:63]
	s_waitcnt lgkmcnt(0)
	; wave barrier
	s_and_saveexec_b64 s[0:1], s[2:3]
	s_cbranch_execz .LBB28_284
; %bb.279:
	s_and_b64 vcc, exec, s[6:7]
	s_cbranch_vccz .LBB28_281
; %bb.280:
	scratch_load_dwordx2 v[62:63], v11, off
	ds_read_b64 v[64:65], v1
	s_waitcnt vmcnt(0) lgkmcnt(0)
	v_mul_f64 v[62:63], v[62:63], v[64:65]
	s_cbranch_execz .LBB28_282
	s_branch .LBB28_283
.LBB28_281:
                                        ; implicit-def: $vgpr62_vgpr63
.LBB28_282:
	ds_read_b64 v[62:63], v1
.LBB28_283:
	v_mov_b32_e32 v64, 0
	ds_read_b64 v[64:65], v64 offset:8
	s_waitcnt lgkmcnt(0)
	v_mul_f64 v[62:63], v[62:63], v[64:65]
	scratch_store_dwordx2 off, v[62:63], off offset:8
.LBB28_284:
	s_or_b64 exec, exec, s[0:1]
	scratch_load_dwordx2 v[62:63], off, off offset:16
	v_cndmask_b32_e64 v64, 0, 1, s[6:7]
	v_cmp_gt_u32_e32 vcc, 2, v0
	v_cmp_ne_u32_e64 s[0:1], 1, v64
	s_waitcnt vmcnt(0)
	ds_write_b64 v1, v[62:63]
	s_waitcnt lgkmcnt(0)
	; wave barrier
	s_and_saveexec_b64 s[4:5], vcc
	s_cbranch_execz .LBB28_290
; %bb.285:
	s_and_b64 vcc, exec, s[0:1]
	s_cbranch_vccnz .LBB28_287
; %bb.286:
	scratch_load_dwordx2 v[62:63], v11, off
	ds_read_b64 v[64:65], v1
	s_waitcnt vmcnt(0) lgkmcnt(0)
	v_mul_f64 v[62:63], v[62:63], v[64:65]
	s_cbranch_execz .LBB28_288
	s_branch .LBB28_289
.LBB28_287:
                                        ; implicit-def: $vgpr62_vgpr63
.LBB28_288:
	ds_read_b64 v[62:63], v1
.LBB28_289:
	scratch_load_dwordx2 v[68:69], off, off offset:8
	v_mov_b32_e32 v64, 0
	ds_read2_b64 v[64:67], v64 offset0:2 offset1:31
	s_waitcnt vmcnt(0) lgkmcnt(0)
	v_fma_f64 v[66:67], v[68:69], v[66:67], v[62:63]
	v_cndmask_b32_e64 v63, v63, v67, s[2:3]
	v_cndmask_b32_e64 v62, v62, v66, s[2:3]
	v_mul_f64 v[62:63], v[62:63], v[64:65]
	scratch_store_dwordx2 off, v[62:63], off offset:16
.LBB28_290:
	s_or_b64 exec, exec, s[4:5]
	scratch_load_dwordx2 v[62:63], off, off offset:24
	v_cmp_gt_u32_e32 vcc, 3, v0
	s_waitcnt vmcnt(0)
	ds_write_b64 v1, v[62:63]
	s_waitcnt lgkmcnt(0)
	; wave barrier
	s_and_saveexec_b64 s[4:5], vcc
	s_cbranch_execz .LBB28_298
; %bb.291:
	s_and_b64 vcc, exec, s[0:1]
	s_cbranch_vccnz .LBB28_293
; %bb.292:
	scratch_load_dwordx2 v[62:63], v11, off
	ds_read_b64 v[64:65], v1
	s_waitcnt vmcnt(0) lgkmcnt(0)
	v_mul_f64 v[62:63], v[62:63], v[64:65]
	s_cbranch_execz .LBB28_294
	s_branch .LBB28_295
.LBB28_293:
                                        ; implicit-def: $vgpr62_vgpr63
.LBB28_294:
	ds_read_b64 v[62:63], v1
.LBB28_295:
	v_cmp_ne_u32_e32 vcc, 2, v0
	s_and_saveexec_b64 s[6:7], vcc
	s_cbranch_execz .LBB28_297
; %bb.296:
	scratch_load_dwordx2 v[64:65], v11, off offset:8
	ds_read_b64 v[66:67], v1 offset:8
	s_waitcnt vmcnt(0) lgkmcnt(0)
	v_fmac_f64_e32 v[62:63], v[64:65], v[66:67]
	scratch_load_dwordx2 v[64:65], off, off offset:16
	v_mov_b32_e32 v66, 0
	ds_read_b64 v[66:67], v66 offset:256
	s_waitcnt vmcnt(0) lgkmcnt(0)
	v_fma_f64 v[64:65], v[64:65], v[66:67], v[62:63]
	v_cndmask_b32_e64 v63, v63, v65, s[2:3]
	v_cndmask_b32_e64 v62, v62, v64, s[2:3]
.LBB28_297:
	s_or_b64 exec, exec, s[6:7]
	v_mov_b32_e32 v64, 0
	ds_read_b64 v[64:65], v64 offset:24
	s_waitcnt lgkmcnt(0)
	v_mul_f64 v[62:63], v[62:63], v[64:65]
	scratch_store_dwordx2 off, v[62:63], off offset:24
.LBB28_298:
	s_or_b64 exec, exec, s[4:5]
	scratch_load_dwordx2 v[62:63], off, off offset:32
	v_cmp_gt_u32_e32 vcc, 4, v0
	s_waitcnt vmcnt(0)
	ds_write_b64 v1, v[62:63]
	s_waitcnt lgkmcnt(0)
	; wave barrier
	s_and_saveexec_b64 s[2:3], vcc
	s_cbranch_execz .LBB28_308
; %bb.299:
	s_and_b64 vcc, exec, s[0:1]
	s_cbranch_vccnz .LBB28_301
; %bb.300:
	scratch_load_dwordx2 v[62:63], v11, off
	ds_read_b64 v[64:65], v1
	s_waitcnt vmcnt(0) lgkmcnt(0)
	v_mul_f64 v[62:63], v[62:63], v[64:65]
	s_cbranch_execz .LBB28_302
	s_branch .LBB28_303
.LBB28_301:
                                        ; implicit-def: $vgpr62_vgpr63
.LBB28_302:
	ds_read_b64 v[62:63], v1
.LBB28_303:
	v_cmp_ne_u32_e32 vcc, 3, v0
	s_and_saveexec_b64 s[4:5], vcc
	s_cbranch_execz .LBB28_307
; %bb.304:
	s_mov_b32 s6, 0
	v_add_u32_e32 v64, 0xf8, v10
	v_add3_u32 v65, v10, s6, 8
	s_mov_b64 s[6:7], 0
	v_mov_b32_e32 v66, v0
.LBB28_305:                             ; =>This Inner Loop Header: Depth=1
	scratch_load_dwordx2 v[68:69], v65, off
	ds_read_b64 v[70:71], v64
	v_add_u32_e32 v66, 1, v66
	v_cmp_lt_u32_e32 vcc, 2, v66
	v_add_u32_e32 v64, 8, v64
	v_add_u32_e32 v65, 8, v65
	s_or_b64 s[6:7], vcc, s[6:7]
	s_waitcnt vmcnt(0) lgkmcnt(0)
	v_fmac_f64_e32 v[62:63], v[68:69], v[70:71]
	s_andn2_b64 exec, exec, s[6:7]
	s_cbranch_execnz .LBB28_305
; %bb.306:
	s_or_b64 exec, exec, s[6:7]
.LBB28_307:
	s_or_b64 exec, exec, s[4:5]
	v_mov_b32_e32 v64, 0
	ds_read_b64 v[64:65], v64 offset:32
	s_waitcnt lgkmcnt(0)
	v_mul_f64 v[62:63], v[62:63], v[64:65]
	scratch_store_dwordx2 off, v[62:63], off offset:32
.LBB28_308:
	s_or_b64 exec, exec, s[2:3]
	scratch_load_dwordx2 v[62:63], off, off offset:40
	v_cmp_gt_u32_e32 vcc, 5, v0
	s_waitcnt vmcnt(0)
	ds_write_b64 v1, v[62:63]
	s_waitcnt lgkmcnt(0)
	; wave barrier
	s_and_saveexec_b64 s[2:3], vcc
	s_cbranch_execz .LBB28_318
; %bb.309:
	s_and_b64 vcc, exec, s[0:1]
	s_cbranch_vccnz .LBB28_311
; %bb.310:
	scratch_load_dwordx2 v[62:63], v11, off
	ds_read_b64 v[64:65], v1
	s_waitcnt vmcnt(0) lgkmcnt(0)
	v_mul_f64 v[62:63], v[62:63], v[64:65]
	s_cbranch_execz .LBB28_312
	s_branch .LBB28_313
.LBB28_311:
                                        ; implicit-def: $vgpr62_vgpr63
.LBB28_312:
	ds_read_b64 v[62:63], v1
.LBB28_313:
	v_cmp_ne_u32_e32 vcc, 4, v0
	s_and_saveexec_b64 s[4:5], vcc
	s_cbranch_execz .LBB28_317
; %bb.314:
	s_mov_b32 s6, 0
	v_add_u32_e32 v64, 0xf8, v10
	v_add3_u32 v65, v10, s6, 8
	s_mov_b64 s[6:7], 0
	v_mov_b32_e32 v66, v0
.LBB28_315:                             ; =>This Inner Loop Header: Depth=1
	scratch_load_dwordx2 v[68:69], v65, off
	ds_read_b64 v[70:71], v64
	v_add_u32_e32 v66, 1, v66
	v_cmp_lt_u32_e32 vcc, 3, v66
	v_add_u32_e32 v64, 8, v64
	v_add_u32_e32 v65, 8, v65
	s_or_b64 s[6:7], vcc, s[6:7]
	s_waitcnt vmcnt(0) lgkmcnt(0)
	v_fmac_f64_e32 v[62:63], v[68:69], v[70:71]
	s_andn2_b64 exec, exec, s[6:7]
	s_cbranch_execnz .LBB28_315
; %bb.316:
	s_or_b64 exec, exec, s[6:7]
.LBB28_317:
	s_or_b64 exec, exec, s[4:5]
	v_mov_b32_e32 v64, 0
	ds_read_b64 v[64:65], v64 offset:40
	s_waitcnt lgkmcnt(0)
	v_mul_f64 v[62:63], v[62:63], v[64:65]
	scratch_store_dwordx2 off, v[62:63], off offset:40
.LBB28_318:
	;; [unrolled: 55-line block ×23, first 2 shown]
	s_or_b64 exec, exec, s[2:3]
	scratch_load_dwordx2 v[62:63], off, off offset:216
	v_cmp_gt_u32_e64 s[2:3], 27, v0
	s_waitcnt vmcnt(0)
	ds_write_b64 v1, v[62:63]
	s_waitcnt lgkmcnt(0)
	; wave barrier
	s_and_saveexec_b64 s[4:5], s[2:3]
	s_cbranch_execz .LBB28_538
; %bb.529:
	s_and_b64 vcc, exec, s[0:1]
	s_cbranch_vccnz .LBB28_531
; %bb.530:
	scratch_load_dwordx2 v[62:63], v11, off
	ds_read_b64 v[64:65], v1
	s_waitcnt vmcnt(0) lgkmcnt(0)
	v_mul_f64 v[62:63], v[62:63], v[64:65]
	s_cbranch_execz .LBB28_532
	s_branch .LBB28_533
.LBB28_531:
                                        ; implicit-def: $vgpr62_vgpr63
.LBB28_532:
	ds_read_b64 v[62:63], v1
.LBB28_533:
	v_cmp_ne_u32_e32 vcc, 26, v0
	s_and_saveexec_b64 s[6:7], vcc
	s_cbranch_execz .LBB28_537
; %bb.534:
	s_mov_b32 s8, 0
	v_add_u32_e32 v64, 0xf8, v10
	v_add3_u32 v65, v10, s8, 8
	s_mov_b64 s[8:9], 0
	v_mov_b32_e32 v66, v0
.LBB28_535:                             ; =>This Inner Loop Header: Depth=1
	scratch_load_dwordx2 v[68:69], v65, off
	ds_read_b64 v[70:71], v64
	v_add_u32_e32 v66, 1, v66
	v_cmp_lt_u32_e32 vcc, 25, v66
	v_add_u32_e32 v64, 8, v64
	v_add_u32_e32 v65, 8, v65
	s_or_b64 s[8:9], vcc, s[8:9]
	s_waitcnt vmcnt(0) lgkmcnt(0)
	v_fmac_f64_e32 v[62:63], v[68:69], v[70:71]
	s_andn2_b64 exec, exec, s[8:9]
	s_cbranch_execnz .LBB28_535
; %bb.536:
	s_or_b64 exec, exec, s[8:9]
.LBB28_537:
	s_or_b64 exec, exec, s[6:7]
	v_mov_b32_e32 v64, 0
	ds_read_b64 v[64:65], v64 offset:216
	s_waitcnt lgkmcnt(0)
	v_mul_f64 v[62:63], v[62:63], v[64:65]
	scratch_store_dwordx2 off, v[62:63], off offset:216
.LBB28_538:
	s_or_b64 exec, exec, s[4:5]
	scratch_load_dwordx2 v[62:63], off, off offset:224
	v_cmp_ne_u32_e32 vcc, 28, v0
	s_waitcnt vmcnt(0)
	ds_write_b64 v1, v[62:63]
	s_waitcnt lgkmcnt(0)
	; wave barrier
	s_and_saveexec_b64 s[4:5], vcc
	s_cbranch_execz .LBB28_548
; %bb.539:
	s_and_b64 vcc, exec, s[0:1]
	s_cbranch_vccnz .LBB28_541
; %bb.540:
	scratch_load_dwordx2 v[62:63], v11, off
	ds_read_b64 v[64:65], v1
	s_waitcnt vmcnt(0) lgkmcnt(0)
	v_mul_f64 v[62:63], v[62:63], v[64:65]
	s_cbranch_execz .LBB28_542
	s_branch .LBB28_543
.LBB28_541:
                                        ; implicit-def: $vgpr62_vgpr63
.LBB28_542:
	ds_read_b64 v[62:63], v1
.LBB28_543:
	s_and_saveexec_b64 s[0:1], s[2:3]
	s_cbranch_execz .LBB28_547
; %bb.544:
	s_mov_b32 s2, 0
	v_add_u32_e32 v1, 0xf8, v10
	v_add3_u32 v10, v10, s2, 8
	s_mov_b64 s[2:3], 0
.LBB28_545:                             ; =>This Inner Loop Header: Depth=1
	scratch_load_dwordx2 v[64:65], v10, off
	ds_read_b64 v[66:67], v1
	v_add_u32_e32 v0, 1, v0
	v_cmp_lt_u32_e32 vcc, 26, v0
	v_add_u32_e32 v1, 8, v1
	v_add_u32_e32 v10, 8, v10
	s_or_b64 s[2:3], vcc, s[2:3]
	s_waitcnt vmcnt(0) lgkmcnt(0)
	v_fmac_f64_e32 v[62:63], v[64:65], v[66:67]
	s_andn2_b64 exec, exec, s[2:3]
	s_cbranch_execnz .LBB28_545
; %bb.546:
	s_or_b64 exec, exec, s[2:3]
.LBB28_547:
	s_or_b64 exec, exec, s[0:1]
	v_mov_b32_e32 v0, 0
	ds_read_b64 v[0:1], v0 offset:224
	s_waitcnt lgkmcnt(0)
	v_mul_f64 v[0:1], v[62:63], v[0:1]
	scratch_store_dwordx2 off, v[0:1], off offset:224
.LBB28_548:
	s_or_b64 exec, exec, s[4:5]
.LBB28_549:
	scratch_load_dwordx4 v[62:65], off, off
	s_waitcnt vmcnt(0)
	global_store_dwordx2 v[2:3], v[62:63], off
	global_store_dwordx2 v[4:5], v[64:65], off
	scratch_load_dwordx4 v[0:3], off, off offset:16
	s_waitcnt vmcnt(0)
	global_store_dwordx2 v[6:7], v[0:1], off
	global_store_dwordx2 v[8:9], v[2:3], off
	scratch_load_dwordx4 v[0:3], off, off offset:32
	;; [unrolled: 4-line block ×13, first 2 shown]
	s_waitcnt vmcnt(0)
	global_store_dwordx2 v[58:59], v[0:1], off
	global_store_dwordx2 v[60:61], v[2:3], off
	scratch_load_dwordx2 v[0:1], off, off offset:224
	s_waitcnt vmcnt(0)
	global_store_dwordx2 v[56:57], v[0:1], off
.LBB28_550:
	s_endpgm
	.section	.rodata,"a",@progbits
	.p2align	6, 0x0
	.amdhsa_kernel _ZN9rocsolver6v33100L18trti2_kernel_smallILi29EdPdEEv13rocblas_fill_17rocblas_diagonal_T1_iil
		.amdhsa_group_segment_fixed_size 472
		.amdhsa_private_segment_fixed_size 240
		.amdhsa_kernarg_size 32
		.amdhsa_user_sgpr_count 2
		.amdhsa_user_sgpr_dispatch_ptr 0
		.amdhsa_user_sgpr_queue_ptr 0
		.amdhsa_user_sgpr_kernarg_segment_ptr 1
		.amdhsa_user_sgpr_dispatch_id 0
		.amdhsa_user_sgpr_kernarg_preload_length 0
		.amdhsa_user_sgpr_kernarg_preload_offset 0
		.amdhsa_user_sgpr_private_segment_size 0
		.amdhsa_uses_dynamic_stack 0
		.amdhsa_enable_private_segment 1
		.amdhsa_system_sgpr_workgroup_id_x 1
		.amdhsa_system_sgpr_workgroup_id_y 0
		.amdhsa_system_sgpr_workgroup_id_z 0
		.amdhsa_system_sgpr_workgroup_info 0
		.amdhsa_system_vgpr_workitem_id 0
		.amdhsa_next_free_vgpr 72
		.amdhsa_next_free_sgpr 24
		.amdhsa_accum_offset 72
		.amdhsa_reserve_vcc 1
		.amdhsa_float_round_mode_32 0
		.amdhsa_float_round_mode_16_64 0
		.amdhsa_float_denorm_mode_32 3
		.amdhsa_float_denorm_mode_16_64 3
		.amdhsa_dx10_clamp 1
		.amdhsa_ieee_mode 1
		.amdhsa_fp16_overflow 0
		.amdhsa_tg_split 0
		.amdhsa_exception_fp_ieee_invalid_op 0
		.amdhsa_exception_fp_denorm_src 0
		.amdhsa_exception_fp_ieee_div_zero 0
		.amdhsa_exception_fp_ieee_overflow 0
		.amdhsa_exception_fp_ieee_underflow 0
		.amdhsa_exception_fp_ieee_inexact 0
		.amdhsa_exception_int_div_zero 0
	.end_amdhsa_kernel
	.section	.text._ZN9rocsolver6v33100L18trti2_kernel_smallILi29EdPdEEv13rocblas_fill_17rocblas_diagonal_T1_iil,"axG",@progbits,_ZN9rocsolver6v33100L18trti2_kernel_smallILi29EdPdEEv13rocblas_fill_17rocblas_diagonal_T1_iil,comdat
.Lfunc_end28:
	.size	_ZN9rocsolver6v33100L18trti2_kernel_smallILi29EdPdEEv13rocblas_fill_17rocblas_diagonal_T1_iil, .Lfunc_end28-_ZN9rocsolver6v33100L18trti2_kernel_smallILi29EdPdEEv13rocblas_fill_17rocblas_diagonal_T1_iil
                                        ; -- End function
	.set _ZN9rocsolver6v33100L18trti2_kernel_smallILi29EdPdEEv13rocblas_fill_17rocblas_diagonal_T1_iil.num_vgpr, 72
	.set _ZN9rocsolver6v33100L18trti2_kernel_smallILi29EdPdEEv13rocblas_fill_17rocblas_diagonal_T1_iil.num_agpr, 0
	.set _ZN9rocsolver6v33100L18trti2_kernel_smallILi29EdPdEEv13rocblas_fill_17rocblas_diagonal_T1_iil.numbered_sgpr, 24
	.set _ZN9rocsolver6v33100L18trti2_kernel_smallILi29EdPdEEv13rocblas_fill_17rocblas_diagonal_T1_iil.num_named_barrier, 0
	.set _ZN9rocsolver6v33100L18trti2_kernel_smallILi29EdPdEEv13rocblas_fill_17rocblas_diagonal_T1_iil.private_seg_size, 240
	.set _ZN9rocsolver6v33100L18trti2_kernel_smallILi29EdPdEEv13rocblas_fill_17rocblas_diagonal_T1_iil.uses_vcc, 1
	.set _ZN9rocsolver6v33100L18trti2_kernel_smallILi29EdPdEEv13rocblas_fill_17rocblas_diagonal_T1_iil.uses_flat_scratch, 0
	.set _ZN9rocsolver6v33100L18trti2_kernel_smallILi29EdPdEEv13rocblas_fill_17rocblas_diagonal_T1_iil.has_dyn_sized_stack, 0
	.set _ZN9rocsolver6v33100L18trti2_kernel_smallILi29EdPdEEv13rocblas_fill_17rocblas_diagonal_T1_iil.has_recursion, 0
	.set _ZN9rocsolver6v33100L18trti2_kernel_smallILi29EdPdEEv13rocblas_fill_17rocblas_diagonal_T1_iil.has_indirect_call, 0
	.section	.AMDGPU.csdata,"",@progbits
; Kernel info:
; codeLenInByte = 13616
; TotalNumSgprs: 30
; NumVgprs: 72
; NumAgprs: 0
; TotalNumVgprs: 72
; ScratchSize: 240
; MemoryBound: 0
; FloatMode: 240
; IeeeMode: 1
; LDSByteSize: 472 bytes/workgroup (compile time only)
; SGPRBlocks: 3
; VGPRBlocks: 8
; NumSGPRsForWavesPerEU: 30
; NumVGPRsForWavesPerEU: 72
; AccumOffset: 72
; Occupancy: 7
; WaveLimiterHint : 0
; COMPUTE_PGM_RSRC2:SCRATCH_EN: 1
; COMPUTE_PGM_RSRC2:USER_SGPR: 2
; COMPUTE_PGM_RSRC2:TRAP_HANDLER: 0
; COMPUTE_PGM_RSRC2:TGID_X_EN: 1
; COMPUTE_PGM_RSRC2:TGID_Y_EN: 0
; COMPUTE_PGM_RSRC2:TGID_Z_EN: 0
; COMPUTE_PGM_RSRC2:TIDIG_COMP_CNT: 0
; COMPUTE_PGM_RSRC3_GFX90A:ACCUM_OFFSET: 17
; COMPUTE_PGM_RSRC3_GFX90A:TG_SPLIT: 0
	.section	.text._ZN9rocsolver6v33100L18trti2_kernel_smallILi30EdPdEEv13rocblas_fill_17rocblas_diagonal_T1_iil,"axG",@progbits,_ZN9rocsolver6v33100L18trti2_kernel_smallILi30EdPdEEv13rocblas_fill_17rocblas_diagonal_T1_iil,comdat
	.globl	_ZN9rocsolver6v33100L18trti2_kernel_smallILi30EdPdEEv13rocblas_fill_17rocblas_diagonal_T1_iil ; -- Begin function _ZN9rocsolver6v33100L18trti2_kernel_smallILi30EdPdEEv13rocblas_fill_17rocblas_diagonal_T1_iil
	.p2align	8
	.type	_ZN9rocsolver6v33100L18trti2_kernel_smallILi30EdPdEEv13rocblas_fill_17rocblas_diagonal_T1_iil,@function
_ZN9rocsolver6v33100L18trti2_kernel_smallILi30EdPdEEv13rocblas_fill_17rocblas_diagonal_T1_iil: ; @_ZN9rocsolver6v33100L18trti2_kernel_smallILi30EdPdEEv13rocblas_fill_17rocblas_diagonal_T1_iil
; %bb.0:
	v_cmp_gt_u32_e32 vcc, 30, v0
	s_and_saveexec_b64 s[4:5], vcc
	s_cbranch_execz .LBB29_570
; %bb.1:
	s_load_dwordx8 s[4:11], s[0:1], 0x0
	s_ashr_i32 s3, s2, 31
	v_lshlrev_b32_e32 v16, 3, v0
	v_mov_b32_e32 v17, 0
	s_waitcnt lgkmcnt(0)
	s_ashr_i32 s1, s8, 31
	s_mov_b32 s0, s8
	s_mul_hi_u32 s8, s10, s2
	s_mul_i32 s3, s10, s3
	s_add_i32 s3, s8, s3
	s_mul_i32 s8, s11, s2
	s_add_i32 s3, s3, s8
	s_mul_i32 s2, s10, s2
	s_lshl_b64 s[2:3], s[2:3], 3
	s_add_u32 s2, s6, s2
	s_addc_u32 s3, s7, s3
	s_lshl_b64 s[0:1], s[0:1], 3
	s_add_u32 s0, s2, s0
	s_addc_u32 s1, s3, s1
	v_lshl_add_u64 v[2:3], s[0:1], 0, v[16:17]
	s_ashr_i32 s3, s9, 31
	s_mov_b32 s2, s9
	v_lshl_add_u64 v[4:5], s[2:3], 3, v[2:3]
	global_load_dwordx2 v[6:7], v16, s[0:1]
	global_load_dwordx2 v[8:9], v[4:5], off
	s_add_i32 s2, s9, s9
	s_cmpk_lg_i32 s5, 0x84
	s_cselect_b64 s[6:7], -1, 0
	s_cmpk_eq_i32 s5, 0x84
	s_waitcnt vmcnt(0)
	scratch_store_dwordx4 off, v[6:9], off
	s_nop 1
	v_add_u32_e32 v8, s2, v0
	v_add_u32_e32 v10, s9, v8
	v_ashrrev_i32_e32 v9, 31, v8
	v_ashrrev_i32_e32 v11, 31, v10
	v_lshl_add_u64 v[6:7], v[8:9], 3, s[0:1]
	v_lshl_add_u64 v[8:9], v[10:11], 3, s[0:1]
	global_load_dwordx2 v[12:13], v[6:7], off
	global_load_dwordx2 v[14:15], v[8:9], off
	s_waitcnt vmcnt(0)
	scratch_store_dwordx4 off, v[12:15], off offset:16
	s_nop 1
	v_add_u32_e32 v12, s9, v10
	v_add_u32_e32 v14, s9, v12
	v_ashrrev_i32_e32 v13, 31, v12
	v_ashrrev_i32_e32 v15, 31, v14
	v_lshl_add_u64 v[10:11], v[12:13], 3, s[0:1]
	v_lshl_add_u64 v[12:13], v[14:15], 3, s[0:1]
	global_load_dwordx2 v[18:19], v[10:11], off
	global_load_dwordx2 v[20:21], v[12:13], off
	s_waitcnt vmcnt(0)
	scratch_store_dwordx4 off, v[18:21], off offset:32
	;; [unrolled: 11-line block ×10, first 2 shown]
	s_nop 1
	v_add_u32_e32 v50, s9, v48
	v_add_u32_e32 v52, s9, v50
	v_ashrrev_i32_e32 v51, 31, v50
	v_ashrrev_i32_e32 v53, 31, v52
	v_lshl_add_u64 v[48:49], v[50:51], 3, s[0:1]
	v_lshl_add_u64 v[50:51], v[52:53], 3, s[0:1]
	global_load_dwordx2 v[54:55], v[48:49], off
	global_load_dwordx2 v[56:57], v[50:51], off
	v_add_u32_e32 v52, s9, v52
	v_ashrrev_i32_e32 v53, 31, v52
	s_waitcnt vmcnt(0)
	scratch_store_dwordx4 off, v[54:57], off offset:176
	s_nop 1
	v_lshl_add_u64 v[54:55], v[52:53], 3, s[0:1]
	v_add_u32_e32 v52, s9, v52
	v_ashrrev_i32_e32 v53, 31, v52
	v_lshl_add_u64 v[58:59], v[52:53], 3, s[0:1]
	global_load_dwordx2 v[60:61], v[54:55], off
	global_load_dwordx2 v[62:63], v[58:59], off
	v_add_u32_e32 v52, s9, v52
	v_ashrrev_i32_e32 v53, 31, v52
	s_waitcnt vmcnt(0)
	scratch_store_dwordx4 off, v[60:63], off offset:192
	s_nop 1
	v_lshl_add_u64 v[60:61], v[52:53], 3, s[0:1]
	v_add_u32_e32 v52, s9, v52
	v_ashrrev_i32_e32 v53, 31, v52
	v_lshl_add_u64 v[62:63], v[52:53], 3, s[0:1]
	global_load_dwordx2 v[64:65], v[60:61], off
	global_load_dwordx2 v[66:67], v[62:63], off
	v_add_u32_e32 v56, s9, v52
	v_ashrrev_i32_e32 v57, 31, v56
	v_lshl_add_u64 v[52:53], v[56:57], 3, s[0:1]
	v_add_u32_e32 v56, s9, v56
	v_ashrrev_i32_e32 v57, 31, v56
	v_lshl_add_u64 v[56:57], v[56:57], 3, s[0:1]
	s_waitcnt vmcnt(0)
	scratch_store_dwordx4 off, v[64:67], off offset:208
	global_load_dwordx2 v[64:65], v[52:53], off
	s_nop 0
	global_load_dwordx2 v[66:67], v[56:57], off
	s_waitcnt vmcnt(0)
	scratch_store_dwordx4 off, v[64:67], off offset:224
	s_nop 1
	v_mov_b64_e32 v[64:65], -1.0
	s_cbranch_scc1 .LBB29_3
; %bb.2:
	scratch_load_dwordx2 v[64:65], v16, off
	s_waitcnt vmcnt(0)
	v_div_scale_f64 v[66:67], s[0:1], v[64:65], v[64:65], 1.0
	v_rcp_f64_e32 v[68:69], v[66:67]
	v_div_scale_f64 v[70:71], vcc, 1.0, v[64:65], 1.0
	v_fma_f64 v[72:73], -v[66:67], v[68:69], 1.0
	v_fmac_f64_e32 v[68:69], v[68:69], v[72:73]
	v_fma_f64 v[72:73], -v[66:67], v[68:69], 1.0
	v_fmac_f64_e32 v[68:69], v[68:69], v[72:73]
	v_mul_f64 v[72:73], v[70:71], v[68:69]
	v_fma_f64 v[66:67], -v[66:67], v[72:73], v[70:71]
	v_div_fmas_f64 v[66:67], v[66:67], v[68:69], v[72:73]
	v_div_fixup_f64 v[64:65], v[66:67], v[64:65], 1.0
	scratch_store_dwordx2 v16, v[64:65], off
	v_xor_b32_e32 v65, 0x80000000, v65
.LBB29_3:
	s_cmpk_eq_i32 s4, 0x79
	v_add_u32_e32 v1, 0xf0, v16
	v_mov_b32_e32 v17, v16
	s_mov_b64 s[0:1], -1
	ds_write_b64 v16, v[64:65]
	s_cbranch_scc1 .LBB29_287
; %bb.4:
	scratch_load_dwordx2 v[64:65], off, off offset:224
	s_movk_i32 s8, 0x50
	s_movk_i32 s9, 0x60
	;; [unrolled: 1-line block ×9, first 2 shown]
	v_cmp_eq_u32_e64 s[0:1], 29, v0
	s_waitcnt vmcnt(0)
	ds_write_b64 v1, v[64:65]
	s_waitcnt lgkmcnt(0)
	; wave barrier
	s_and_saveexec_b64 s[2:3], s[0:1]
	s_cbranch_execz .LBB29_10
; %bb.5:
	s_and_b64 vcc, exec, s[6:7]
	s_cbranch_vccz .LBB29_7
; %bb.6:
	scratch_load_dwordx2 v[64:65], v17, off
	ds_read_b64 v[66:67], v1
	s_waitcnt vmcnt(0) lgkmcnt(0)
	v_mul_f64 v[64:65], v[64:65], v[66:67]
	s_cbranch_execz .LBB29_8
	s_branch .LBB29_9
.LBB29_7:
                                        ; implicit-def: $vgpr64_vgpr65
.LBB29_8:
	ds_read_b64 v[64:65], v1
.LBB29_9:
	v_mov_b32_e32 v66, 0
	ds_read_b64 v[66:67], v66 offset:224
	s_waitcnt lgkmcnt(0)
	v_mul_f64 v[64:65], v[64:65], v[66:67]
	scratch_store_dwordx2 off, v[64:65], off offset:224
.LBB29_10:
	s_or_b64 exec, exec, s[2:3]
	scratch_load_dwordx2 v[64:65], off, off offset:216
	s_mov_b32 s10, 16
	s_mov_b32 s11, 32
	;; [unrolled: 1-line block ×6, first 2 shown]
	v_cmp_lt_u32_e64 s[2:3], 27, v0
	s_waitcnt vmcnt(0)
	ds_write_b64 v1, v[64:65]
	s_waitcnt lgkmcnt(0)
	; wave barrier
	s_and_saveexec_b64 s[4:5], s[2:3]
	s_cbranch_execz .LBB29_16
; %bb.11:
	s_andn2_b64 vcc, exec, s[6:7]
	s_cbranch_vccnz .LBB29_13
; %bb.12:
	scratch_load_dwordx2 v[64:65], v17, off
	ds_read_b64 v[66:67], v1
	s_waitcnt vmcnt(0) lgkmcnt(0)
	v_mul_f64 v[64:65], v[64:65], v[66:67]
	s_cbranch_execz .LBB29_14
	s_branch .LBB29_15
.LBB29_13:
                                        ; implicit-def: $vgpr64_vgpr65
.LBB29_14:
	ds_read_b64 v[64:65], v1
.LBB29_15:
	scratch_load_dwordx2 v[70:71], off, off offset:224
	v_mov_b32_e32 v66, 0
	ds_read2_b64 v[66:69], v66 offset0:27 offset1:58
	s_waitcnt vmcnt(0) lgkmcnt(0)
	v_fma_f64 v[68:69], v[70:71], v[68:69], v[64:65]
	v_cndmask_b32_e64 v65, v65, v69, s[0:1]
	v_cndmask_b32_e64 v64, v64, v68, s[0:1]
	v_mul_f64 v[64:65], v[64:65], v[66:67]
	scratch_store_dwordx2 off, v[64:65], off offset:216
.LBB29_16:
	s_or_b64 exec, exec, s[4:5]
	scratch_load_dwordx2 v[64:65], off, off offset:208
	v_cmp_lt_u32_e64 s[0:1], 26, v0
	s_waitcnt vmcnt(0)
	ds_write_b64 v1, v[64:65]
	s_waitcnt lgkmcnt(0)
	; wave barrier
	s_and_saveexec_b64 s[4:5], s[0:1]
	s_cbranch_execz .LBB29_26
; %bb.17:
	s_andn2_b64 vcc, exec, s[6:7]
	s_cbranch_vccnz .LBB29_19
; %bb.18:
	scratch_load_dwordx2 v[64:65], v17, off
	ds_read_b64 v[66:67], v1
	s_waitcnt vmcnt(0) lgkmcnt(0)
	v_mul_f64 v[64:65], v[64:65], v[66:67]
	s_cbranch_execz .LBB29_20
	s_branch .LBB29_21
.LBB29_19:
                                        ; implicit-def: $vgpr64_vgpr65
.LBB29_20:
	ds_read_b64 v[64:65], v1
.LBB29_21:
	s_and_saveexec_b64 s[8:9], s[2:3]
	s_cbranch_execz .LBB29_25
; %bb.22:
	s_movk_i32 s23, 0xd8
	v_subrev_u32_e32 v66, 27, v0
	s_movk_i32 s24, 0x1c8
	s_mov_b64 s[2:3], 0
.LBB29_23:                              ; =>This Inner Loop Header: Depth=1
	scratch_load_dwordx2 v[68:69], off, s23
	v_mov_b32_e32 v67, s24
	ds_read_b64 v[70:71], v67
	v_add_u32_e32 v66, -1, v66
	s_add_i32 s24, s24, 8
	s_add_i32 s23, s23, 8
	v_cmp_eq_u32_e32 vcc, 0, v66
	s_or_b64 s[2:3], vcc, s[2:3]
	s_waitcnt vmcnt(0) lgkmcnt(0)
	v_fmac_f64_e32 v[64:65], v[68:69], v[70:71]
	s_andn2_b64 exec, exec, s[2:3]
	s_cbranch_execnz .LBB29_23
; %bb.24:
	s_or_b64 exec, exec, s[2:3]
.LBB29_25:
	s_or_b64 exec, exec, s[8:9]
	v_mov_b32_e32 v66, 0
	ds_read_b64 v[66:67], v66 offset:208
	s_waitcnt lgkmcnt(0)
	v_mul_f64 v[64:65], v[64:65], v[66:67]
	scratch_store_dwordx2 off, v[64:65], off offset:208
.LBB29_26:
	s_or_b64 exec, exec, s[4:5]
	scratch_load_dwordx2 v[64:65], off, off offset:200
	v_cmp_lt_u32_e64 s[2:3], 25, v0
	s_waitcnt vmcnt(0)
	ds_write_b64 v1, v[64:65]
	s_waitcnt lgkmcnt(0)
	; wave barrier
	s_and_saveexec_b64 s[4:5], s[2:3]
	s_cbranch_execz .LBB29_36
; %bb.27:
	s_andn2_b64 vcc, exec, s[6:7]
	s_cbranch_vccnz .LBB29_29
; %bb.28:
	scratch_load_dwordx2 v[64:65], v17, off
	ds_read_b64 v[66:67], v1
	s_waitcnt vmcnt(0) lgkmcnt(0)
	v_mul_f64 v[64:65], v[64:65], v[66:67]
	s_cbranch_execz .LBB29_30
	s_branch .LBB29_31
.LBB29_29:
                                        ; implicit-def: $vgpr64_vgpr65
.LBB29_30:
	ds_read_b64 v[64:65], v1
.LBB29_31:
	s_and_saveexec_b64 s[8:9], s[0:1]
	s_cbranch_execz .LBB29_35
; %bb.32:
	v_subrev_u32_e32 v66, 26, v0
	s_movk_i32 s23, 0x1c0
	s_mov_b64 s[0:1], 0
.LBB29_33:                              ; =>This Inner Loop Header: Depth=1
	scratch_load_dwordx2 v[68:69], off, s22
	v_mov_b32_e32 v67, s23
	ds_read_b64 v[70:71], v67
	v_add_u32_e32 v66, -1, v66
	s_add_i32 s23, s23, 8
	s_add_i32 s22, s22, 8
	v_cmp_eq_u32_e32 vcc, 0, v66
	s_or_b64 s[0:1], vcc, s[0:1]
	s_waitcnt vmcnt(0) lgkmcnt(0)
	v_fmac_f64_e32 v[64:65], v[68:69], v[70:71]
	s_andn2_b64 exec, exec, s[0:1]
	s_cbranch_execnz .LBB29_33
; %bb.34:
	s_or_b64 exec, exec, s[0:1]
.LBB29_35:
	s_or_b64 exec, exec, s[8:9]
	v_mov_b32_e32 v66, 0
	ds_read_b64 v[66:67], v66 offset:200
	s_waitcnt lgkmcnt(0)
	v_mul_f64 v[64:65], v[64:65], v[66:67]
	scratch_store_dwordx2 off, v[64:65], off offset:200
.LBB29_36:
	s_or_b64 exec, exec, s[4:5]
	scratch_load_dwordx2 v[64:65], off, off offset:192
	v_cmp_lt_u32_e64 s[0:1], 24, v0
	s_waitcnt vmcnt(0)
	ds_write_b64 v1, v[64:65]
	s_waitcnt lgkmcnt(0)
	; wave barrier
	s_and_saveexec_b64 s[4:5], s[0:1]
	s_cbranch_execz .LBB29_46
; %bb.37:
	s_andn2_b64 vcc, exec, s[6:7]
	s_cbranch_vccnz .LBB29_39
; %bb.38:
	scratch_load_dwordx2 v[64:65], v17, off
	ds_read_b64 v[66:67], v1
	s_waitcnt vmcnt(0) lgkmcnt(0)
	v_mul_f64 v[64:65], v[64:65], v[66:67]
	s_cbranch_execz .LBB29_40
	s_branch .LBB29_41
.LBB29_39:
                                        ; implicit-def: $vgpr64_vgpr65
.LBB29_40:
	ds_read_b64 v[64:65], v1
.LBB29_41:
	s_and_saveexec_b64 s[8:9], s[2:3]
	s_cbranch_execz .LBB29_45
; %bb.42:
	s_movk_i32 s22, 0xc8
	v_subrev_u32_e32 v66, 25, v0
	s_movk_i32 s23, 0x1b8
	s_mov_b64 s[2:3], 0
.LBB29_43:                              ; =>This Inner Loop Header: Depth=1
	scratch_load_dwordx2 v[68:69], off, s22
	v_mov_b32_e32 v67, s23
	ds_read_b64 v[70:71], v67
	v_add_u32_e32 v66, -1, v66
	s_add_i32 s23, s23, 8
	s_add_i32 s22, s22, 8
	v_cmp_eq_u32_e32 vcc, 0, v66
	s_or_b64 s[2:3], vcc, s[2:3]
	s_waitcnt vmcnt(0) lgkmcnt(0)
	v_fmac_f64_e32 v[64:65], v[68:69], v[70:71]
	s_andn2_b64 exec, exec, s[2:3]
	s_cbranch_execnz .LBB29_43
; %bb.44:
	s_or_b64 exec, exec, s[2:3]
.LBB29_45:
	s_or_b64 exec, exec, s[8:9]
	v_mov_b32_e32 v66, 0
	ds_read_b64 v[66:67], v66 offset:192
	s_waitcnt lgkmcnt(0)
	v_mul_f64 v[64:65], v[64:65], v[66:67]
	scratch_store_dwordx2 off, v[64:65], off offset:192
.LBB29_46:
	s_or_b64 exec, exec, s[4:5]
	scratch_load_dwordx2 v[64:65], off, off offset:184
	v_cmp_lt_u32_e64 s[2:3], 23, v0
	s_waitcnt vmcnt(0)
	ds_write_b64 v1, v[64:65]
	s_waitcnt lgkmcnt(0)
	; wave barrier
	s_and_saveexec_b64 s[4:5], s[2:3]
	s_cbranch_execz .LBB29_56
; %bb.47:
	s_andn2_b64 vcc, exec, s[6:7]
	s_cbranch_vccnz .LBB29_49
; %bb.48:
	scratch_load_dwordx2 v[64:65], v17, off
	ds_read_b64 v[66:67], v1
	s_waitcnt vmcnt(0) lgkmcnt(0)
	v_mul_f64 v[64:65], v[64:65], v[66:67]
	s_cbranch_execz .LBB29_50
	s_branch .LBB29_51
.LBB29_49:
                                        ; implicit-def: $vgpr64_vgpr65
.LBB29_50:
	ds_read_b64 v[64:65], v1
.LBB29_51:
	s_and_saveexec_b64 s[8:9], s[0:1]
	s_cbranch_execz .LBB29_55
; %bb.52:
	v_subrev_u32_e32 v66, 24, v0
	s_movk_i32 s22, 0x1b0
	s_mov_b64 s[0:1], 0
.LBB29_53:                              ; =>This Inner Loop Header: Depth=1
	scratch_load_dwordx2 v[68:69], off, s21
	v_mov_b32_e32 v67, s22
	ds_read_b64 v[70:71], v67
	v_add_u32_e32 v66, -1, v66
	s_add_i32 s22, s22, 8
	s_add_i32 s21, s21, 8
	v_cmp_eq_u32_e32 vcc, 0, v66
	s_or_b64 s[0:1], vcc, s[0:1]
	s_waitcnt vmcnt(0) lgkmcnt(0)
	v_fmac_f64_e32 v[64:65], v[68:69], v[70:71]
	s_andn2_b64 exec, exec, s[0:1]
	s_cbranch_execnz .LBB29_53
; %bb.54:
	s_or_b64 exec, exec, s[0:1]
.LBB29_55:
	s_or_b64 exec, exec, s[8:9]
	v_mov_b32_e32 v66, 0
	ds_read_b64 v[66:67], v66 offset:184
	s_waitcnt lgkmcnt(0)
	v_mul_f64 v[64:65], v[64:65], v[66:67]
	scratch_store_dwordx2 off, v[64:65], off offset:184
.LBB29_56:
	s_or_b64 exec, exec, s[4:5]
	scratch_load_dwordx2 v[64:65], off, off offset:176
	v_cmp_lt_u32_e64 s[0:1], 22, v0
	s_waitcnt vmcnt(0)
	ds_write_b64 v1, v[64:65]
	s_waitcnt lgkmcnt(0)
	; wave barrier
	s_and_saveexec_b64 s[4:5], s[0:1]
	s_cbranch_execz .LBB29_66
; %bb.57:
	s_andn2_b64 vcc, exec, s[6:7]
	s_cbranch_vccnz .LBB29_59
; %bb.58:
	scratch_load_dwordx2 v[64:65], v17, off
	ds_read_b64 v[66:67], v1
	s_waitcnt vmcnt(0) lgkmcnt(0)
	v_mul_f64 v[64:65], v[64:65], v[66:67]
	s_cbranch_execz .LBB29_60
	s_branch .LBB29_61
.LBB29_59:
                                        ; implicit-def: $vgpr64_vgpr65
.LBB29_60:
	ds_read_b64 v[64:65], v1
.LBB29_61:
	s_and_saveexec_b64 s[8:9], s[2:3]
	s_cbranch_execz .LBB29_65
; %bb.62:
	s_movk_i32 s21, 0xb8
	v_subrev_u32_e32 v66, 23, v0
	s_movk_i32 s22, 0x1a8
	s_mov_b64 s[2:3], 0
.LBB29_63:                              ; =>This Inner Loop Header: Depth=1
	scratch_load_dwordx2 v[68:69], off, s21
	v_mov_b32_e32 v67, s22
	ds_read_b64 v[70:71], v67
	v_add_u32_e32 v66, -1, v66
	s_add_i32 s22, s22, 8
	s_add_i32 s21, s21, 8
	v_cmp_eq_u32_e32 vcc, 0, v66
	s_or_b64 s[2:3], vcc, s[2:3]
	s_waitcnt vmcnt(0) lgkmcnt(0)
	v_fmac_f64_e32 v[64:65], v[68:69], v[70:71]
	s_andn2_b64 exec, exec, s[2:3]
	s_cbranch_execnz .LBB29_63
; %bb.64:
	s_or_b64 exec, exec, s[2:3]
.LBB29_65:
	s_or_b64 exec, exec, s[8:9]
	v_mov_b32_e32 v66, 0
	ds_read_b64 v[66:67], v66 offset:176
	s_waitcnt lgkmcnt(0)
	v_mul_f64 v[64:65], v[64:65], v[66:67]
	scratch_store_dwordx2 off, v[64:65], off offset:176
.LBB29_66:
	s_or_b64 exec, exec, s[4:5]
	scratch_load_dwordx2 v[64:65], off, off offset:168
	v_cmp_lt_u32_e64 s[2:3], 21, v0
	s_waitcnt vmcnt(0)
	ds_write_b64 v1, v[64:65]
	s_waitcnt lgkmcnt(0)
	; wave barrier
	s_and_saveexec_b64 s[4:5], s[2:3]
	s_cbranch_execz .LBB29_76
; %bb.67:
	s_andn2_b64 vcc, exec, s[6:7]
	s_cbranch_vccnz .LBB29_69
; %bb.68:
	scratch_load_dwordx2 v[64:65], v17, off
	ds_read_b64 v[66:67], v1
	s_waitcnt vmcnt(0) lgkmcnt(0)
	v_mul_f64 v[64:65], v[64:65], v[66:67]
	s_cbranch_execz .LBB29_70
	s_branch .LBB29_71
.LBB29_69:
                                        ; implicit-def: $vgpr64_vgpr65
.LBB29_70:
	ds_read_b64 v[64:65], v1
.LBB29_71:
	s_and_saveexec_b64 s[8:9], s[0:1]
	s_cbranch_execz .LBB29_75
; %bb.72:
	v_subrev_u32_e32 v66, 22, v0
	s_movk_i32 s21, 0x1a0
	s_mov_b64 s[0:1], 0
.LBB29_73:                              ; =>This Inner Loop Header: Depth=1
	scratch_load_dwordx2 v[68:69], off, s20
	v_mov_b32_e32 v67, s21
	ds_read_b64 v[70:71], v67
	v_add_u32_e32 v66, -1, v66
	s_add_i32 s21, s21, 8
	s_add_i32 s20, s20, 8
	v_cmp_eq_u32_e32 vcc, 0, v66
	s_or_b64 s[0:1], vcc, s[0:1]
	s_waitcnt vmcnt(0) lgkmcnt(0)
	v_fmac_f64_e32 v[64:65], v[68:69], v[70:71]
	s_andn2_b64 exec, exec, s[0:1]
	s_cbranch_execnz .LBB29_73
; %bb.74:
	s_or_b64 exec, exec, s[0:1]
.LBB29_75:
	s_or_b64 exec, exec, s[8:9]
	v_mov_b32_e32 v66, 0
	ds_read_b64 v[66:67], v66 offset:168
	s_waitcnt lgkmcnt(0)
	v_mul_f64 v[64:65], v[64:65], v[66:67]
	scratch_store_dwordx2 off, v[64:65], off offset:168
.LBB29_76:
	s_or_b64 exec, exec, s[4:5]
	scratch_load_dwordx2 v[64:65], off, off offset:160
	v_cmp_lt_u32_e64 s[0:1], 20, v0
	s_waitcnt vmcnt(0)
	ds_write_b64 v1, v[64:65]
	s_waitcnt lgkmcnt(0)
	; wave barrier
	s_and_saveexec_b64 s[4:5], s[0:1]
	s_cbranch_execz .LBB29_86
; %bb.77:
	s_andn2_b64 vcc, exec, s[6:7]
	s_cbranch_vccnz .LBB29_79
; %bb.78:
	scratch_load_dwordx2 v[64:65], v17, off
	ds_read_b64 v[66:67], v1
	s_waitcnt vmcnt(0) lgkmcnt(0)
	v_mul_f64 v[64:65], v[64:65], v[66:67]
	s_cbranch_execz .LBB29_80
	s_branch .LBB29_81
.LBB29_79:
                                        ; implicit-def: $vgpr64_vgpr65
.LBB29_80:
	ds_read_b64 v[64:65], v1
.LBB29_81:
	s_and_saveexec_b64 s[8:9], s[2:3]
	s_cbranch_execz .LBB29_85
; %bb.82:
	s_movk_i32 s20, 0xa8
	v_subrev_u32_e32 v66, 21, v0
	s_movk_i32 s21, 0x198
	s_mov_b64 s[2:3], 0
.LBB29_83:                              ; =>This Inner Loop Header: Depth=1
	scratch_load_dwordx2 v[68:69], off, s20
	v_mov_b32_e32 v67, s21
	ds_read_b64 v[70:71], v67
	v_add_u32_e32 v66, -1, v66
	s_add_i32 s21, s21, 8
	s_add_i32 s20, s20, 8
	v_cmp_eq_u32_e32 vcc, 0, v66
	s_or_b64 s[2:3], vcc, s[2:3]
	s_waitcnt vmcnt(0) lgkmcnt(0)
	v_fmac_f64_e32 v[64:65], v[68:69], v[70:71]
	s_andn2_b64 exec, exec, s[2:3]
	s_cbranch_execnz .LBB29_83
; %bb.84:
	s_or_b64 exec, exec, s[2:3]
.LBB29_85:
	s_or_b64 exec, exec, s[8:9]
	v_mov_b32_e32 v66, 0
	ds_read_b64 v[66:67], v66 offset:160
	s_waitcnt lgkmcnt(0)
	v_mul_f64 v[64:65], v[64:65], v[66:67]
	scratch_store_dwordx2 off, v[64:65], off offset:160
.LBB29_86:
	s_or_b64 exec, exec, s[4:5]
	scratch_load_dwordx2 v[64:65], off, off offset:152
	v_cmp_lt_u32_e64 s[2:3], 19, v0
	s_waitcnt vmcnt(0)
	ds_write_b64 v1, v[64:65]
	s_waitcnt lgkmcnt(0)
	; wave barrier
	s_and_saveexec_b64 s[4:5], s[2:3]
	s_cbranch_execz .LBB29_96
; %bb.87:
	s_andn2_b64 vcc, exec, s[6:7]
	s_cbranch_vccnz .LBB29_89
; %bb.88:
	scratch_load_dwordx2 v[64:65], v17, off
	ds_read_b64 v[66:67], v1
	s_waitcnt vmcnt(0) lgkmcnt(0)
	v_mul_f64 v[64:65], v[64:65], v[66:67]
	s_cbranch_execz .LBB29_90
	s_branch .LBB29_91
.LBB29_89:
                                        ; implicit-def: $vgpr64_vgpr65
.LBB29_90:
	ds_read_b64 v[64:65], v1
.LBB29_91:
	s_and_saveexec_b64 s[8:9], s[0:1]
	s_cbranch_execz .LBB29_95
; %bb.92:
	v_subrev_u32_e32 v66, 20, v0
	s_movk_i32 s20, 0x190
	s_mov_b64 s[0:1], 0
.LBB29_93:                              ; =>This Inner Loop Header: Depth=1
	scratch_load_dwordx2 v[68:69], off, s19
	v_mov_b32_e32 v67, s20
	ds_read_b64 v[70:71], v67
	v_add_u32_e32 v66, -1, v66
	s_add_i32 s20, s20, 8
	s_add_i32 s19, s19, 8
	v_cmp_eq_u32_e32 vcc, 0, v66
	s_or_b64 s[0:1], vcc, s[0:1]
	s_waitcnt vmcnt(0) lgkmcnt(0)
	v_fmac_f64_e32 v[64:65], v[68:69], v[70:71]
	s_andn2_b64 exec, exec, s[0:1]
	s_cbranch_execnz .LBB29_93
; %bb.94:
	s_or_b64 exec, exec, s[0:1]
.LBB29_95:
	s_or_b64 exec, exec, s[8:9]
	v_mov_b32_e32 v66, 0
	ds_read_b64 v[66:67], v66 offset:152
	s_waitcnt lgkmcnt(0)
	v_mul_f64 v[64:65], v[64:65], v[66:67]
	scratch_store_dwordx2 off, v[64:65], off offset:152
.LBB29_96:
	s_or_b64 exec, exec, s[4:5]
	scratch_load_dwordx2 v[64:65], off, off offset:144
	v_cmp_lt_u32_e64 s[0:1], 18, v0
	s_waitcnt vmcnt(0)
	ds_write_b64 v1, v[64:65]
	s_waitcnt lgkmcnt(0)
	; wave barrier
	s_and_saveexec_b64 s[4:5], s[0:1]
	s_cbranch_execz .LBB29_106
; %bb.97:
	s_andn2_b64 vcc, exec, s[6:7]
	s_cbranch_vccnz .LBB29_99
; %bb.98:
	scratch_load_dwordx2 v[64:65], v17, off
	ds_read_b64 v[66:67], v1
	s_waitcnt vmcnt(0) lgkmcnt(0)
	v_mul_f64 v[64:65], v[64:65], v[66:67]
	s_cbranch_execz .LBB29_100
	s_branch .LBB29_101
.LBB29_99:
                                        ; implicit-def: $vgpr64_vgpr65
.LBB29_100:
	ds_read_b64 v[64:65], v1
.LBB29_101:
	s_and_saveexec_b64 s[8:9], s[2:3]
	s_cbranch_execz .LBB29_105
; %bb.102:
	s_movk_i32 s19, 0x98
	v_subrev_u32_e32 v66, 19, v0
	s_movk_i32 s20, 0x188
	s_mov_b64 s[2:3], 0
.LBB29_103:                             ; =>This Inner Loop Header: Depth=1
	scratch_load_dwordx2 v[68:69], off, s19
	v_mov_b32_e32 v67, s20
	ds_read_b64 v[70:71], v67
	v_add_u32_e32 v66, -1, v66
	s_add_i32 s20, s20, 8
	s_add_i32 s19, s19, 8
	v_cmp_eq_u32_e32 vcc, 0, v66
	s_or_b64 s[2:3], vcc, s[2:3]
	s_waitcnt vmcnt(0) lgkmcnt(0)
	v_fmac_f64_e32 v[64:65], v[68:69], v[70:71]
	s_andn2_b64 exec, exec, s[2:3]
	s_cbranch_execnz .LBB29_103
; %bb.104:
	s_or_b64 exec, exec, s[2:3]
.LBB29_105:
	s_or_b64 exec, exec, s[8:9]
	v_mov_b32_e32 v66, 0
	ds_read_b64 v[66:67], v66 offset:144
	s_waitcnt lgkmcnt(0)
	v_mul_f64 v[64:65], v[64:65], v[66:67]
	scratch_store_dwordx2 off, v[64:65], off offset:144
.LBB29_106:
	s_or_b64 exec, exec, s[4:5]
	scratch_load_dwordx2 v[64:65], off, off offset:136
	v_cmp_lt_u32_e64 s[2:3], 17, v0
	s_waitcnt vmcnt(0)
	ds_write_b64 v1, v[64:65]
	s_waitcnt lgkmcnt(0)
	; wave barrier
	s_and_saveexec_b64 s[4:5], s[2:3]
	s_cbranch_execz .LBB29_116
; %bb.107:
	s_andn2_b64 vcc, exec, s[6:7]
	s_cbranch_vccnz .LBB29_109
; %bb.108:
	scratch_load_dwordx2 v[64:65], v17, off
	ds_read_b64 v[66:67], v1
	s_waitcnt vmcnt(0) lgkmcnt(0)
	v_mul_f64 v[64:65], v[64:65], v[66:67]
	s_cbranch_execz .LBB29_110
	s_branch .LBB29_111
.LBB29_109:
                                        ; implicit-def: $vgpr64_vgpr65
.LBB29_110:
	ds_read_b64 v[64:65], v1
.LBB29_111:
	s_and_saveexec_b64 s[8:9], s[0:1]
	s_cbranch_execz .LBB29_115
; %bb.112:
	v_subrev_u32_e32 v66, 18, v0
	s_movk_i32 s19, 0x180
	s_mov_b64 s[0:1], 0
.LBB29_113:                             ; =>This Inner Loop Header: Depth=1
	scratch_load_dwordx2 v[68:69], off, s18
	v_mov_b32_e32 v67, s19
	ds_read_b64 v[70:71], v67
	v_add_u32_e32 v66, -1, v66
	s_add_i32 s19, s19, 8
	s_add_i32 s18, s18, 8
	v_cmp_eq_u32_e32 vcc, 0, v66
	s_or_b64 s[0:1], vcc, s[0:1]
	s_waitcnt vmcnt(0) lgkmcnt(0)
	v_fmac_f64_e32 v[64:65], v[68:69], v[70:71]
	s_andn2_b64 exec, exec, s[0:1]
	s_cbranch_execnz .LBB29_113
; %bb.114:
	s_or_b64 exec, exec, s[0:1]
.LBB29_115:
	s_or_b64 exec, exec, s[8:9]
	v_mov_b32_e32 v66, 0
	ds_read_b64 v[66:67], v66 offset:136
	s_waitcnt lgkmcnt(0)
	v_mul_f64 v[64:65], v[64:65], v[66:67]
	scratch_store_dwordx2 off, v[64:65], off offset:136
.LBB29_116:
	s_or_b64 exec, exec, s[4:5]
	scratch_load_dwordx2 v[64:65], off, off offset:128
	v_cmp_lt_u32_e64 s[0:1], 16, v0
	s_waitcnt vmcnt(0)
	ds_write_b64 v1, v[64:65]
	s_waitcnt lgkmcnt(0)
	; wave barrier
	s_and_saveexec_b64 s[4:5], s[0:1]
	s_cbranch_execz .LBB29_126
; %bb.117:
	s_andn2_b64 vcc, exec, s[6:7]
	s_cbranch_vccnz .LBB29_119
; %bb.118:
	scratch_load_dwordx2 v[64:65], v17, off
	ds_read_b64 v[66:67], v1
	s_waitcnt vmcnt(0) lgkmcnt(0)
	v_mul_f64 v[64:65], v[64:65], v[66:67]
	s_cbranch_execz .LBB29_120
	s_branch .LBB29_121
.LBB29_119:
                                        ; implicit-def: $vgpr64_vgpr65
.LBB29_120:
	ds_read_b64 v[64:65], v1
.LBB29_121:
	s_and_saveexec_b64 s[8:9], s[2:3]
	s_cbranch_execz .LBB29_125
; %bb.122:
	s_movk_i32 s18, 0x88
	v_subrev_u32_e32 v66, 17, v0
	s_movk_i32 s19, 0x178
	s_mov_b64 s[2:3], 0
.LBB29_123:                             ; =>This Inner Loop Header: Depth=1
	scratch_load_dwordx2 v[68:69], off, s18
	v_mov_b32_e32 v67, s19
	ds_read_b64 v[70:71], v67
	v_add_u32_e32 v66, -1, v66
	s_add_i32 s19, s19, 8
	s_add_i32 s18, s18, 8
	v_cmp_eq_u32_e32 vcc, 0, v66
	s_or_b64 s[2:3], vcc, s[2:3]
	s_waitcnt vmcnt(0) lgkmcnt(0)
	v_fmac_f64_e32 v[64:65], v[68:69], v[70:71]
	s_andn2_b64 exec, exec, s[2:3]
	s_cbranch_execnz .LBB29_123
; %bb.124:
	s_or_b64 exec, exec, s[2:3]
.LBB29_125:
	s_or_b64 exec, exec, s[8:9]
	v_mov_b32_e32 v66, 0
	ds_read_b64 v[66:67], v66 offset:128
	s_waitcnt lgkmcnt(0)
	v_mul_f64 v[64:65], v[64:65], v[66:67]
	scratch_store_dwordx2 off, v[64:65], off offset:128
.LBB29_126:
	s_or_b64 exec, exec, s[4:5]
	scratch_load_dwordx2 v[64:65], off, off offset:120
	v_cmp_lt_u32_e64 s[2:3], 15, v0
	s_waitcnt vmcnt(0)
	ds_write_b64 v1, v[64:65]
	s_waitcnt lgkmcnt(0)
	; wave barrier
	s_and_saveexec_b64 s[4:5], s[2:3]
	s_cbranch_execz .LBB29_136
; %bb.127:
	s_andn2_b64 vcc, exec, s[6:7]
	s_cbranch_vccnz .LBB29_129
; %bb.128:
	scratch_load_dwordx2 v[64:65], v17, off
	ds_read_b64 v[66:67], v1
	s_waitcnt vmcnt(0) lgkmcnt(0)
	v_mul_f64 v[64:65], v[64:65], v[66:67]
	s_cbranch_execz .LBB29_130
	s_branch .LBB29_131
.LBB29_129:
                                        ; implicit-def: $vgpr64_vgpr65
.LBB29_130:
	ds_read_b64 v[64:65], v1
.LBB29_131:
	s_and_saveexec_b64 s[8:9], s[0:1]
	s_cbranch_execz .LBB29_135
; %bb.132:
	v_add_u32_e32 v66, -16, v0
	s_movk_i32 s18, 0x170
	s_mov_b64 s[0:1], 0
.LBB29_133:                             ; =>This Inner Loop Header: Depth=1
	scratch_load_dwordx2 v[68:69], off, s17
	v_mov_b32_e32 v67, s18
	ds_read_b64 v[70:71], v67
	v_add_u32_e32 v66, -1, v66
	s_add_i32 s18, s18, 8
	s_add_i32 s17, s17, 8
	v_cmp_eq_u32_e32 vcc, 0, v66
	s_or_b64 s[0:1], vcc, s[0:1]
	s_waitcnt vmcnt(0) lgkmcnt(0)
	v_fmac_f64_e32 v[64:65], v[68:69], v[70:71]
	s_andn2_b64 exec, exec, s[0:1]
	s_cbranch_execnz .LBB29_133
; %bb.134:
	s_or_b64 exec, exec, s[0:1]
.LBB29_135:
	s_or_b64 exec, exec, s[8:9]
	v_mov_b32_e32 v66, 0
	ds_read_b64 v[66:67], v66 offset:120
	s_waitcnt lgkmcnt(0)
	v_mul_f64 v[64:65], v[64:65], v[66:67]
	scratch_store_dwordx2 off, v[64:65], off offset:120
.LBB29_136:
	s_or_b64 exec, exec, s[4:5]
	scratch_load_dwordx2 v[64:65], off, off offset:112
	v_cmp_lt_u32_e64 s[0:1], 14, v0
	s_waitcnt vmcnt(0)
	ds_write_b64 v1, v[64:65]
	s_waitcnt lgkmcnt(0)
	; wave barrier
	s_and_saveexec_b64 s[4:5], s[0:1]
	s_cbranch_execz .LBB29_146
; %bb.137:
	s_andn2_b64 vcc, exec, s[6:7]
	s_cbranch_vccnz .LBB29_139
; %bb.138:
	scratch_load_dwordx2 v[64:65], v17, off
	ds_read_b64 v[66:67], v1
	s_waitcnt vmcnt(0) lgkmcnt(0)
	v_mul_f64 v[64:65], v[64:65], v[66:67]
	s_cbranch_execz .LBB29_140
	s_branch .LBB29_141
.LBB29_139:
                                        ; implicit-def: $vgpr64_vgpr65
.LBB29_140:
	ds_read_b64 v[64:65], v1
.LBB29_141:
	s_and_saveexec_b64 s[8:9], s[2:3]
	s_cbranch_execz .LBB29_145
; %bb.142:
	s_movk_i32 s17, 0x78
	v_add_u32_e32 v66, -15, v0
	s_movk_i32 s18, 0x168
	s_mov_b64 s[2:3], 0
.LBB29_143:                             ; =>This Inner Loop Header: Depth=1
	scratch_load_dwordx2 v[68:69], off, s17
	v_mov_b32_e32 v67, s18
	ds_read_b64 v[70:71], v67
	v_add_u32_e32 v66, -1, v66
	s_add_i32 s18, s18, 8
	s_add_i32 s17, s17, 8
	v_cmp_eq_u32_e32 vcc, 0, v66
	s_or_b64 s[2:3], vcc, s[2:3]
	s_waitcnt vmcnt(0) lgkmcnt(0)
	v_fmac_f64_e32 v[64:65], v[68:69], v[70:71]
	s_andn2_b64 exec, exec, s[2:3]
	s_cbranch_execnz .LBB29_143
; %bb.144:
	s_or_b64 exec, exec, s[2:3]
.LBB29_145:
	s_or_b64 exec, exec, s[8:9]
	v_mov_b32_e32 v66, 0
	ds_read_b64 v[66:67], v66 offset:112
	s_waitcnt lgkmcnt(0)
	v_mul_f64 v[64:65], v[64:65], v[66:67]
	scratch_store_dwordx2 off, v[64:65], off offset:112
.LBB29_146:
	s_or_b64 exec, exec, s[4:5]
	scratch_load_dwordx2 v[64:65], off, off offset:104
	v_cmp_lt_u32_e64 s[2:3], 13, v0
	s_waitcnt vmcnt(0)
	ds_write_b64 v1, v[64:65]
	s_waitcnt lgkmcnt(0)
	; wave barrier
	s_and_saveexec_b64 s[4:5], s[2:3]
	s_cbranch_execz .LBB29_156
; %bb.147:
	s_andn2_b64 vcc, exec, s[6:7]
	s_cbranch_vccnz .LBB29_149
; %bb.148:
	scratch_load_dwordx2 v[64:65], v17, off
	ds_read_b64 v[66:67], v1
	s_waitcnt vmcnt(0) lgkmcnt(0)
	v_mul_f64 v[64:65], v[64:65], v[66:67]
	s_cbranch_execz .LBB29_150
	s_branch .LBB29_151
.LBB29_149:
                                        ; implicit-def: $vgpr64_vgpr65
.LBB29_150:
	ds_read_b64 v[64:65], v1
.LBB29_151:
	s_and_saveexec_b64 s[8:9], s[0:1]
	s_cbranch_execz .LBB29_155
; %bb.152:
	v_add_u32_e32 v66, -14, v0
	s_movk_i32 s17, 0x160
	s_mov_b64 s[0:1], 0
.LBB29_153:                             ; =>This Inner Loop Header: Depth=1
	scratch_load_dwordx2 v[68:69], off, s16
	v_mov_b32_e32 v67, s17
	ds_read_b64 v[70:71], v67
	v_add_u32_e32 v66, -1, v66
	s_add_i32 s17, s17, 8
	s_add_i32 s16, s16, 8
	v_cmp_eq_u32_e32 vcc, 0, v66
	s_or_b64 s[0:1], vcc, s[0:1]
	s_waitcnt vmcnt(0) lgkmcnt(0)
	v_fmac_f64_e32 v[64:65], v[68:69], v[70:71]
	s_andn2_b64 exec, exec, s[0:1]
	s_cbranch_execnz .LBB29_153
; %bb.154:
	s_or_b64 exec, exec, s[0:1]
.LBB29_155:
	s_or_b64 exec, exec, s[8:9]
	v_mov_b32_e32 v66, 0
	ds_read_b64 v[66:67], v66 offset:104
	s_waitcnt lgkmcnt(0)
	v_mul_f64 v[64:65], v[64:65], v[66:67]
	scratch_store_dwordx2 off, v[64:65], off offset:104
.LBB29_156:
	s_or_b64 exec, exec, s[4:5]
	scratch_load_dwordx2 v[64:65], off, off offset:96
	v_cmp_lt_u32_e64 s[0:1], 12, v0
	s_waitcnt vmcnt(0)
	ds_write_b64 v1, v[64:65]
	s_waitcnt lgkmcnt(0)
	; wave barrier
	s_and_saveexec_b64 s[4:5], s[0:1]
	s_cbranch_execz .LBB29_166
; %bb.157:
	s_andn2_b64 vcc, exec, s[6:7]
	s_cbranch_vccnz .LBB29_159
; %bb.158:
	scratch_load_dwordx2 v[64:65], v17, off
	ds_read_b64 v[66:67], v1
	s_waitcnt vmcnt(0) lgkmcnt(0)
	v_mul_f64 v[64:65], v[64:65], v[66:67]
	s_cbranch_execz .LBB29_160
	s_branch .LBB29_161
.LBB29_159:
                                        ; implicit-def: $vgpr64_vgpr65
.LBB29_160:
	ds_read_b64 v[64:65], v1
.LBB29_161:
	s_and_saveexec_b64 s[8:9], s[2:3]
	s_cbranch_execz .LBB29_165
; %bb.162:
	s_movk_i32 s16, 0x68
	v_add_u32_e32 v66, -13, v0
	s_movk_i32 s17, 0x158
	s_mov_b64 s[2:3], 0
.LBB29_163:                             ; =>This Inner Loop Header: Depth=1
	scratch_load_dwordx2 v[68:69], off, s16
	v_mov_b32_e32 v67, s17
	ds_read_b64 v[70:71], v67
	v_add_u32_e32 v66, -1, v66
	s_add_i32 s17, s17, 8
	s_add_i32 s16, s16, 8
	v_cmp_eq_u32_e32 vcc, 0, v66
	s_or_b64 s[2:3], vcc, s[2:3]
	s_waitcnt vmcnt(0) lgkmcnt(0)
	v_fmac_f64_e32 v[64:65], v[68:69], v[70:71]
	s_andn2_b64 exec, exec, s[2:3]
	s_cbranch_execnz .LBB29_163
; %bb.164:
	s_or_b64 exec, exec, s[2:3]
.LBB29_165:
	s_or_b64 exec, exec, s[8:9]
	v_mov_b32_e32 v66, 0
	ds_read_b64 v[66:67], v66 offset:96
	s_waitcnt lgkmcnt(0)
	v_mul_f64 v[64:65], v[64:65], v[66:67]
	scratch_store_dwordx2 off, v[64:65], off offset:96
.LBB29_166:
	s_or_b64 exec, exec, s[4:5]
	scratch_load_dwordx2 v[64:65], off, off offset:88
	v_cmp_lt_u32_e64 s[2:3], 11, v0
	s_waitcnt vmcnt(0)
	ds_write_b64 v1, v[64:65]
	s_waitcnt lgkmcnt(0)
	; wave barrier
	s_and_saveexec_b64 s[4:5], s[2:3]
	s_cbranch_execz .LBB29_176
; %bb.167:
	s_andn2_b64 vcc, exec, s[6:7]
	s_cbranch_vccnz .LBB29_169
; %bb.168:
	scratch_load_dwordx2 v[64:65], v17, off
	ds_read_b64 v[66:67], v1
	s_waitcnt vmcnt(0) lgkmcnt(0)
	v_mul_f64 v[64:65], v[64:65], v[66:67]
	s_cbranch_execz .LBB29_170
	s_branch .LBB29_171
.LBB29_169:
                                        ; implicit-def: $vgpr64_vgpr65
.LBB29_170:
	ds_read_b64 v[64:65], v1
.LBB29_171:
	s_and_saveexec_b64 s[8:9], s[0:1]
	s_cbranch_execz .LBB29_175
; %bb.172:
	v_add_u32_e32 v66, -12, v0
	s_movk_i32 s16, 0x150
	s_mov_b64 s[0:1], 0
.LBB29_173:                             ; =>This Inner Loop Header: Depth=1
	scratch_load_dwordx2 v[68:69], off, s15
	v_mov_b32_e32 v67, s16
	ds_read_b64 v[70:71], v67
	v_add_u32_e32 v66, -1, v66
	s_add_i32 s16, s16, 8
	s_add_i32 s15, s15, 8
	v_cmp_eq_u32_e32 vcc, 0, v66
	s_or_b64 s[0:1], vcc, s[0:1]
	s_waitcnt vmcnt(0) lgkmcnt(0)
	v_fmac_f64_e32 v[64:65], v[68:69], v[70:71]
	s_andn2_b64 exec, exec, s[0:1]
	s_cbranch_execnz .LBB29_173
; %bb.174:
	s_or_b64 exec, exec, s[0:1]
.LBB29_175:
	s_or_b64 exec, exec, s[8:9]
	v_mov_b32_e32 v66, 0
	ds_read_b64 v[66:67], v66 offset:88
	s_waitcnt lgkmcnt(0)
	v_mul_f64 v[64:65], v[64:65], v[66:67]
	scratch_store_dwordx2 off, v[64:65], off offset:88
.LBB29_176:
	s_or_b64 exec, exec, s[4:5]
	scratch_load_dwordx2 v[64:65], off, off offset:80
	v_cmp_lt_u32_e64 s[0:1], 10, v0
	s_waitcnt vmcnt(0)
	ds_write_b64 v1, v[64:65]
	s_waitcnt lgkmcnt(0)
	; wave barrier
	s_and_saveexec_b64 s[4:5], s[0:1]
	s_cbranch_execz .LBB29_186
; %bb.177:
	s_andn2_b64 vcc, exec, s[6:7]
	s_cbranch_vccnz .LBB29_179
; %bb.178:
	scratch_load_dwordx2 v[64:65], v17, off
	ds_read_b64 v[66:67], v1
	s_waitcnt vmcnt(0) lgkmcnt(0)
	v_mul_f64 v[64:65], v[64:65], v[66:67]
	s_cbranch_execz .LBB29_180
	s_branch .LBB29_181
.LBB29_179:
                                        ; implicit-def: $vgpr64_vgpr65
.LBB29_180:
	ds_read_b64 v[64:65], v1
.LBB29_181:
	s_and_saveexec_b64 s[8:9], s[2:3]
	s_cbranch_execz .LBB29_185
; %bb.182:
	s_movk_i32 s15, 0x58
	v_add_u32_e32 v66, -11, v0
	s_movk_i32 s16, 0x148
	s_mov_b64 s[2:3], 0
.LBB29_183:                             ; =>This Inner Loop Header: Depth=1
	scratch_load_dwordx2 v[68:69], off, s15
	v_mov_b32_e32 v67, s16
	ds_read_b64 v[70:71], v67
	v_add_u32_e32 v66, -1, v66
	s_add_i32 s16, s16, 8
	s_add_i32 s15, s15, 8
	v_cmp_eq_u32_e32 vcc, 0, v66
	s_or_b64 s[2:3], vcc, s[2:3]
	s_waitcnt vmcnt(0) lgkmcnt(0)
	v_fmac_f64_e32 v[64:65], v[68:69], v[70:71]
	s_andn2_b64 exec, exec, s[2:3]
	s_cbranch_execnz .LBB29_183
; %bb.184:
	s_or_b64 exec, exec, s[2:3]
.LBB29_185:
	s_or_b64 exec, exec, s[8:9]
	v_mov_b32_e32 v66, 0
	ds_read_b64 v[66:67], v66 offset:80
	s_waitcnt lgkmcnt(0)
	v_mul_f64 v[64:65], v[64:65], v[66:67]
	scratch_store_dwordx2 off, v[64:65], off offset:80
.LBB29_186:
	s_or_b64 exec, exec, s[4:5]
	scratch_load_dwordx2 v[64:65], off, off offset:72
	v_cmp_lt_u32_e64 s[2:3], 9, v0
	s_waitcnt vmcnt(0)
	ds_write_b64 v1, v[64:65]
	s_waitcnt lgkmcnt(0)
	; wave barrier
	s_and_saveexec_b64 s[4:5], s[2:3]
	s_cbranch_execz .LBB29_196
; %bb.187:
	s_andn2_b64 vcc, exec, s[6:7]
	s_cbranch_vccnz .LBB29_189
; %bb.188:
	scratch_load_dwordx2 v[64:65], v17, off
	ds_read_b64 v[66:67], v1
	s_waitcnt vmcnt(0) lgkmcnt(0)
	v_mul_f64 v[64:65], v[64:65], v[66:67]
	s_cbranch_execz .LBB29_190
	s_branch .LBB29_191
.LBB29_189:
                                        ; implicit-def: $vgpr64_vgpr65
.LBB29_190:
	ds_read_b64 v[64:65], v1
.LBB29_191:
	s_and_saveexec_b64 s[8:9], s[0:1]
	s_cbranch_execz .LBB29_195
; %bb.192:
	v_add_u32_e32 v66, -10, v0
	s_movk_i32 s15, 0x140
	s_mov_b64 s[0:1], 0
.LBB29_193:                             ; =>This Inner Loop Header: Depth=1
	scratch_load_dwordx2 v[68:69], off, s14
	v_mov_b32_e32 v67, s15
	ds_read_b64 v[70:71], v67
	v_add_u32_e32 v66, -1, v66
	s_add_i32 s15, s15, 8
	s_add_i32 s14, s14, 8
	v_cmp_eq_u32_e32 vcc, 0, v66
	s_or_b64 s[0:1], vcc, s[0:1]
	s_waitcnt vmcnt(0) lgkmcnt(0)
	v_fmac_f64_e32 v[64:65], v[68:69], v[70:71]
	s_andn2_b64 exec, exec, s[0:1]
	s_cbranch_execnz .LBB29_193
; %bb.194:
	s_or_b64 exec, exec, s[0:1]
.LBB29_195:
	s_or_b64 exec, exec, s[8:9]
	v_mov_b32_e32 v66, 0
	ds_read_b64 v[66:67], v66 offset:72
	s_waitcnt lgkmcnt(0)
	v_mul_f64 v[64:65], v[64:65], v[66:67]
	scratch_store_dwordx2 off, v[64:65], off offset:72
.LBB29_196:
	s_or_b64 exec, exec, s[4:5]
	scratch_load_dwordx2 v[64:65], off, off offset:64
	v_cmp_lt_u32_e64 s[0:1], 8, v0
	s_waitcnt vmcnt(0)
	ds_write_b64 v1, v[64:65]
	s_waitcnt lgkmcnt(0)
	; wave barrier
	s_and_saveexec_b64 s[4:5], s[0:1]
	s_cbranch_execz .LBB29_206
; %bb.197:
	s_andn2_b64 vcc, exec, s[6:7]
	s_cbranch_vccnz .LBB29_199
; %bb.198:
	scratch_load_dwordx2 v[64:65], v17, off
	ds_read_b64 v[66:67], v1
	s_waitcnt vmcnt(0) lgkmcnt(0)
	v_mul_f64 v[64:65], v[64:65], v[66:67]
	s_cbranch_execz .LBB29_200
	s_branch .LBB29_201
.LBB29_199:
                                        ; implicit-def: $vgpr64_vgpr65
.LBB29_200:
	ds_read_b64 v[64:65], v1
.LBB29_201:
	s_and_saveexec_b64 s[8:9], s[2:3]
	s_cbranch_execz .LBB29_205
; %bb.202:
	s_movk_i32 s14, 0x48
	v_add_u32_e32 v66, -9, v0
	s_movk_i32 s15, 0x138
	s_mov_b64 s[2:3], 0
.LBB29_203:                             ; =>This Inner Loop Header: Depth=1
	scratch_load_dwordx2 v[68:69], off, s14
	v_mov_b32_e32 v67, s15
	ds_read_b64 v[70:71], v67
	v_add_u32_e32 v66, -1, v66
	s_add_i32 s15, s15, 8
	s_add_i32 s14, s14, 8
	v_cmp_eq_u32_e32 vcc, 0, v66
	s_or_b64 s[2:3], vcc, s[2:3]
	s_waitcnt vmcnt(0) lgkmcnt(0)
	v_fmac_f64_e32 v[64:65], v[68:69], v[70:71]
	s_andn2_b64 exec, exec, s[2:3]
	s_cbranch_execnz .LBB29_203
; %bb.204:
	s_or_b64 exec, exec, s[2:3]
.LBB29_205:
	s_or_b64 exec, exec, s[8:9]
	v_mov_b32_e32 v66, 0
	ds_read_b64 v[66:67], v66 offset:64
	s_waitcnt lgkmcnt(0)
	v_mul_f64 v[64:65], v[64:65], v[66:67]
	scratch_store_dwordx2 off, v[64:65], off offset:64
.LBB29_206:
	s_or_b64 exec, exec, s[4:5]
	scratch_load_dwordx2 v[64:65], off, off offset:56
	v_cmp_lt_u32_e64 s[2:3], 7, v0
	s_waitcnt vmcnt(0)
	ds_write_b64 v1, v[64:65]
	s_waitcnt lgkmcnt(0)
	; wave barrier
	s_and_saveexec_b64 s[4:5], s[2:3]
	s_cbranch_execz .LBB29_216
; %bb.207:
	s_andn2_b64 vcc, exec, s[6:7]
	s_cbranch_vccnz .LBB29_209
; %bb.208:
	scratch_load_dwordx2 v[64:65], v17, off
	ds_read_b64 v[66:67], v1
	s_waitcnt vmcnt(0) lgkmcnt(0)
	v_mul_f64 v[64:65], v[64:65], v[66:67]
	s_cbranch_execz .LBB29_210
	s_branch .LBB29_211
.LBB29_209:
                                        ; implicit-def: $vgpr64_vgpr65
.LBB29_210:
	ds_read_b64 v[64:65], v1
.LBB29_211:
	s_and_saveexec_b64 s[8:9], s[0:1]
	s_cbranch_execz .LBB29_215
; %bb.212:
	v_add_u32_e32 v66, -8, v0
	s_movk_i32 s14, 0x130
	s_mov_b64 s[0:1], 0
.LBB29_213:                             ; =>This Inner Loop Header: Depth=1
	scratch_load_dwordx2 v[68:69], off, s13
	v_mov_b32_e32 v67, s14
	ds_read_b64 v[70:71], v67
	v_add_u32_e32 v66, -1, v66
	s_add_i32 s14, s14, 8
	s_add_i32 s13, s13, 8
	v_cmp_eq_u32_e32 vcc, 0, v66
	s_or_b64 s[0:1], vcc, s[0:1]
	s_waitcnt vmcnt(0) lgkmcnt(0)
	v_fmac_f64_e32 v[64:65], v[68:69], v[70:71]
	s_andn2_b64 exec, exec, s[0:1]
	s_cbranch_execnz .LBB29_213
; %bb.214:
	s_or_b64 exec, exec, s[0:1]
.LBB29_215:
	s_or_b64 exec, exec, s[8:9]
	v_mov_b32_e32 v66, 0
	ds_read_b64 v[66:67], v66 offset:56
	s_waitcnt lgkmcnt(0)
	v_mul_f64 v[64:65], v[64:65], v[66:67]
	scratch_store_dwordx2 off, v[64:65], off offset:56
.LBB29_216:
	s_or_b64 exec, exec, s[4:5]
	scratch_load_dwordx2 v[64:65], off, off offset:48
	v_cmp_lt_u32_e64 s[0:1], 6, v0
	s_waitcnt vmcnt(0)
	ds_write_b64 v1, v[64:65]
	s_waitcnt lgkmcnt(0)
	; wave barrier
	s_and_saveexec_b64 s[4:5], s[0:1]
	s_cbranch_execz .LBB29_226
; %bb.217:
	s_andn2_b64 vcc, exec, s[6:7]
	s_cbranch_vccnz .LBB29_219
; %bb.218:
	scratch_load_dwordx2 v[64:65], v17, off
	ds_read_b64 v[66:67], v1
	s_waitcnt vmcnt(0) lgkmcnt(0)
	v_mul_f64 v[64:65], v[64:65], v[66:67]
	s_cbranch_execz .LBB29_220
	s_branch .LBB29_221
.LBB29_219:
                                        ; implicit-def: $vgpr64_vgpr65
.LBB29_220:
	ds_read_b64 v[64:65], v1
.LBB29_221:
	s_and_saveexec_b64 s[8:9], s[2:3]
	s_cbranch_execz .LBB29_225
; %bb.222:
	s_mov_b32 s13, 56
	v_add_u32_e32 v66, -7, v0
	s_movk_i32 s14, 0x128
	s_mov_b64 s[2:3], 0
.LBB29_223:                             ; =>This Inner Loop Header: Depth=1
	scratch_load_dwordx2 v[68:69], off, s13
	v_mov_b32_e32 v67, s14
	ds_read_b64 v[70:71], v67
	v_add_u32_e32 v66, -1, v66
	s_add_i32 s14, s14, 8
	s_add_i32 s13, s13, 8
	v_cmp_eq_u32_e32 vcc, 0, v66
	s_or_b64 s[2:3], vcc, s[2:3]
	s_waitcnt vmcnt(0) lgkmcnt(0)
	v_fmac_f64_e32 v[64:65], v[68:69], v[70:71]
	s_andn2_b64 exec, exec, s[2:3]
	s_cbranch_execnz .LBB29_223
; %bb.224:
	s_or_b64 exec, exec, s[2:3]
.LBB29_225:
	s_or_b64 exec, exec, s[8:9]
	v_mov_b32_e32 v66, 0
	ds_read_b64 v[66:67], v66 offset:48
	s_waitcnt lgkmcnt(0)
	v_mul_f64 v[64:65], v[64:65], v[66:67]
	scratch_store_dwordx2 off, v[64:65], off offset:48
.LBB29_226:
	s_or_b64 exec, exec, s[4:5]
	scratch_load_dwordx2 v[64:65], off, off offset:40
	v_cmp_lt_u32_e64 s[2:3], 5, v0
	s_waitcnt vmcnt(0)
	ds_write_b64 v1, v[64:65]
	s_waitcnt lgkmcnt(0)
	; wave barrier
	s_and_saveexec_b64 s[4:5], s[2:3]
	s_cbranch_execz .LBB29_236
; %bb.227:
	s_andn2_b64 vcc, exec, s[6:7]
	s_cbranch_vccnz .LBB29_229
; %bb.228:
	scratch_load_dwordx2 v[64:65], v17, off
	ds_read_b64 v[66:67], v1
	s_waitcnt vmcnt(0) lgkmcnt(0)
	v_mul_f64 v[64:65], v[64:65], v[66:67]
	s_cbranch_execz .LBB29_230
	s_branch .LBB29_231
.LBB29_229:
                                        ; implicit-def: $vgpr64_vgpr65
.LBB29_230:
	ds_read_b64 v[64:65], v1
.LBB29_231:
	s_and_saveexec_b64 s[8:9], s[0:1]
	s_cbranch_execz .LBB29_235
; %bb.232:
	v_add_u32_e32 v66, -6, v0
	s_movk_i32 s13, 0x120
	s_mov_b64 s[0:1], 0
.LBB29_233:                             ; =>This Inner Loop Header: Depth=1
	scratch_load_dwordx2 v[68:69], off, s12
	v_mov_b32_e32 v67, s13
	ds_read_b64 v[70:71], v67
	v_add_u32_e32 v66, -1, v66
	s_add_i32 s13, s13, 8
	s_add_i32 s12, s12, 8
	v_cmp_eq_u32_e32 vcc, 0, v66
	s_or_b64 s[0:1], vcc, s[0:1]
	s_waitcnt vmcnt(0) lgkmcnt(0)
	v_fmac_f64_e32 v[64:65], v[68:69], v[70:71]
	s_andn2_b64 exec, exec, s[0:1]
	s_cbranch_execnz .LBB29_233
; %bb.234:
	s_or_b64 exec, exec, s[0:1]
.LBB29_235:
	s_or_b64 exec, exec, s[8:9]
	v_mov_b32_e32 v66, 0
	ds_read_b64 v[66:67], v66 offset:40
	s_waitcnt lgkmcnt(0)
	v_mul_f64 v[64:65], v[64:65], v[66:67]
	scratch_store_dwordx2 off, v[64:65], off offset:40
.LBB29_236:
	s_or_b64 exec, exec, s[4:5]
	scratch_load_dwordx2 v[64:65], off, off offset:32
	v_cmp_lt_u32_e64 s[0:1], 4, v0
	s_waitcnt vmcnt(0)
	ds_write_b64 v1, v[64:65]
	s_waitcnt lgkmcnt(0)
	; wave barrier
	s_and_saveexec_b64 s[4:5], s[0:1]
	s_cbranch_execz .LBB29_246
; %bb.237:
	s_andn2_b64 vcc, exec, s[6:7]
	s_cbranch_vccnz .LBB29_239
; %bb.238:
	scratch_load_dwordx2 v[64:65], v17, off
	ds_read_b64 v[66:67], v1
	s_waitcnt vmcnt(0) lgkmcnt(0)
	v_mul_f64 v[64:65], v[64:65], v[66:67]
	s_cbranch_execz .LBB29_240
	s_branch .LBB29_241
.LBB29_239:
                                        ; implicit-def: $vgpr64_vgpr65
.LBB29_240:
	ds_read_b64 v[64:65], v1
.LBB29_241:
	s_and_saveexec_b64 s[8:9], s[2:3]
	s_cbranch_execz .LBB29_245
; %bb.242:
	s_mov_b32 s12, 40
	v_add_u32_e32 v66, -5, v0
	s_movk_i32 s13, 0x118
	s_mov_b64 s[2:3], 0
.LBB29_243:                             ; =>This Inner Loop Header: Depth=1
	scratch_load_dwordx2 v[68:69], off, s12
	v_mov_b32_e32 v67, s13
	ds_read_b64 v[70:71], v67
	v_add_u32_e32 v66, -1, v66
	s_add_i32 s13, s13, 8
	s_add_i32 s12, s12, 8
	v_cmp_eq_u32_e32 vcc, 0, v66
	s_or_b64 s[2:3], vcc, s[2:3]
	s_waitcnt vmcnt(0) lgkmcnt(0)
	v_fmac_f64_e32 v[64:65], v[68:69], v[70:71]
	s_andn2_b64 exec, exec, s[2:3]
	s_cbranch_execnz .LBB29_243
; %bb.244:
	s_or_b64 exec, exec, s[2:3]
.LBB29_245:
	s_or_b64 exec, exec, s[8:9]
	v_mov_b32_e32 v66, 0
	ds_read_b64 v[66:67], v66 offset:32
	s_waitcnt lgkmcnt(0)
	v_mul_f64 v[64:65], v[64:65], v[66:67]
	scratch_store_dwordx2 off, v[64:65], off offset:32
.LBB29_246:
	s_or_b64 exec, exec, s[4:5]
	scratch_load_dwordx2 v[64:65], off, off offset:24
	v_cmp_lt_u32_e64 s[2:3], 3, v0
	s_waitcnt vmcnt(0)
	ds_write_b64 v1, v[64:65]
	s_waitcnt lgkmcnt(0)
	; wave barrier
	s_and_saveexec_b64 s[4:5], s[2:3]
	s_cbranch_execz .LBB29_256
; %bb.247:
	s_andn2_b64 vcc, exec, s[6:7]
	s_cbranch_vccnz .LBB29_249
; %bb.248:
	scratch_load_dwordx2 v[64:65], v17, off
	ds_read_b64 v[66:67], v1
	s_waitcnt vmcnt(0) lgkmcnt(0)
	v_mul_f64 v[64:65], v[64:65], v[66:67]
	s_cbranch_execz .LBB29_250
	s_branch .LBB29_251
.LBB29_249:
                                        ; implicit-def: $vgpr64_vgpr65
.LBB29_250:
	ds_read_b64 v[64:65], v1
.LBB29_251:
	s_and_saveexec_b64 s[8:9], s[0:1]
	s_cbranch_execz .LBB29_255
; %bb.252:
	v_add_u32_e32 v66, -4, v0
	s_movk_i32 s12, 0x110
	s_mov_b64 s[0:1], 0
.LBB29_253:                             ; =>This Inner Loop Header: Depth=1
	scratch_load_dwordx2 v[68:69], off, s11
	v_mov_b32_e32 v67, s12
	ds_read_b64 v[70:71], v67
	v_add_u32_e32 v66, -1, v66
	s_add_i32 s12, s12, 8
	s_add_i32 s11, s11, 8
	v_cmp_eq_u32_e32 vcc, 0, v66
	s_or_b64 s[0:1], vcc, s[0:1]
	s_waitcnt vmcnt(0) lgkmcnt(0)
	v_fmac_f64_e32 v[64:65], v[68:69], v[70:71]
	s_andn2_b64 exec, exec, s[0:1]
	s_cbranch_execnz .LBB29_253
; %bb.254:
	s_or_b64 exec, exec, s[0:1]
.LBB29_255:
	s_or_b64 exec, exec, s[8:9]
	v_mov_b32_e32 v66, 0
	ds_read_b64 v[66:67], v66 offset:24
	s_waitcnt lgkmcnt(0)
	v_mul_f64 v[64:65], v[64:65], v[66:67]
	scratch_store_dwordx2 off, v[64:65], off offset:24
.LBB29_256:
	s_or_b64 exec, exec, s[4:5]
	scratch_load_dwordx2 v[64:65], off, off offset:16
	v_cmp_lt_u32_e64 s[0:1], 2, v0
	s_waitcnt vmcnt(0)
	ds_write_b64 v1, v[64:65]
	s_waitcnt lgkmcnt(0)
	; wave barrier
	s_and_saveexec_b64 s[4:5], s[0:1]
	s_cbranch_execz .LBB29_266
; %bb.257:
	s_andn2_b64 vcc, exec, s[6:7]
	s_cbranch_vccnz .LBB29_259
; %bb.258:
	scratch_load_dwordx2 v[64:65], v17, off
	ds_read_b64 v[66:67], v1
	s_waitcnt vmcnt(0) lgkmcnt(0)
	v_mul_f64 v[64:65], v[64:65], v[66:67]
	s_cbranch_execz .LBB29_260
	s_branch .LBB29_261
.LBB29_259:
                                        ; implicit-def: $vgpr64_vgpr65
.LBB29_260:
	ds_read_b64 v[64:65], v1
.LBB29_261:
	s_and_saveexec_b64 s[8:9], s[2:3]
	s_cbranch_execz .LBB29_265
; %bb.262:
	s_mov_b32 s11, 24
	v_add_u32_e32 v66, -3, v0
	s_movk_i32 s12, 0x108
	s_mov_b64 s[2:3], 0
.LBB29_263:                             ; =>This Inner Loop Header: Depth=1
	scratch_load_dwordx2 v[68:69], off, s11
	v_mov_b32_e32 v67, s12
	ds_read_b64 v[70:71], v67
	v_add_u32_e32 v66, -1, v66
	s_add_i32 s12, s12, 8
	s_add_i32 s11, s11, 8
	v_cmp_eq_u32_e32 vcc, 0, v66
	s_or_b64 s[2:3], vcc, s[2:3]
	s_waitcnt vmcnt(0) lgkmcnt(0)
	v_fmac_f64_e32 v[64:65], v[68:69], v[70:71]
	s_andn2_b64 exec, exec, s[2:3]
	s_cbranch_execnz .LBB29_263
; %bb.264:
	s_or_b64 exec, exec, s[2:3]
.LBB29_265:
	s_or_b64 exec, exec, s[8:9]
	v_mov_b32_e32 v66, 0
	ds_read_b64 v[66:67], v66 offset:16
	s_waitcnt lgkmcnt(0)
	v_mul_f64 v[64:65], v[64:65], v[66:67]
	scratch_store_dwordx2 off, v[64:65], off offset:16
.LBB29_266:
	s_or_b64 exec, exec, s[4:5]
	scratch_load_dwordx2 v[64:65], off, off offset:8
	v_cmp_lt_u32_e64 s[2:3], 1, v0
	s_waitcnt vmcnt(0)
	ds_write_b64 v1, v[64:65]
	s_waitcnt lgkmcnt(0)
	; wave barrier
	s_and_saveexec_b64 s[4:5], s[2:3]
	s_cbranch_execz .LBB29_276
; %bb.267:
	s_andn2_b64 vcc, exec, s[6:7]
	s_cbranch_vccnz .LBB29_269
; %bb.268:
	scratch_load_dwordx2 v[64:65], v17, off
	ds_read_b64 v[66:67], v1
	s_waitcnt vmcnt(0) lgkmcnt(0)
	v_mul_f64 v[64:65], v[64:65], v[66:67]
	s_cbranch_execz .LBB29_270
	s_branch .LBB29_271
.LBB29_269:
                                        ; implicit-def: $vgpr64_vgpr65
.LBB29_270:
	ds_read_b64 v[64:65], v1
.LBB29_271:
	s_and_saveexec_b64 s[8:9], s[0:1]
	s_cbranch_execz .LBB29_275
; %bb.272:
	v_add_u32_e32 v66, -2, v0
	s_movk_i32 s11, 0x100
	s_mov_b64 s[0:1], 0
.LBB29_273:                             ; =>This Inner Loop Header: Depth=1
	scratch_load_dwordx2 v[68:69], off, s10
	v_mov_b32_e32 v67, s11
	ds_read_b64 v[70:71], v67
	v_add_u32_e32 v66, -1, v66
	s_add_i32 s11, s11, 8
	s_add_i32 s10, s10, 8
	v_cmp_eq_u32_e32 vcc, 0, v66
	s_or_b64 s[0:1], vcc, s[0:1]
	s_waitcnt vmcnt(0) lgkmcnt(0)
	v_fmac_f64_e32 v[64:65], v[68:69], v[70:71]
	s_andn2_b64 exec, exec, s[0:1]
	s_cbranch_execnz .LBB29_273
; %bb.274:
	s_or_b64 exec, exec, s[0:1]
.LBB29_275:
	s_or_b64 exec, exec, s[8:9]
	v_mov_b32_e32 v66, 0
	ds_read_b64 v[66:67], v66 offset:8
	s_waitcnt lgkmcnt(0)
	v_mul_f64 v[64:65], v[64:65], v[66:67]
	scratch_store_dwordx2 off, v[64:65], off offset:8
.LBB29_276:
	s_or_b64 exec, exec, s[4:5]
	scratch_load_dwordx2 v[64:65], off, off
	v_cmp_ne_u32_e32 vcc, 0, v0
	s_waitcnt vmcnt(0)
	ds_write_b64 v1, v[64:65]
	s_waitcnt lgkmcnt(0)
	; wave barrier
	s_and_saveexec_b64 s[0:1], vcc
	s_cbranch_execz .LBB29_286
; %bb.277:
	s_andn2_b64 vcc, exec, s[6:7]
	s_cbranch_vccnz .LBB29_279
; %bb.278:
	scratch_load_dwordx2 v[64:65], v17, off
	ds_read_b64 v[66:67], v1
	s_waitcnt vmcnt(0) lgkmcnt(0)
	v_mul_f64 v[64:65], v[64:65], v[66:67]
	s_cbranch_execz .LBB29_280
	s_branch .LBB29_281
.LBB29_279:
                                        ; implicit-def: $vgpr64_vgpr65
.LBB29_280:
	ds_read_b64 v[64:65], v1
.LBB29_281:
	s_and_saveexec_b64 s[4:5], s[2:3]
	s_cbranch_execz .LBB29_285
; %bb.282:
	s_or_b32 s8, 0, 8
	v_add_u32_e32 v66, -1, v0
	s_movk_i32 s9, 0xf8
	s_mov_b64 s[2:3], 0
.LBB29_283:                             ; =>This Inner Loop Header: Depth=1
	scratch_load_dwordx2 v[68:69], off, s8
	v_mov_b32_e32 v67, s9
	ds_read_b64 v[70:71], v67
	v_add_u32_e32 v66, -1, v66
	s_add_i32 s9, s9, 8
	s_add_i32 s8, s8, 8
	v_cmp_eq_u32_e32 vcc, 0, v66
	s_or_b64 s[2:3], vcc, s[2:3]
	s_waitcnt vmcnt(0) lgkmcnt(0)
	v_fmac_f64_e32 v[64:65], v[68:69], v[70:71]
	s_andn2_b64 exec, exec, s[2:3]
	s_cbranch_execnz .LBB29_283
; %bb.284:
	s_or_b64 exec, exec, s[2:3]
.LBB29_285:
	s_or_b64 exec, exec, s[4:5]
	v_mov_b32_e32 v66, 0
	ds_read_b64 v[66:67], v66
	s_waitcnt lgkmcnt(0)
	v_mul_f64 v[64:65], v[64:65], v[66:67]
	scratch_store_dwordx2 off, v[64:65], off
.LBB29_286:
	s_or_b64 exec, exec, s[0:1]
	s_mov_b64 s[0:1], 0
.LBB29_287:
	s_and_b64 vcc, exec, s[0:1]
	s_cbranch_vccz .LBB29_569
; %bb.288:
	scratch_load_dwordx2 v[64:65], off, off offset:8
	v_cmp_eq_u32_e64 s[2:3], 0, v0
	s_waitcnt vmcnt(0)
	ds_write_b64 v1, v[64:65]
	s_waitcnt lgkmcnt(0)
	; wave barrier
	s_and_saveexec_b64 s[0:1], s[2:3]
	s_cbranch_execz .LBB29_294
; %bb.289:
	s_and_b64 vcc, exec, s[6:7]
	s_cbranch_vccz .LBB29_291
; %bb.290:
	scratch_load_dwordx2 v[64:65], v17, off
	ds_read_b64 v[66:67], v1
	s_waitcnt vmcnt(0) lgkmcnt(0)
	v_mul_f64 v[64:65], v[64:65], v[66:67]
	s_cbranch_execz .LBB29_292
	s_branch .LBB29_293
.LBB29_291:
                                        ; implicit-def: $vgpr64_vgpr65
.LBB29_292:
	ds_read_b64 v[64:65], v1
.LBB29_293:
	v_mov_b32_e32 v66, 0
	ds_read_b64 v[66:67], v66 offset:8
	s_waitcnt lgkmcnt(0)
	v_mul_f64 v[64:65], v[64:65], v[66:67]
	scratch_store_dwordx2 off, v[64:65], off offset:8
.LBB29_294:
	s_or_b64 exec, exec, s[0:1]
	scratch_load_dwordx2 v[64:65], off, off offset:16
	v_cndmask_b32_e64 v66, 0, 1, s[6:7]
	v_cmp_gt_u32_e32 vcc, 2, v0
	v_cmp_ne_u32_e64 s[0:1], 1, v66
	s_waitcnt vmcnt(0)
	ds_write_b64 v1, v[64:65]
	s_waitcnt lgkmcnt(0)
	; wave barrier
	s_and_saveexec_b64 s[4:5], vcc
	s_cbranch_execz .LBB29_300
; %bb.295:
	s_and_b64 vcc, exec, s[0:1]
	s_cbranch_vccnz .LBB29_297
; %bb.296:
	scratch_load_dwordx2 v[64:65], v17, off
	ds_read_b64 v[66:67], v1
	s_waitcnt vmcnt(0) lgkmcnt(0)
	v_mul_f64 v[64:65], v[64:65], v[66:67]
	s_cbranch_execz .LBB29_298
	s_branch .LBB29_299
.LBB29_297:
                                        ; implicit-def: $vgpr64_vgpr65
.LBB29_298:
	ds_read_b64 v[64:65], v1
.LBB29_299:
	scratch_load_dwordx2 v[70:71], off, off offset:8
	v_mov_b32_e32 v66, 0
	ds_read2_b64 v[66:69], v66 offset0:2 offset1:31
	s_waitcnt vmcnt(0) lgkmcnt(0)
	v_fma_f64 v[68:69], v[70:71], v[68:69], v[64:65]
	v_cndmask_b32_e64 v65, v65, v69, s[2:3]
	v_cndmask_b32_e64 v64, v64, v68, s[2:3]
	v_mul_f64 v[64:65], v[64:65], v[66:67]
	scratch_store_dwordx2 off, v[64:65], off offset:16
.LBB29_300:
	s_or_b64 exec, exec, s[4:5]
	scratch_load_dwordx2 v[64:65], off, off offset:24
	v_cmp_gt_u32_e32 vcc, 3, v0
	s_waitcnt vmcnt(0)
	ds_write_b64 v1, v[64:65]
	s_waitcnt lgkmcnt(0)
	; wave barrier
	s_and_saveexec_b64 s[4:5], vcc
	s_cbranch_execz .LBB29_308
; %bb.301:
	s_and_b64 vcc, exec, s[0:1]
	s_cbranch_vccnz .LBB29_303
; %bb.302:
	scratch_load_dwordx2 v[64:65], v17, off
	ds_read_b64 v[66:67], v1
	s_waitcnt vmcnt(0) lgkmcnt(0)
	v_mul_f64 v[64:65], v[64:65], v[66:67]
	s_cbranch_execz .LBB29_304
	s_branch .LBB29_305
.LBB29_303:
                                        ; implicit-def: $vgpr64_vgpr65
.LBB29_304:
	ds_read_b64 v[64:65], v1
.LBB29_305:
	v_cmp_ne_u32_e32 vcc, 2, v0
	s_and_saveexec_b64 s[6:7], vcc
	s_cbranch_execz .LBB29_307
; %bb.306:
	scratch_load_dwordx2 v[66:67], v17, off offset:8
	scratch_load_dwordx2 v[68:69], off, off offset:16
	ds_read_b64 v[70:71], v1 offset:8
	v_mov_b32_e32 v72, 0
	ds_read_b64 v[72:73], v72 offset:256
	s_waitcnt vmcnt(1) lgkmcnt(1)
	v_fmac_f64_e32 v[64:65], v[66:67], v[70:71]
	s_waitcnt vmcnt(0) lgkmcnt(0)
	v_fma_f64 v[66:67], v[68:69], v[72:73], v[64:65]
	v_cndmask_b32_e64 v65, v65, v67, s[2:3]
	v_cndmask_b32_e64 v64, v64, v66, s[2:3]
.LBB29_307:
	s_or_b64 exec, exec, s[6:7]
	v_mov_b32_e32 v66, 0
	ds_read_b64 v[66:67], v66 offset:24
	s_waitcnt lgkmcnt(0)
	v_mul_f64 v[64:65], v[64:65], v[66:67]
	scratch_store_dwordx2 off, v[64:65], off offset:24
.LBB29_308:
	s_or_b64 exec, exec, s[4:5]
	scratch_load_dwordx2 v[64:65], off, off offset:32
	v_cmp_gt_u32_e32 vcc, 4, v0
	s_waitcnt vmcnt(0)
	ds_write_b64 v1, v[64:65]
	s_waitcnt lgkmcnt(0)
	; wave barrier
	s_and_saveexec_b64 s[2:3], vcc
	s_cbranch_execz .LBB29_318
; %bb.309:
	s_and_b64 vcc, exec, s[0:1]
	s_cbranch_vccnz .LBB29_311
; %bb.310:
	scratch_load_dwordx2 v[64:65], v17, off
	ds_read_b64 v[66:67], v1
	s_waitcnt vmcnt(0) lgkmcnt(0)
	v_mul_f64 v[64:65], v[64:65], v[66:67]
	s_cbranch_execz .LBB29_312
	s_branch .LBB29_313
.LBB29_311:
                                        ; implicit-def: $vgpr64_vgpr65
.LBB29_312:
	ds_read_b64 v[64:65], v1
.LBB29_313:
	v_cmp_ne_u32_e32 vcc, 3, v0
	s_and_saveexec_b64 s[4:5], vcc
	s_cbranch_execz .LBB29_317
; %bb.314:
	s_mov_b32 s6, 0
	v_add_u32_e32 v66, 0xf8, v16
	v_add3_u32 v67, v16, s6, 8
	s_mov_b64 s[6:7], 0
	v_mov_b32_e32 v68, v0
.LBB29_315:                             ; =>This Inner Loop Header: Depth=1
	scratch_load_dwordx2 v[70:71], v67, off
	ds_read_b64 v[72:73], v66
	v_add_u32_e32 v68, 1, v68
	v_cmp_lt_u32_e32 vcc, 2, v68
	v_add_u32_e32 v66, 8, v66
	v_add_u32_e32 v67, 8, v67
	s_or_b64 s[6:7], vcc, s[6:7]
	s_waitcnt vmcnt(0) lgkmcnt(0)
	v_fmac_f64_e32 v[64:65], v[70:71], v[72:73]
	s_andn2_b64 exec, exec, s[6:7]
	s_cbranch_execnz .LBB29_315
; %bb.316:
	s_or_b64 exec, exec, s[6:7]
.LBB29_317:
	s_or_b64 exec, exec, s[4:5]
	v_mov_b32_e32 v66, 0
	ds_read_b64 v[66:67], v66 offset:32
	s_waitcnt lgkmcnt(0)
	v_mul_f64 v[64:65], v[64:65], v[66:67]
	scratch_store_dwordx2 off, v[64:65], off offset:32
.LBB29_318:
	s_or_b64 exec, exec, s[2:3]
	scratch_load_dwordx2 v[64:65], off, off offset:40
	v_cmp_gt_u32_e32 vcc, 5, v0
	s_waitcnt vmcnt(0)
	ds_write_b64 v1, v[64:65]
	s_waitcnt lgkmcnt(0)
	; wave barrier
	s_and_saveexec_b64 s[2:3], vcc
	s_cbranch_execz .LBB29_328
; %bb.319:
	s_and_b64 vcc, exec, s[0:1]
	s_cbranch_vccnz .LBB29_321
; %bb.320:
	scratch_load_dwordx2 v[64:65], v17, off
	ds_read_b64 v[66:67], v1
	s_waitcnt vmcnt(0) lgkmcnt(0)
	v_mul_f64 v[64:65], v[64:65], v[66:67]
	s_cbranch_execz .LBB29_322
	s_branch .LBB29_323
.LBB29_321:
                                        ; implicit-def: $vgpr64_vgpr65
.LBB29_322:
	ds_read_b64 v[64:65], v1
.LBB29_323:
	v_cmp_ne_u32_e32 vcc, 4, v0
	s_and_saveexec_b64 s[4:5], vcc
	s_cbranch_execz .LBB29_327
; %bb.324:
	s_mov_b32 s6, 0
	v_add_u32_e32 v66, 0xf8, v16
	v_add3_u32 v67, v16, s6, 8
	s_mov_b64 s[6:7], 0
	v_mov_b32_e32 v68, v0
.LBB29_325:                             ; =>This Inner Loop Header: Depth=1
	scratch_load_dwordx2 v[70:71], v67, off
	ds_read_b64 v[72:73], v66
	v_add_u32_e32 v68, 1, v68
	v_cmp_lt_u32_e32 vcc, 3, v68
	v_add_u32_e32 v66, 8, v66
	v_add_u32_e32 v67, 8, v67
	s_or_b64 s[6:7], vcc, s[6:7]
	s_waitcnt vmcnt(0) lgkmcnt(0)
	v_fmac_f64_e32 v[64:65], v[70:71], v[72:73]
	s_andn2_b64 exec, exec, s[6:7]
	s_cbranch_execnz .LBB29_325
; %bb.326:
	s_or_b64 exec, exec, s[6:7]
.LBB29_327:
	s_or_b64 exec, exec, s[4:5]
	v_mov_b32_e32 v66, 0
	ds_read_b64 v[66:67], v66 offset:40
	s_waitcnt lgkmcnt(0)
	v_mul_f64 v[64:65], v[64:65], v[66:67]
	scratch_store_dwordx2 off, v[64:65], off offset:40
.LBB29_328:
	;; [unrolled: 55-line block ×24, first 2 shown]
	s_or_b64 exec, exec, s[2:3]
	scratch_load_dwordx2 v[64:65], off, off offset:224
	v_cmp_gt_u32_e64 s[2:3], 28, v0
	s_waitcnt vmcnt(0)
	ds_write_b64 v1, v[64:65]
	s_waitcnt lgkmcnt(0)
	; wave barrier
	s_and_saveexec_b64 s[4:5], s[2:3]
	s_cbranch_execz .LBB29_558
; %bb.549:
	s_and_b64 vcc, exec, s[0:1]
	s_cbranch_vccnz .LBB29_551
; %bb.550:
	scratch_load_dwordx2 v[64:65], v17, off
	ds_read_b64 v[66:67], v1
	s_waitcnt vmcnt(0) lgkmcnt(0)
	v_mul_f64 v[64:65], v[64:65], v[66:67]
	s_cbranch_execz .LBB29_552
	s_branch .LBB29_553
.LBB29_551:
                                        ; implicit-def: $vgpr64_vgpr65
.LBB29_552:
	ds_read_b64 v[64:65], v1
.LBB29_553:
	v_cmp_ne_u32_e32 vcc, 27, v0
	s_and_saveexec_b64 s[6:7], vcc
	s_cbranch_execz .LBB29_557
; %bb.554:
	s_mov_b32 s8, 0
	v_add_u32_e32 v66, 0xf8, v16
	v_add3_u32 v67, v16, s8, 8
	s_mov_b64 s[8:9], 0
	v_mov_b32_e32 v68, v0
.LBB29_555:                             ; =>This Inner Loop Header: Depth=1
	scratch_load_dwordx2 v[70:71], v67, off
	ds_read_b64 v[72:73], v66
	v_add_u32_e32 v68, 1, v68
	v_cmp_lt_u32_e32 vcc, 26, v68
	v_add_u32_e32 v66, 8, v66
	v_add_u32_e32 v67, 8, v67
	s_or_b64 s[8:9], vcc, s[8:9]
	s_waitcnt vmcnt(0) lgkmcnt(0)
	v_fmac_f64_e32 v[64:65], v[70:71], v[72:73]
	s_andn2_b64 exec, exec, s[8:9]
	s_cbranch_execnz .LBB29_555
; %bb.556:
	s_or_b64 exec, exec, s[8:9]
.LBB29_557:
	s_or_b64 exec, exec, s[6:7]
	v_mov_b32_e32 v66, 0
	ds_read_b64 v[66:67], v66 offset:224
	s_waitcnt lgkmcnt(0)
	v_mul_f64 v[64:65], v[64:65], v[66:67]
	scratch_store_dwordx2 off, v[64:65], off offset:224
.LBB29_558:
	s_or_b64 exec, exec, s[4:5]
	scratch_load_dwordx2 v[64:65], off, off offset:232
	v_cmp_ne_u32_e32 vcc, 29, v0
	s_waitcnt vmcnt(0)
	ds_write_b64 v1, v[64:65]
	s_waitcnt lgkmcnt(0)
	; wave barrier
	s_and_saveexec_b64 s[4:5], vcc
	s_cbranch_execz .LBB29_568
; %bb.559:
	s_and_b64 vcc, exec, s[0:1]
	s_cbranch_vccnz .LBB29_561
; %bb.560:
	scratch_load_dwordx2 v[64:65], v17, off
	ds_read_b64 v[66:67], v1
	s_waitcnt vmcnt(0) lgkmcnt(0)
	v_mul_f64 v[64:65], v[64:65], v[66:67]
	s_cbranch_execz .LBB29_562
	s_branch .LBB29_563
.LBB29_561:
                                        ; implicit-def: $vgpr64_vgpr65
.LBB29_562:
	ds_read_b64 v[64:65], v1
.LBB29_563:
	s_and_saveexec_b64 s[0:1], s[2:3]
	s_cbranch_execz .LBB29_567
; %bb.564:
	s_mov_b32 s2, 0
	v_add_u32_e32 v1, 0xf8, v16
	v_add3_u32 v16, v16, s2, 8
	s_mov_b64 s[2:3], 0
.LBB29_565:                             ; =>This Inner Loop Header: Depth=1
	scratch_load_dwordx2 v[66:67], v16, off
	ds_read_b64 v[68:69], v1
	v_add_u32_e32 v0, 1, v0
	v_cmp_lt_u32_e32 vcc, 27, v0
	v_add_u32_e32 v1, 8, v1
	v_add_u32_e32 v16, 8, v16
	s_or_b64 s[2:3], vcc, s[2:3]
	s_waitcnt vmcnt(0) lgkmcnt(0)
	v_fmac_f64_e32 v[64:65], v[66:67], v[68:69]
	s_andn2_b64 exec, exec, s[2:3]
	s_cbranch_execnz .LBB29_565
; %bb.566:
	s_or_b64 exec, exec, s[2:3]
.LBB29_567:
	s_or_b64 exec, exec, s[0:1]
	v_mov_b32_e32 v0, 0
	ds_read_b64 v[0:1], v0 offset:232
	s_waitcnt lgkmcnt(0)
	v_mul_f64 v[0:1], v[64:65], v[0:1]
	scratch_store_dwordx2 off, v[0:1], off offset:232
.LBB29_568:
	s_or_b64 exec, exec, s[4:5]
.LBB29_569:
	scratch_load_dwordx4 v[64:67], off, off
	s_waitcnt vmcnt(0)
	global_store_dwordx2 v[2:3], v[64:65], off
	global_store_dwordx2 v[4:5], v[66:67], off
	scratch_load_dwordx4 v[0:3], off, off offset:16
	s_waitcnt vmcnt(0)
	global_store_dwordx2 v[6:7], v[0:1], off
	global_store_dwordx2 v[8:9], v[2:3], off
	scratch_load_dwordx4 v[0:3], off, off offset:32
	;; [unrolled: 4-line block ×14, first 2 shown]
	s_waitcnt vmcnt(0)
	global_store_dwordx2 v[52:53], v[0:1], off
	global_store_dwordx2 v[56:57], v[2:3], off
.LBB29_570:
	s_endpgm
	.section	.rodata,"a",@progbits
	.p2align	6, 0x0
	.amdhsa_kernel _ZN9rocsolver6v33100L18trti2_kernel_smallILi30EdPdEEv13rocblas_fill_17rocblas_diagonal_T1_iil
		.amdhsa_group_segment_fixed_size 480
		.amdhsa_private_segment_fixed_size 256
		.amdhsa_kernarg_size 32
		.amdhsa_user_sgpr_count 2
		.amdhsa_user_sgpr_dispatch_ptr 0
		.amdhsa_user_sgpr_queue_ptr 0
		.amdhsa_user_sgpr_kernarg_segment_ptr 1
		.amdhsa_user_sgpr_dispatch_id 0
		.amdhsa_user_sgpr_kernarg_preload_length 0
		.amdhsa_user_sgpr_kernarg_preload_offset 0
		.amdhsa_user_sgpr_private_segment_size 0
		.amdhsa_uses_dynamic_stack 0
		.amdhsa_enable_private_segment 1
		.amdhsa_system_sgpr_workgroup_id_x 1
		.amdhsa_system_sgpr_workgroup_id_y 0
		.amdhsa_system_sgpr_workgroup_id_z 0
		.amdhsa_system_sgpr_workgroup_info 0
		.amdhsa_system_vgpr_workitem_id 0
		.amdhsa_next_free_vgpr 74
		.amdhsa_next_free_sgpr 25
		.amdhsa_accum_offset 76
		.amdhsa_reserve_vcc 1
		.amdhsa_float_round_mode_32 0
		.amdhsa_float_round_mode_16_64 0
		.amdhsa_float_denorm_mode_32 3
		.amdhsa_float_denorm_mode_16_64 3
		.amdhsa_dx10_clamp 1
		.amdhsa_ieee_mode 1
		.amdhsa_fp16_overflow 0
		.amdhsa_tg_split 0
		.amdhsa_exception_fp_ieee_invalid_op 0
		.amdhsa_exception_fp_denorm_src 0
		.amdhsa_exception_fp_ieee_div_zero 0
		.amdhsa_exception_fp_ieee_overflow 0
		.amdhsa_exception_fp_ieee_underflow 0
		.amdhsa_exception_fp_ieee_inexact 0
		.amdhsa_exception_int_div_zero 0
	.end_amdhsa_kernel
	.section	.text._ZN9rocsolver6v33100L18trti2_kernel_smallILi30EdPdEEv13rocblas_fill_17rocblas_diagonal_T1_iil,"axG",@progbits,_ZN9rocsolver6v33100L18trti2_kernel_smallILi30EdPdEEv13rocblas_fill_17rocblas_diagonal_T1_iil,comdat
.Lfunc_end29:
	.size	_ZN9rocsolver6v33100L18trti2_kernel_smallILi30EdPdEEv13rocblas_fill_17rocblas_diagonal_T1_iil, .Lfunc_end29-_ZN9rocsolver6v33100L18trti2_kernel_smallILi30EdPdEEv13rocblas_fill_17rocblas_diagonal_T1_iil
                                        ; -- End function
	.set _ZN9rocsolver6v33100L18trti2_kernel_smallILi30EdPdEEv13rocblas_fill_17rocblas_diagonal_T1_iil.num_vgpr, 74
	.set _ZN9rocsolver6v33100L18trti2_kernel_smallILi30EdPdEEv13rocblas_fill_17rocblas_diagonal_T1_iil.num_agpr, 0
	.set _ZN9rocsolver6v33100L18trti2_kernel_smallILi30EdPdEEv13rocblas_fill_17rocblas_diagonal_T1_iil.numbered_sgpr, 25
	.set _ZN9rocsolver6v33100L18trti2_kernel_smallILi30EdPdEEv13rocblas_fill_17rocblas_diagonal_T1_iil.num_named_barrier, 0
	.set _ZN9rocsolver6v33100L18trti2_kernel_smallILi30EdPdEEv13rocblas_fill_17rocblas_diagonal_T1_iil.private_seg_size, 256
	.set _ZN9rocsolver6v33100L18trti2_kernel_smallILi30EdPdEEv13rocblas_fill_17rocblas_diagonal_T1_iil.uses_vcc, 1
	.set _ZN9rocsolver6v33100L18trti2_kernel_smallILi30EdPdEEv13rocblas_fill_17rocblas_diagonal_T1_iil.uses_flat_scratch, 0
	.set _ZN9rocsolver6v33100L18trti2_kernel_smallILi30EdPdEEv13rocblas_fill_17rocblas_diagonal_T1_iil.has_dyn_sized_stack, 0
	.set _ZN9rocsolver6v33100L18trti2_kernel_smallILi30EdPdEEv13rocblas_fill_17rocblas_diagonal_T1_iil.has_recursion, 0
	.set _ZN9rocsolver6v33100L18trti2_kernel_smallILi30EdPdEEv13rocblas_fill_17rocblas_diagonal_T1_iil.has_indirect_call, 0
	.section	.AMDGPU.csdata,"",@progbits
; Kernel info:
; codeLenInByte = 14096
; TotalNumSgprs: 31
; NumVgprs: 74
; NumAgprs: 0
; TotalNumVgprs: 74
; ScratchSize: 256
; MemoryBound: 0
; FloatMode: 240
; IeeeMode: 1
; LDSByteSize: 480 bytes/workgroup (compile time only)
; SGPRBlocks: 3
; VGPRBlocks: 9
; NumSGPRsForWavesPerEU: 31
; NumVGPRsForWavesPerEU: 74
; AccumOffset: 76
; Occupancy: 6
; WaveLimiterHint : 0
; COMPUTE_PGM_RSRC2:SCRATCH_EN: 1
; COMPUTE_PGM_RSRC2:USER_SGPR: 2
; COMPUTE_PGM_RSRC2:TRAP_HANDLER: 0
; COMPUTE_PGM_RSRC2:TGID_X_EN: 1
; COMPUTE_PGM_RSRC2:TGID_Y_EN: 0
; COMPUTE_PGM_RSRC2:TGID_Z_EN: 0
; COMPUTE_PGM_RSRC2:TIDIG_COMP_CNT: 0
; COMPUTE_PGM_RSRC3_GFX90A:ACCUM_OFFSET: 18
; COMPUTE_PGM_RSRC3_GFX90A:TG_SPLIT: 0
	.section	.text._ZN9rocsolver6v33100L18trti2_kernel_smallILi31EdPdEEv13rocblas_fill_17rocblas_diagonal_T1_iil,"axG",@progbits,_ZN9rocsolver6v33100L18trti2_kernel_smallILi31EdPdEEv13rocblas_fill_17rocblas_diagonal_T1_iil,comdat
	.globl	_ZN9rocsolver6v33100L18trti2_kernel_smallILi31EdPdEEv13rocblas_fill_17rocblas_diagonal_T1_iil ; -- Begin function _ZN9rocsolver6v33100L18trti2_kernel_smallILi31EdPdEEv13rocblas_fill_17rocblas_diagonal_T1_iil
	.p2align	8
	.type	_ZN9rocsolver6v33100L18trti2_kernel_smallILi31EdPdEEv13rocblas_fill_17rocblas_diagonal_T1_iil,@function
_ZN9rocsolver6v33100L18trti2_kernel_smallILi31EdPdEEv13rocblas_fill_17rocblas_diagonal_T1_iil: ; @_ZN9rocsolver6v33100L18trti2_kernel_smallILi31EdPdEEv13rocblas_fill_17rocblas_diagonal_T1_iil
; %bb.0:
	v_cmp_gt_u32_e32 vcc, 31, v0
	s_and_saveexec_b64 s[4:5], vcc
	s_cbranch_execz .LBB30_590
; %bb.1:
	s_load_dwordx8 s[4:11], s[0:1], 0x0
	s_ashr_i32 s3, s2, 31
	v_lshlrev_b32_e32 v12, 3, v0
	v_mov_b32_e32 v13, 0
	s_waitcnt lgkmcnt(0)
	s_ashr_i32 s1, s8, 31
	s_mov_b32 s0, s8
	s_mul_hi_u32 s8, s10, s2
	s_mul_i32 s3, s10, s3
	s_add_i32 s3, s8, s3
	s_mul_i32 s8, s11, s2
	s_add_i32 s3, s3, s8
	s_mul_i32 s2, s10, s2
	s_lshl_b64 s[2:3], s[2:3], 3
	s_add_u32 s2, s6, s2
	s_addc_u32 s3, s7, s3
	s_lshl_b64 s[0:1], s[0:1], 3
	s_add_u32 s0, s2, s0
	s_addc_u32 s1, s3, s1
	v_lshl_add_u64 v[2:3], s[0:1], 0, v[12:13]
	s_ashr_i32 s3, s9, 31
	s_mov_b32 s2, s9
	v_lshl_add_u64 v[4:5], s[2:3], 3, v[2:3]
	global_load_dwordx2 v[6:7], v12, s[0:1]
	global_load_dwordx2 v[8:9], v[4:5], off
	s_add_i32 s2, s9, s9
	s_cmpk_lg_i32 s5, 0x84
	s_cselect_b64 s[6:7], -1, 0
	s_cmpk_eq_i32 s5, 0x84
	s_waitcnt vmcnt(0)
	scratch_store_dwordx4 off, v[6:9], off
	s_nop 1
	v_add_u32_e32 v8, s2, v0
	v_add_u32_e32 v10, s9, v8
	v_ashrrev_i32_e32 v9, 31, v8
	v_ashrrev_i32_e32 v11, 31, v10
	v_lshl_add_u64 v[6:7], v[8:9], 3, s[0:1]
	v_lshl_add_u64 v[8:9], v[10:11], 3, s[0:1]
	global_load_dwordx2 v[14:15], v[6:7], off
	global_load_dwordx2 v[16:17], v[8:9], off
	s_waitcnt vmcnt(0)
	scratch_store_dwordx4 off, v[14:17], off offset:16
	s_nop 1
	v_add_u32_e32 v14, s9, v10
	v_add_u32_e32 v16, s9, v14
	v_ashrrev_i32_e32 v15, 31, v14
	v_ashrrev_i32_e32 v17, 31, v16
	v_lshl_add_u64 v[10:11], v[14:15], 3, s[0:1]
	v_lshl_add_u64 v[14:15], v[16:17], 3, s[0:1]
	global_load_dwordx2 v[18:19], v[10:11], off
	global_load_dwordx2 v[20:21], v[14:15], off
	s_waitcnt vmcnt(0)
	scratch_store_dwordx4 off, v[18:21], off offset:32
	;; [unrolled: 11-line block ×12, first 2 shown]
	s_nop 1
	v_add_u32_e32 v58, s9, v56
	v_add_u32_e32 v60, s9, v58
	v_ashrrev_i32_e32 v59, 31, v58
	v_ashrrev_i32_e32 v61, 31, v60
	v_lshl_add_u64 v[56:57], v[58:59], 3, s[0:1]
	v_lshl_add_u64 v[58:59], v[60:61], 3, s[0:1]
	global_load_dwordx2 v[62:63], v[56:57], off
	global_load_dwordx2 v[64:65], v[58:59], off
	v_add_u32_e32 v60, s9, v60
	v_ashrrev_i32_e32 v61, 31, v60
	s_waitcnt vmcnt(0)
	scratch_store_dwordx4 off, v[62:65], off offset:208
	s_nop 1
	v_lshl_add_u64 v[62:63], v[60:61], 3, s[0:1]
	v_add_u32_e32 v60, s9, v60
	v_ashrrev_i32_e32 v61, 31, v60
	v_lshl_add_u64 v[64:65], v[60:61], 3, s[0:1]
	global_load_dwordx2 v[66:67], v[62:63], off
	global_load_dwordx2 v[68:69], v[64:65], off
	v_add_u32_e32 v60, s9, v60
	v_ashrrev_i32_e32 v61, 31, v60
	v_lshl_add_u64 v[60:61], v[60:61], 3, s[0:1]
	s_waitcnt vmcnt(0)
	scratch_store_dwordx4 off, v[66:69], off offset:224
	global_load_dwordx2 v[66:67], v[60:61], off
	s_waitcnt vmcnt(0)
	scratch_store_dwordx2 off, v[66:67], off offset:240
	v_mov_b64_e32 v[66:67], -1.0
	s_cbranch_scc1 .LBB30_3
; %bb.2:
	scratch_load_dwordx2 v[66:67], v12, off
	s_waitcnt vmcnt(0)
	v_div_scale_f64 v[68:69], s[0:1], v[66:67], v[66:67], 1.0
	v_rcp_f64_e32 v[70:71], v[68:69]
	v_div_scale_f64 v[72:73], vcc, 1.0, v[66:67], 1.0
	v_fma_f64 v[74:75], -v[68:69], v[70:71], 1.0
	v_fmac_f64_e32 v[70:71], v[70:71], v[74:75]
	v_fma_f64 v[74:75], -v[68:69], v[70:71], 1.0
	v_fmac_f64_e32 v[70:71], v[70:71], v[74:75]
	v_mul_f64 v[74:75], v[72:73], v[70:71]
	v_fma_f64 v[68:69], -v[68:69], v[74:75], v[72:73]
	v_div_fmas_f64 v[68:69], v[68:69], v[70:71], v[74:75]
	v_div_fixup_f64 v[66:67], v[68:69], v[66:67], 1.0
	scratch_store_dwordx2 v12, v[66:67], off
	v_xor_b32_e32 v67, 0x80000000, v67
.LBB30_3:
	s_cmpk_eq_i32 s4, 0x79
	v_add_u32_e32 v1, 0x100, v12
	v_mov_b32_e32 v13, v12
	s_mov_b64 s[0:1], -1
	ds_write_b64 v12, v[66:67]
	s_cbranch_scc1 .LBB30_297
; %bb.4:
	scratch_load_dwordx2 v[66:67], off, off offset:232
	s_movk_i32 s8, 0x50
	s_movk_i32 s9, 0x60
	;; [unrolled: 1-line block ×10, first 2 shown]
	v_cmp_eq_u32_e64 s[0:1], 30, v0
	s_waitcnt vmcnt(0)
	ds_write_b64 v1, v[66:67]
	s_waitcnt lgkmcnt(0)
	; wave barrier
	s_and_saveexec_b64 s[2:3], s[0:1]
	s_cbranch_execz .LBB30_10
; %bb.5:
	s_and_b64 vcc, exec, s[6:7]
	s_cbranch_vccz .LBB30_7
; %bb.6:
	scratch_load_dwordx2 v[66:67], v13, off
	ds_read_b64 v[68:69], v1
	s_waitcnt vmcnt(0) lgkmcnt(0)
	v_mul_f64 v[66:67], v[66:67], v[68:69]
	s_cbranch_execz .LBB30_8
	s_branch .LBB30_9
.LBB30_7:
                                        ; implicit-def: $vgpr66_vgpr67
.LBB30_8:
	ds_read_b64 v[66:67], v1
.LBB30_9:
	v_mov_b32_e32 v68, 0
	ds_read_b64 v[68:69], v68 offset:232
	s_waitcnt lgkmcnt(0)
	v_mul_f64 v[66:67], v[66:67], v[68:69]
	scratch_store_dwordx2 off, v[66:67], off offset:232
.LBB30_10:
	s_or_b64 exec, exec, s[2:3]
	scratch_load_dwordx2 v[66:67], off, off offset:224
	s_mov_b32 s10, 16
	s_mov_b32 s11, 32
	;; [unrolled: 1-line block ×6, first 2 shown]
	v_cmp_lt_u32_e64 s[4:5], 28, v0
	s_waitcnt vmcnt(0)
	ds_write_b64 v1, v[66:67]
	s_waitcnt lgkmcnt(0)
	; wave barrier
	s_and_saveexec_b64 s[2:3], s[4:5]
	s_cbranch_execz .LBB30_16
; %bb.11:
	s_andn2_b64 vcc, exec, s[6:7]
	s_cbranch_vccnz .LBB30_13
; %bb.12:
	scratch_load_dwordx2 v[66:67], v13, off
	ds_read_b64 v[68:69], v1
	s_waitcnt vmcnt(0) lgkmcnt(0)
	v_mul_f64 v[66:67], v[66:67], v[68:69]
	s_cbranch_execz .LBB30_14
	s_branch .LBB30_15
.LBB30_13:
                                        ; implicit-def: $vgpr66_vgpr67
.LBB30_14:
	ds_read_b64 v[66:67], v1
.LBB30_15:
	scratch_load_dwordx2 v[72:73], off, off offset:232
	v_mov_b32_e32 v68, 0
	ds_read2_b64 v[68:71], v68 offset0:28 offset1:61
	s_waitcnt vmcnt(0) lgkmcnt(0)
	v_fma_f64 v[70:71], v[72:73], v[70:71], v[66:67]
	v_cndmask_b32_e64 v67, v67, v71, s[0:1]
	v_cndmask_b32_e64 v66, v66, v70, s[0:1]
	v_mul_f64 v[66:67], v[66:67], v[68:69]
	scratch_store_dwordx2 off, v[66:67], off offset:224
.LBB30_16:
	s_or_b64 exec, exec, s[2:3]
	scratch_load_dwordx2 v[66:67], off, off offset:216
	v_cmp_lt_u32_e64 s[2:3], 27, v0
	s_waitcnt vmcnt(0)
	ds_write_b64 v1, v[66:67]
	s_waitcnt lgkmcnt(0)
	; wave barrier
	s_and_saveexec_b64 s[0:1], s[2:3]
	s_cbranch_execz .LBB30_26
; %bb.17:
	s_andn2_b64 vcc, exec, s[6:7]
	s_cbranch_vccnz .LBB30_19
; %bb.18:
	scratch_load_dwordx2 v[66:67], v13, off
	ds_read_b64 v[68:69], v1
	s_waitcnt vmcnt(0) lgkmcnt(0)
	v_mul_f64 v[66:67], v[66:67], v[68:69]
	s_cbranch_execz .LBB30_20
	s_branch .LBB30_21
.LBB30_19:
                                        ; implicit-def: $vgpr66_vgpr67
.LBB30_20:
	ds_read_b64 v[66:67], v1
.LBB30_21:
	s_and_saveexec_b64 s[8:9], s[4:5]
	s_cbranch_execz .LBB30_25
; %bb.22:
	v_subrev_u32_e32 v68, 28, v0
	s_movk_i32 s24, 0x1e0
	s_mov_b64 s[4:5], 0
.LBB30_23:                              ; =>This Inner Loop Header: Depth=1
	scratch_load_dwordx2 v[70:71], off, s23
	v_mov_b32_e32 v69, s24
	ds_read_b64 v[72:73], v69
	v_add_u32_e32 v68, -1, v68
	s_add_i32 s24, s24, 8
	s_add_i32 s23, s23, 8
	v_cmp_eq_u32_e32 vcc, 0, v68
	s_or_b64 s[4:5], vcc, s[4:5]
	s_waitcnt vmcnt(0) lgkmcnt(0)
	v_fmac_f64_e32 v[66:67], v[70:71], v[72:73]
	s_andn2_b64 exec, exec, s[4:5]
	s_cbranch_execnz .LBB30_23
; %bb.24:
	s_or_b64 exec, exec, s[4:5]
.LBB30_25:
	s_or_b64 exec, exec, s[8:9]
	v_mov_b32_e32 v68, 0
	ds_read_b64 v[68:69], v68 offset:216
	s_waitcnt lgkmcnt(0)
	v_mul_f64 v[66:67], v[66:67], v[68:69]
	scratch_store_dwordx2 off, v[66:67], off offset:216
.LBB30_26:
	s_or_b64 exec, exec, s[0:1]
	scratch_load_dwordx2 v[66:67], off, off offset:208
	v_cmp_lt_u32_e64 s[0:1], 26, v0
	s_waitcnt vmcnt(0)
	ds_write_b64 v1, v[66:67]
	s_waitcnt lgkmcnt(0)
	; wave barrier
	s_and_saveexec_b64 s[4:5], s[0:1]
	s_cbranch_execz .LBB30_36
; %bb.27:
	s_andn2_b64 vcc, exec, s[6:7]
	s_cbranch_vccnz .LBB30_29
; %bb.28:
	scratch_load_dwordx2 v[66:67], v13, off
	ds_read_b64 v[68:69], v1
	s_waitcnt vmcnt(0) lgkmcnt(0)
	v_mul_f64 v[66:67], v[66:67], v[68:69]
	s_cbranch_execz .LBB30_30
	s_branch .LBB30_31
.LBB30_29:
                                        ; implicit-def: $vgpr66_vgpr67
.LBB30_30:
	ds_read_b64 v[66:67], v1
.LBB30_31:
	s_and_saveexec_b64 s[8:9], s[2:3]
	s_cbranch_execz .LBB30_35
; %bb.32:
	s_movk_i32 s23, 0xd8
	v_subrev_u32_e32 v68, 27, v0
	s_movk_i32 s24, 0x1d8
	s_mov_b64 s[2:3], 0
.LBB30_33:                              ; =>This Inner Loop Header: Depth=1
	scratch_load_dwordx2 v[70:71], off, s23
	v_mov_b32_e32 v69, s24
	ds_read_b64 v[72:73], v69
	v_add_u32_e32 v68, -1, v68
	s_add_i32 s24, s24, 8
	s_add_i32 s23, s23, 8
	v_cmp_eq_u32_e32 vcc, 0, v68
	s_or_b64 s[2:3], vcc, s[2:3]
	s_waitcnt vmcnt(0) lgkmcnt(0)
	v_fmac_f64_e32 v[66:67], v[70:71], v[72:73]
	s_andn2_b64 exec, exec, s[2:3]
	s_cbranch_execnz .LBB30_33
; %bb.34:
	s_or_b64 exec, exec, s[2:3]
.LBB30_35:
	s_or_b64 exec, exec, s[8:9]
	v_mov_b32_e32 v68, 0
	ds_read_b64 v[68:69], v68 offset:208
	s_waitcnt lgkmcnt(0)
	v_mul_f64 v[66:67], v[66:67], v[68:69]
	scratch_store_dwordx2 off, v[66:67], off offset:208
.LBB30_36:
	s_or_b64 exec, exec, s[4:5]
	scratch_load_dwordx2 v[66:67], off, off offset:200
	v_cmp_lt_u32_e64 s[2:3], 25, v0
	s_waitcnt vmcnt(0)
	ds_write_b64 v1, v[66:67]
	s_waitcnt lgkmcnt(0)
	; wave barrier
	s_and_saveexec_b64 s[4:5], s[2:3]
	s_cbranch_execz .LBB30_46
; %bb.37:
	s_andn2_b64 vcc, exec, s[6:7]
	s_cbranch_vccnz .LBB30_39
; %bb.38:
	scratch_load_dwordx2 v[66:67], v13, off
	ds_read_b64 v[68:69], v1
	s_waitcnt vmcnt(0) lgkmcnt(0)
	v_mul_f64 v[66:67], v[66:67], v[68:69]
	s_cbranch_execz .LBB30_40
	s_branch .LBB30_41
.LBB30_39:
                                        ; implicit-def: $vgpr66_vgpr67
.LBB30_40:
	ds_read_b64 v[66:67], v1
.LBB30_41:
	s_and_saveexec_b64 s[8:9], s[0:1]
	s_cbranch_execz .LBB30_45
; %bb.42:
	v_subrev_u32_e32 v68, 26, v0
	s_movk_i32 s23, 0x1d0
	s_mov_b64 s[0:1], 0
.LBB30_43:                              ; =>This Inner Loop Header: Depth=1
	scratch_load_dwordx2 v[70:71], off, s22
	v_mov_b32_e32 v69, s23
	ds_read_b64 v[72:73], v69
	v_add_u32_e32 v68, -1, v68
	s_add_i32 s23, s23, 8
	s_add_i32 s22, s22, 8
	v_cmp_eq_u32_e32 vcc, 0, v68
	s_or_b64 s[0:1], vcc, s[0:1]
	s_waitcnt vmcnt(0) lgkmcnt(0)
	v_fmac_f64_e32 v[66:67], v[70:71], v[72:73]
	s_andn2_b64 exec, exec, s[0:1]
	s_cbranch_execnz .LBB30_43
; %bb.44:
	s_or_b64 exec, exec, s[0:1]
.LBB30_45:
	s_or_b64 exec, exec, s[8:9]
	v_mov_b32_e32 v68, 0
	ds_read_b64 v[68:69], v68 offset:200
	s_waitcnt lgkmcnt(0)
	v_mul_f64 v[66:67], v[66:67], v[68:69]
	scratch_store_dwordx2 off, v[66:67], off offset:200
.LBB30_46:
	s_or_b64 exec, exec, s[4:5]
	scratch_load_dwordx2 v[66:67], off, off offset:192
	v_cmp_lt_u32_e64 s[0:1], 24, v0
	s_waitcnt vmcnt(0)
	ds_write_b64 v1, v[66:67]
	s_waitcnt lgkmcnt(0)
	; wave barrier
	s_and_saveexec_b64 s[4:5], s[0:1]
	s_cbranch_execz .LBB30_56
; %bb.47:
	s_andn2_b64 vcc, exec, s[6:7]
	s_cbranch_vccnz .LBB30_49
; %bb.48:
	scratch_load_dwordx2 v[66:67], v13, off
	ds_read_b64 v[68:69], v1
	s_waitcnt vmcnt(0) lgkmcnt(0)
	v_mul_f64 v[66:67], v[66:67], v[68:69]
	s_cbranch_execz .LBB30_50
	s_branch .LBB30_51
.LBB30_49:
                                        ; implicit-def: $vgpr66_vgpr67
.LBB30_50:
	ds_read_b64 v[66:67], v1
.LBB30_51:
	s_and_saveexec_b64 s[8:9], s[2:3]
	s_cbranch_execz .LBB30_55
; %bb.52:
	s_movk_i32 s22, 0xc8
	v_subrev_u32_e32 v68, 25, v0
	s_movk_i32 s23, 0x1c8
	s_mov_b64 s[2:3], 0
.LBB30_53:                              ; =>This Inner Loop Header: Depth=1
	scratch_load_dwordx2 v[70:71], off, s22
	v_mov_b32_e32 v69, s23
	ds_read_b64 v[72:73], v69
	v_add_u32_e32 v68, -1, v68
	s_add_i32 s23, s23, 8
	s_add_i32 s22, s22, 8
	v_cmp_eq_u32_e32 vcc, 0, v68
	s_or_b64 s[2:3], vcc, s[2:3]
	s_waitcnt vmcnt(0) lgkmcnt(0)
	v_fmac_f64_e32 v[66:67], v[70:71], v[72:73]
	s_andn2_b64 exec, exec, s[2:3]
	s_cbranch_execnz .LBB30_53
; %bb.54:
	s_or_b64 exec, exec, s[2:3]
.LBB30_55:
	s_or_b64 exec, exec, s[8:9]
	v_mov_b32_e32 v68, 0
	ds_read_b64 v[68:69], v68 offset:192
	s_waitcnt lgkmcnt(0)
	v_mul_f64 v[66:67], v[66:67], v[68:69]
	scratch_store_dwordx2 off, v[66:67], off offset:192
.LBB30_56:
	s_or_b64 exec, exec, s[4:5]
	scratch_load_dwordx2 v[66:67], off, off offset:184
	v_cmp_lt_u32_e64 s[2:3], 23, v0
	s_waitcnt vmcnt(0)
	ds_write_b64 v1, v[66:67]
	s_waitcnt lgkmcnt(0)
	; wave barrier
	s_and_saveexec_b64 s[4:5], s[2:3]
	s_cbranch_execz .LBB30_66
; %bb.57:
	s_andn2_b64 vcc, exec, s[6:7]
	s_cbranch_vccnz .LBB30_59
; %bb.58:
	scratch_load_dwordx2 v[66:67], v13, off
	ds_read_b64 v[68:69], v1
	s_waitcnt vmcnt(0) lgkmcnt(0)
	v_mul_f64 v[66:67], v[66:67], v[68:69]
	s_cbranch_execz .LBB30_60
	s_branch .LBB30_61
.LBB30_59:
                                        ; implicit-def: $vgpr66_vgpr67
.LBB30_60:
	ds_read_b64 v[66:67], v1
.LBB30_61:
	s_and_saveexec_b64 s[8:9], s[0:1]
	s_cbranch_execz .LBB30_65
; %bb.62:
	v_subrev_u32_e32 v68, 24, v0
	s_movk_i32 s22, 0x1c0
	s_mov_b64 s[0:1], 0
.LBB30_63:                              ; =>This Inner Loop Header: Depth=1
	scratch_load_dwordx2 v[70:71], off, s21
	v_mov_b32_e32 v69, s22
	ds_read_b64 v[72:73], v69
	v_add_u32_e32 v68, -1, v68
	s_add_i32 s22, s22, 8
	s_add_i32 s21, s21, 8
	v_cmp_eq_u32_e32 vcc, 0, v68
	s_or_b64 s[0:1], vcc, s[0:1]
	s_waitcnt vmcnt(0) lgkmcnt(0)
	v_fmac_f64_e32 v[66:67], v[70:71], v[72:73]
	s_andn2_b64 exec, exec, s[0:1]
	s_cbranch_execnz .LBB30_63
; %bb.64:
	s_or_b64 exec, exec, s[0:1]
.LBB30_65:
	s_or_b64 exec, exec, s[8:9]
	v_mov_b32_e32 v68, 0
	ds_read_b64 v[68:69], v68 offset:184
	s_waitcnt lgkmcnt(0)
	v_mul_f64 v[66:67], v[66:67], v[68:69]
	scratch_store_dwordx2 off, v[66:67], off offset:184
.LBB30_66:
	s_or_b64 exec, exec, s[4:5]
	scratch_load_dwordx2 v[66:67], off, off offset:176
	v_cmp_lt_u32_e64 s[0:1], 22, v0
	s_waitcnt vmcnt(0)
	ds_write_b64 v1, v[66:67]
	s_waitcnt lgkmcnt(0)
	; wave barrier
	s_and_saveexec_b64 s[4:5], s[0:1]
	s_cbranch_execz .LBB30_76
; %bb.67:
	s_andn2_b64 vcc, exec, s[6:7]
	s_cbranch_vccnz .LBB30_69
; %bb.68:
	scratch_load_dwordx2 v[66:67], v13, off
	ds_read_b64 v[68:69], v1
	s_waitcnt vmcnt(0) lgkmcnt(0)
	v_mul_f64 v[66:67], v[66:67], v[68:69]
	s_cbranch_execz .LBB30_70
	s_branch .LBB30_71
.LBB30_69:
                                        ; implicit-def: $vgpr66_vgpr67
.LBB30_70:
	ds_read_b64 v[66:67], v1
.LBB30_71:
	s_and_saveexec_b64 s[8:9], s[2:3]
	s_cbranch_execz .LBB30_75
; %bb.72:
	s_movk_i32 s21, 0xb8
	v_subrev_u32_e32 v68, 23, v0
	s_movk_i32 s22, 0x1b8
	s_mov_b64 s[2:3], 0
.LBB30_73:                              ; =>This Inner Loop Header: Depth=1
	scratch_load_dwordx2 v[70:71], off, s21
	v_mov_b32_e32 v69, s22
	ds_read_b64 v[72:73], v69
	v_add_u32_e32 v68, -1, v68
	s_add_i32 s22, s22, 8
	s_add_i32 s21, s21, 8
	v_cmp_eq_u32_e32 vcc, 0, v68
	s_or_b64 s[2:3], vcc, s[2:3]
	s_waitcnt vmcnt(0) lgkmcnt(0)
	v_fmac_f64_e32 v[66:67], v[70:71], v[72:73]
	s_andn2_b64 exec, exec, s[2:3]
	s_cbranch_execnz .LBB30_73
; %bb.74:
	s_or_b64 exec, exec, s[2:3]
.LBB30_75:
	s_or_b64 exec, exec, s[8:9]
	v_mov_b32_e32 v68, 0
	ds_read_b64 v[68:69], v68 offset:176
	s_waitcnt lgkmcnt(0)
	v_mul_f64 v[66:67], v[66:67], v[68:69]
	scratch_store_dwordx2 off, v[66:67], off offset:176
.LBB30_76:
	s_or_b64 exec, exec, s[4:5]
	scratch_load_dwordx2 v[66:67], off, off offset:168
	v_cmp_lt_u32_e64 s[2:3], 21, v0
	s_waitcnt vmcnt(0)
	ds_write_b64 v1, v[66:67]
	s_waitcnt lgkmcnt(0)
	; wave barrier
	s_and_saveexec_b64 s[4:5], s[2:3]
	s_cbranch_execz .LBB30_86
; %bb.77:
	s_andn2_b64 vcc, exec, s[6:7]
	s_cbranch_vccnz .LBB30_79
; %bb.78:
	scratch_load_dwordx2 v[66:67], v13, off
	ds_read_b64 v[68:69], v1
	s_waitcnt vmcnt(0) lgkmcnt(0)
	v_mul_f64 v[66:67], v[66:67], v[68:69]
	s_cbranch_execz .LBB30_80
	s_branch .LBB30_81
.LBB30_79:
                                        ; implicit-def: $vgpr66_vgpr67
.LBB30_80:
	ds_read_b64 v[66:67], v1
.LBB30_81:
	s_and_saveexec_b64 s[8:9], s[0:1]
	s_cbranch_execz .LBB30_85
; %bb.82:
	v_subrev_u32_e32 v68, 22, v0
	s_movk_i32 s21, 0x1b0
	s_mov_b64 s[0:1], 0
.LBB30_83:                              ; =>This Inner Loop Header: Depth=1
	scratch_load_dwordx2 v[70:71], off, s20
	v_mov_b32_e32 v69, s21
	ds_read_b64 v[72:73], v69
	v_add_u32_e32 v68, -1, v68
	s_add_i32 s21, s21, 8
	s_add_i32 s20, s20, 8
	v_cmp_eq_u32_e32 vcc, 0, v68
	s_or_b64 s[0:1], vcc, s[0:1]
	s_waitcnt vmcnt(0) lgkmcnt(0)
	v_fmac_f64_e32 v[66:67], v[70:71], v[72:73]
	s_andn2_b64 exec, exec, s[0:1]
	s_cbranch_execnz .LBB30_83
; %bb.84:
	s_or_b64 exec, exec, s[0:1]
.LBB30_85:
	s_or_b64 exec, exec, s[8:9]
	v_mov_b32_e32 v68, 0
	ds_read_b64 v[68:69], v68 offset:168
	s_waitcnt lgkmcnt(0)
	v_mul_f64 v[66:67], v[66:67], v[68:69]
	scratch_store_dwordx2 off, v[66:67], off offset:168
.LBB30_86:
	s_or_b64 exec, exec, s[4:5]
	scratch_load_dwordx2 v[66:67], off, off offset:160
	v_cmp_lt_u32_e64 s[0:1], 20, v0
	s_waitcnt vmcnt(0)
	ds_write_b64 v1, v[66:67]
	s_waitcnt lgkmcnt(0)
	; wave barrier
	s_and_saveexec_b64 s[4:5], s[0:1]
	s_cbranch_execz .LBB30_96
; %bb.87:
	s_andn2_b64 vcc, exec, s[6:7]
	s_cbranch_vccnz .LBB30_89
; %bb.88:
	scratch_load_dwordx2 v[66:67], v13, off
	ds_read_b64 v[68:69], v1
	s_waitcnt vmcnt(0) lgkmcnt(0)
	v_mul_f64 v[66:67], v[66:67], v[68:69]
	s_cbranch_execz .LBB30_90
	s_branch .LBB30_91
.LBB30_89:
                                        ; implicit-def: $vgpr66_vgpr67
.LBB30_90:
	ds_read_b64 v[66:67], v1
.LBB30_91:
	s_and_saveexec_b64 s[8:9], s[2:3]
	s_cbranch_execz .LBB30_95
; %bb.92:
	s_movk_i32 s20, 0xa8
	v_subrev_u32_e32 v68, 21, v0
	s_movk_i32 s21, 0x1a8
	s_mov_b64 s[2:3], 0
.LBB30_93:                              ; =>This Inner Loop Header: Depth=1
	scratch_load_dwordx2 v[70:71], off, s20
	v_mov_b32_e32 v69, s21
	ds_read_b64 v[72:73], v69
	v_add_u32_e32 v68, -1, v68
	s_add_i32 s21, s21, 8
	s_add_i32 s20, s20, 8
	v_cmp_eq_u32_e32 vcc, 0, v68
	s_or_b64 s[2:3], vcc, s[2:3]
	s_waitcnt vmcnt(0) lgkmcnt(0)
	v_fmac_f64_e32 v[66:67], v[70:71], v[72:73]
	s_andn2_b64 exec, exec, s[2:3]
	s_cbranch_execnz .LBB30_93
; %bb.94:
	s_or_b64 exec, exec, s[2:3]
.LBB30_95:
	s_or_b64 exec, exec, s[8:9]
	v_mov_b32_e32 v68, 0
	ds_read_b64 v[68:69], v68 offset:160
	s_waitcnt lgkmcnt(0)
	v_mul_f64 v[66:67], v[66:67], v[68:69]
	scratch_store_dwordx2 off, v[66:67], off offset:160
.LBB30_96:
	s_or_b64 exec, exec, s[4:5]
	scratch_load_dwordx2 v[66:67], off, off offset:152
	v_cmp_lt_u32_e64 s[2:3], 19, v0
	s_waitcnt vmcnt(0)
	ds_write_b64 v1, v[66:67]
	s_waitcnt lgkmcnt(0)
	; wave barrier
	s_and_saveexec_b64 s[4:5], s[2:3]
	s_cbranch_execz .LBB30_106
; %bb.97:
	s_andn2_b64 vcc, exec, s[6:7]
	s_cbranch_vccnz .LBB30_99
; %bb.98:
	scratch_load_dwordx2 v[66:67], v13, off
	ds_read_b64 v[68:69], v1
	s_waitcnt vmcnt(0) lgkmcnt(0)
	v_mul_f64 v[66:67], v[66:67], v[68:69]
	s_cbranch_execz .LBB30_100
	s_branch .LBB30_101
.LBB30_99:
                                        ; implicit-def: $vgpr66_vgpr67
.LBB30_100:
	ds_read_b64 v[66:67], v1
.LBB30_101:
	s_and_saveexec_b64 s[8:9], s[0:1]
	s_cbranch_execz .LBB30_105
; %bb.102:
	v_subrev_u32_e32 v68, 20, v0
	s_movk_i32 s20, 0x1a0
	s_mov_b64 s[0:1], 0
.LBB30_103:                             ; =>This Inner Loop Header: Depth=1
	scratch_load_dwordx2 v[70:71], off, s19
	v_mov_b32_e32 v69, s20
	ds_read_b64 v[72:73], v69
	v_add_u32_e32 v68, -1, v68
	s_add_i32 s20, s20, 8
	s_add_i32 s19, s19, 8
	v_cmp_eq_u32_e32 vcc, 0, v68
	s_or_b64 s[0:1], vcc, s[0:1]
	s_waitcnt vmcnt(0) lgkmcnt(0)
	v_fmac_f64_e32 v[66:67], v[70:71], v[72:73]
	s_andn2_b64 exec, exec, s[0:1]
	s_cbranch_execnz .LBB30_103
; %bb.104:
	s_or_b64 exec, exec, s[0:1]
.LBB30_105:
	s_or_b64 exec, exec, s[8:9]
	v_mov_b32_e32 v68, 0
	ds_read_b64 v[68:69], v68 offset:152
	s_waitcnt lgkmcnt(0)
	v_mul_f64 v[66:67], v[66:67], v[68:69]
	scratch_store_dwordx2 off, v[66:67], off offset:152
.LBB30_106:
	s_or_b64 exec, exec, s[4:5]
	scratch_load_dwordx2 v[66:67], off, off offset:144
	v_cmp_lt_u32_e64 s[0:1], 18, v0
	s_waitcnt vmcnt(0)
	ds_write_b64 v1, v[66:67]
	s_waitcnt lgkmcnt(0)
	; wave barrier
	s_and_saveexec_b64 s[4:5], s[0:1]
	s_cbranch_execz .LBB30_116
; %bb.107:
	s_andn2_b64 vcc, exec, s[6:7]
	s_cbranch_vccnz .LBB30_109
; %bb.108:
	scratch_load_dwordx2 v[66:67], v13, off
	ds_read_b64 v[68:69], v1
	s_waitcnt vmcnt(0) lgkmcnt(0)
	v_mul_f64 v[66:67], v[66:67], v[68:69]
	s_cbranch_execz .LBB30_110
	s_branch .LBB30_111
.LBB30_109:
                                        ; implicit-def: $vgpr66_vgpr67
.LBB30_110:
	ds_read_b64 v[66:67], v1
.LBB30_111:
	s_and_saveexec_b64 s[8:9], s[2:3]
	s_cbranch_execz .LBB30_115
; %bb.112:
	s_movk_i32 s19, 0x98
	v_subrev_u32_e32 v68, 19, v0
	s_movk_i32 s20, 0x198
	s_mov_b64 s[2:3], 0
.LBB30_113:                             ; =>This Inner Loop Header: Depth=1
	scratch_load_dwordx2 v[70:71], off, s19
	v_mov_b32_e32 v69, s20
	ds_read_b64 v[72:73], v69
	v_add_u32_e32 v68, -1, v68
	s_add_i32 s20, s20, 8
	s_add_i32 s19, s19, 8
	v_cmp_eq_u32_e32 vcc, 0, v68
	s_or_b64 s[2:3], vcc, s[2:3]
	s_waitcnt vmcnt(0) lgkmcnt(0)
	v_fmac_f64_e32 v[66:67], v[70:71], v[72:73]
	s_andn2_b64 exec, exec, s[2:3]
	s_cbranch_execnz .LBB30_113
; %bb.114:
	s_or_b64 exec, exec, s[2:3]
.LBB30_115:
	s_or_b64 exec, exec, s[8:9]
	v_mov_b32_e32 v68, 0
	ds_read_b64 v[68:69], v68 offset:144
	s_waitcnt lgkmcnt(0)
	v_mul_f64 v[66:67], v[66:67], v[68:69]
	scratch_store_dwordx2 off, v[66:67], off offset:144
.LBB30_116:
	s_or_b64 exec, exec, s[4:5]
	scratch_load_dwordx2 v[66:67], off, off offset:136
	v_cmp_lt_u32_e64 s[2:3], 17, v0
	s_waitcnt vmcnt(0)
	ds_write_b64 v1, v[66:67]
	s_waitcnt lgkmcnt(0)
	; wave barrier
	s_and_saveexec_b64 s[4:5], s[2:3]
	s_cbranch_execz .LBB30_126
; %bb.117:
	s_andn2_b64 vcc, exec, s[6:7]
	s_cbranch_vccnz .LBB30_119
; %bb.118:
	scratch_load_dwordx2 v[66:67], v13, off
	ds_read_b64 v[68:69], v1
	s_waitcnt vmcnt(0) lgkmcnt(0)
	v_mul_f64 v[66:67], v[66:67], v[68:69]
	s_cbranch_execz .LBB30_120
	s_branch .LBB30_121
.LBB30_119:
                                        ; implicit-def: $vgpr66_vgpr67
.LBB30_120:
	ds_read_b64 v[66:67], v1
.LBB30_121:
	s_and_saveexec_b64 s[8:9], s[0:1]
	s_cbranch_execz .LBB30_125
; %bb.122:
	v_subrev_u32_e32 v68, 18, v0
	s_movk_i32 s19, 0x190
	s_mov_b64 s[0:1], 0
.LBB30_123:                             ; =>This Inner Loop Header: Depth=1
	scratch_load_dwordx2 v[70:71], off, s18
	v_mov_b32_e32 v69, s19
	ds_read_b64 v[72:73], v69
	v_add_u32_e32 v68, -1, v68
	s_add_i32 s19, s19, 8
	s_add_i32 s18, s18, 8
	v_cmp_eq_u32_e32 vcc, 0, v68
	s_or_b64 s[0:1], vcc, s[0:1]
	s_waitcnt vmcnt(0) lgkmcnt(0)
	v_fmac_f64_e32 v[66:67], v[70:71], v[72:73]
	s_andn2_b64 exec, exec, s[0:1]
	s_cbranch_execnz .LBB30_123
; %bb.124:
	s_or_b64 exec, exec, s[0:1]
.LBB30_125:
	s_or_b64 exec, exec, s[8:9]
	v_mov_b32_e32 v68, 0
	ds_read_b64 v[68:69], v68 offset:136
	s_waitcnt lgkmcnt(0)
	v_mul_f64 v[66:67], v[66:67], v[68:69]
	scratch_store_dwordx2 off, v[66:67], off offset:136
.LBB30_126:
	s_or_b64 exec, exec, s[4:5]
	scratch_load_dwordx2 v[66:67], off, off offset:128
	v_cmp_lt_u32_e64 s[0:1], 16, v0
	s_waitcnt vmcnt(0)
	ds_write_b64 v1, v[66:67]
	s_waitcnt lgkmcnt(0)
	; wave barrier
	s_and_saveexec_b64 s[4:5], s[0:1]
	s_cbranch_execz .LBB30_136
; %bb.127:
	s_andn2_b64 vcc, exec, s[6:7]
	s_cbranch_vccnz .LBB30_129
; %bb.128:
	scratch_load_dwordx2 v[66:67], v13, off
	ds_read_b64 v[68:69], v1
	s_waitcnt vmcnt(0) lgkmcnt(0)
	v_mul_f64 v[66:67], v[66:67], v[68:69]
	s_cbranch_execz .LBB30_130
	s_branch .LBB30_131
.LBB30_129:
                                        ; implicit-def: $vgpr66_vgpr67
.LBB30_130:
	ds_read_b64 v[66:67], v1
.LBB30_131:
	s_and_saveexec_b64 s[8:9], s[2:3]
	s_cbranch_execz .LBB30_135
; %bb.132:
	s_movk_i32 s18, 0x88
	v_subrev_u32_e32 v68, 17, v0
	s_movk_i32 s19, 0x188
	s_mov_b64 s[2:3], 0
.LBB30_133:                             ; =>This Inner Loop Header: Depth=1
	scratch_load_dwordx2 v[70:71], off, s18
	v_mov_b32_e32 v69, s19
	ds_read_b64 v[72:73], v69
	v_add_u32_e32 v68, -1, v68
	s_add_i32 s19, s19, 8
	s_add_i32 s18, s18, 8
	v_cmp_eq_u32_e32 vcc, 0, v68
	s_or_b64 s[2:3], vcc, s[2:3]
	s_waitcnt vmcnt(0) lgkmcnt(0)
	v_fmac_f64_e32 v[66:67], v[70:71], v[72:73]
	s_andn2_b64 exec, exec, s[2:3]
	s_cbranch_execnz .LBB30_133
; %bb.134:
	s_or_b64 exec, exec, s[2:3]
.LBB30_135:
	s_or_b64 exec, exec, s[8:9]
	v_mov_b32_e32 v68, 0
	ds_read_b64 v[68:69], v68 offset:128
	s_waitcnt lgkmcnt(0)
	v_mul_f64 v[66:67], v[66:67], v[68:69]
	scratch_store_dwordx2 off, v[66:67], off offset:128
.LBB30_136:
	s_or_b64 exec, exec, s[4:5]
	scratch_load_dwordx2 v[66:67], off, off offset:120
	v_cmp_lt_u32_e64 s[2:3], 15, v0
	s_waitcnt vmcnt(0)
	ds_write_b64 v1, v[66:67]
	s_waitcnt lgkmcnt(0)
	; wave barrier
	s_and_saveexec_b64 s[4:5], s[2:3]
	s_cbranch_execz .LBB30_146
; %bb.137:
	s_andn2_b64 vcc, exec, s[6:7]
	s_cbranch_vccnz .LBB30_139
; %bb.138:
	scratch_load_dwordx2 v[66:67], v13, off
	ds_read_b64 v[68:69], v1
	s_waitcnt vmcnt(0) lgkmcnt(0)
	v_mul_f64 v[66:67], v[66:67], v[68:69]
	s_cbranch_execz .LBB30_140
	s_branch .LBB30_141
.LBB30_139:
                                        ; implicit-def: $vgpr66_vgpr67
.LBB30_140:
	ds_read_b64 v[66:67], v1
.LBB30_141:
	s_and_saveexec_b64 s[8:9], s[0:1]
	s_cbranch_execz .LBB30_145
; %bb.142:
	v_add_u32_e32 v68, -16, v0
	s_movk_i32 s18, 0x180
	s_mov_b64 s[0:1], 0
.LBB30_143:                             ; =>This Inner Loop Header: Depth=1
	scratch_load_dwordx2 v[70:71], off, s17
	v_mov_b32_e32 v69, s18
	ds_read_b64 v[72:73], v69
	v_add_u32_e32 v68, -1, v68
	s_add_i32 s18, s18, 8
	s_add_i32 s17, s17, 8
	v_cmp_eq_u32_e32 vcc, 0, v68
	s_or_b64 s[0:1], vcc, s[0:1]
	s_waitcnt vmcnt(0) lgkmcnt(0)
	v_fmac_f64_e32 v[66:67], v[70:71], v[72:73]
	s_andn2_b64 exec, exec, s[0:1]
	s_cbranch_execnz .LBB30_143
; %bb.144:
	s_or_b64 exec, exec, s[0:1]
.LBB30_145:
	s_or_b64 exec, exec, s[8:9]
	v_mov_b32_e32 v68, 0
	ds_read_b64 v[68:69], v68 offset:120
	s_waitcnt lgkmcnt(0)
	v_mul_f64 v[66:67], v[66:67], v[68:69]
	scratch_store_dwordx2 off, v[66:67], off offset:120
.LBB30_146:
	s_or_b64 exec, exec, s[4:5]
	scratch_load_dwordx2 v[66:67], off, off offset:112
	v_cmp_lt_u32_e64 s[0:1], 14, v0
	s_waitcnt vmcnt(0)
	ds_write_b64 v1, v[66:67]
	s_waitcnt lgkmcnt(0)
	; wave barrier
	s_and_saveexec_b64 s[4:5], s[0:1]
	s_cbranch_execz .LBB30_156
; %bb.147:
	s_andn2_b64 vcc, exec, s[6:7]
	s_cbranch_vccnz .LBB30_149
; %bb.148:
	scratch_load_dwordx2 v[66:67], v13, off
	ds_read_b64 v[68:69], v1
	s_waitcnt vmcnt(0) lgkmcnt(0)
	v_mul_f64 v[66:67], v[66:67], v[68:69]
	s_cbranch_execz .LBB30_150
	s_branch .LBB30_151
.LBB30_149:
                                        ; implicit-def: $vgpr66_vgpr67
.LBB30_150:
	ds_read_b64 v[66:67], v1
.LBB30_151:
	s_and_saveexec_b64 s[8:9], s[2:3]
	s_cbranch_execz .LBB30_155
; %bb.152:
	s_movk_i32 s17, 0x78
	v_add_u32_e32 v68, -15, v0
	s_movk_i32 s18, 0x178
	s_mov_b64 s[2:3], 0
.LBB30_153:                             ; =>This Inner Loop Header: Depth=1
	scratch_load_dwordx2 v[70:71], off, s17
	v_mov_b32_e32 v69, s18
	ds_read_b64 v[72:73], v69
	v_add_u32_e32 v68, -1, v68
	s_add_i32 s18, s18, 8
	s_add_i32 s17, s17, 8
	v_cmp_eq_u32_e32 vcc, 0, v68
	s_or_b64 s[2:3], vcc, s[2:3]
	s_waitcnt vmcnt(0) lgkmcnt(0)
	v_fmac_f64_e32 v[66:67], v[70:71], v[72:73]
	s_andn2_b64 exec, exec, s[2:3]
	s_cbranch_execnz .LBB30_153
; %bb.154:
	s_or_b64 exec, exec, s[2:3]
.LBB30_155:
	s_or_b64 exec, exec, s[8:9]
	v_mov_b32_e32 v68, 0
	ds_read_b64 v[68:69], v68 offset:112
	s_waitcnt lgkmcnt(0)
	v_mul_f64 v[66:67], v[66:67], v[68:69]
	scratch_store_dwordx2 off, v[66:67], off offset:112
.LBB30_156:
	s_or_b64 exec, exec, s[4:5]
	scratch_load_dwordx2 v[66:67], off, off offset:104
	v_cmp_lt_u32_e64 s[2:3], 13, v0
	s_waitcnt vmcnt(0)
	ds_write_b64 v1, v[66:67]
	s_waitcnt lgkmcnt(0)
	; wave barrier
	s_and_saveexec_b64 s[4:5], s[2:3]
	s_cbranch_execz .LBB30_166
; %bb.157:
	s_andn2_b64 vcc, exec, s[6:7]
	s_cbranch_vccnz .LBB30_159
; %bb.158:
	scratch_load_dwordx2 v[66:67], v13, off
	ds_read_b64 v[68:69], v1
	s_waitcnt vmcnt(0) lgkmcnt(0)
	v_mul_f64 v[66:67], v[66:67], v[68:69]
	s_cbranch_execz .LBB30_160
	s_branch .LBB30_161
.LBB30_159:
                                        ; implicit-def: $vgpr66_vgpr67
.LBB30_160:
	ds_read_b64 v[66:67], v1
.LBB30_161:
	s_and_saveexec_b64 s[8:9], s[0:1]
	s_cbranch_execz .LBB30_165
; %bb.162:
	v_add_u32_e32 v68, -14, v0
	s_movk_i32 s17, 0x170
	s_mov_b64 s[0:1], 0
.LBB30_163:                             ; =>This Inner Loop Header: Depth=1
	scratch_load_dwordx2 v[70:71], off, s16
	v_mov_b32_e32 v69, s17
	ds_read_b64 v[72:73], v69
	v_add_u32_e32 v68, -1, v68
	s_add_i32 s17, s17, 8
	s_add_i32 s16, s16, 8
	v_cmp_eq_u32_e32 vcc, 0, v68
	s_or_b64 s[0:1], vcc, s[0:1]
	s_waitcnt vmcnt(0) lgkmcnt(0)
	v_fmac_f64_e32 v[66:67], v[70:71], v[72:73]
	s_andn2_b64 exec, exec, s[0:1]
	s_cbranch_execnz .LBB30_163
; %bb.164:
	s_or_b64 exec, exec, s[0:1]
.LBB30_165:
	s_or_b64 exec, exec, s[8:9]
	v_mov_b32_e32 v68, 0
	ds_read_b64 v[68:69], v68 offset:104
	s_waitcnt lgkmcnt(0)
	v_mul_f64 v[66:67], v[66:67], v[68:69]
	scratch_store_dwordx2 off, v[66:67], off offset:104
.LBB30_166:
	s_or_b64 exec, exec, s[4:5]
	scratch_load_dwordx2 v[66:67], off, off offset:96
	v_cmp_lt_u32_e64 s[0:1], 12, v0
	s_waitcnt vmcnt(0)
	ds_write_b64 v1, v[66:67]
	s_waitcnt lgkmcnt(0)
	; wave barrier
	s_and_saveexec_b64 s[4:5], s[0:1]
	s_cbranch_execz .LBB30_176
; %bb.167:
	s_andn2_b64 vcc, exec, s[6:7]
	s_cbranch_vccnz .LBB30_169
; %bb.168:
	scratch_load_dwordx2 v[66:67], v13, off
	ds_read_b64 v[68:69], v1
	s_waitcnt vmcnt(0) lgkmcnt(0)
	v_mul_f64 v[66:67], v[66:67], v[68:69]
	s_cbranch_execz .LBB30_170
	s_branch .LBB30_171
.LBB30_169:
                                        ; implicit-def: $vgpr66_vgpr67
.LBB30_170:
	ds_read_b64 v[66:67], v1
.LBB30_171:
	s_and_saveexec_b64 s[8:9], s[2:3]
	s_cbranch_execz .LBB30_175
; %bb.172:
	s_movk_i32 s16, 0x68
	v_add_u32_e32 v68, -13, v0
	s_movk_i32 s17, 0x168
	s_mov_b64 s[2:3], 0
.LBB30_173:                             ; =>This Inner Loop Header: Depth=1
	scratch_load_dwordx2 v[70:71], off, s16
	v_mov_b32_e32 v69, s17
	ds_read_b64 v[72:73], v69
	v_add_u32_e32 v68, -1, v68
	s_add_i32 s17, s17, 8
	s_add_i32 s16, s16, 8
	v_cmp_eq_u32_e32 vcc, 0, v68
	s_or_b64 s[2:3], vcc, s[2:3]
	s_waitcnt vmcnt(0) lgkmcnt(0)
	v_fmac_f64_e32 v[66:67], v[70:71], v[72:73]
	s_andn2_b64 exec, exec, s[2:3]
	s_cbranch_execnz .LBB30_173
; %bb.174:
	s_or_b64 exec, exec, s[2:3]
.LBB30_175:
	s_or_b64 exec, exec, s[8:9]
	v_mov_b32_e32 v68, 0
	ds_read_b64 v[68:69], v68 offset:96
	s_waitcnt lgkmcnt(0)
	v_mul_f64 v[66:67], v[66:67], v[68:69]
	scratch_store_dwordx2 off, v[66:67], off offset:96
.LBB30_176:
	s_or_b64 exec, exec, s[4:5]
	scratch_load_dwordx2 v[66:67], off, off offset:88
	v_cmp_lt_u32_e64 s[2:3], 11, v0
	s_waitcnt vmcnt(0)
	ds_write_b64 v1, v[66:67]
	s_waitcnt lgkmcnt(0)
	; wave barrier
	s_and_saveexec_b64 s[4:5], s[2:3]
	s_cbranch_execz .LBB30_186
; %bb.177:
	s_andn2_b64 vcc, exec, s[6:7]
	s_cbranch_vccnz .LBB30_179
; %bb.178:
	scratch_load_dwordx2 v[66:67], v13, off
	ds_read_b64 v[68:69], v1
	s_waitcnt vmcnt(0) lgkmcnt(0)
	v_mul_f64 v[66:67], v[66:67], v[68:69]
	s_cbranch_execz .LBB30_180
	s_branch .LBB30_181
.LBB30_179:
                                        ; implicit-def: $vgpr66_vgpr67
.LBB30_180:
	ds_read_b64 v[66:67], v1
.LBB30_181:
	s_and_saveexec_b64 s[8:9], s[0:1]
	s_cbranch_execz .LBB30_185
; %bb.182:
	v_add_u32_e32 v68, -12, v0
	s_movk_i32 s16, 0x160
	s_mov_b64 s[0:1], 0
.LBB30_183:                             ; =>This Inner Loop Header: Depth=1
	scratch_load_dwordx2 v[70:71], off, s15
	v_mov_b32_e32 v69, s16
	ds_read_b64 v[72:73], v69
	v_add_u32_e32 v68, -1, v68
	s_add_i32 s16, s16, 8
	s_add_i32 s15, s15, 8
	v_cmp_eq_u32_e32 vcc, 0, v68
	s_or_b64 s[0:1], vcc, s[0:1]
	s_waitcnt vmcnt(0) lgkmcnt(0)
	v_fmac_f64_e32 v[66:67], v[70:71], v[72:73]
	s_andn2_b64 exec, exec, s[0:1]
	s_cbranch_execnz .LBB30_183
; %bb.184:
	s_or_b64 exec, exec, s[0:1]
.LBB30_185:
	s_or_b64 exec, exec, s[8:9]
	v_mov_b32_e32 v68, 0
	ds_read_b64 v[68:69], v68 offset:88
	s_waitcnt lgkmcnt(0)
	v_mul_f64 v[66:67], v[66:67], v[68:69]
	scratch_store_dwordx2 off, v[66:67], off offset:88
.LBB30_186:
	s_or_b64 exec, exec, s[4:5]
	scratch_load_dwordx2 v[66:67], off, off offset:80
	v_cmp_lt_u32_e64 s[0:1], 10, v0
	s_waitcnt vmcnt(0)
	ds_write_b64 v1, v[66:67]
	s_waitcnt lgkmcnt(0)
	; wave barrier
	s_and_saveexec_b64 s[4:5], s[0:1]
	s_cbranch_execz .LBB30_196
; %bb.187:
	s_andn2_b64 vcc, exec, s[6:7]
	s_cbranch_vccnz .LBB30_189
; %bb.188:
	scratch_load_dwordx2 v[66:67], v13, off
	ds_read_b64 v[68:69], v1
	s_waitcnt vmcnt(0) lgkmcnt(0)
	v_mul_f64 v[66:67], v[66:67], v[68:69]
	s_cbranch_execz .LBB30_190
	s_branch .LBB30_191
.LBB30_189:
                                        ; implicit-def: $vgpr66_vgpr67
.LBB30_190:
	ds_read_b64 v[66:67], v1
.LBB30_191:
	s_and_saveexec_b64 s[8:9], s[2:3]
	s_cbranch_execz .LBB30_195
; %bb.192:
	s_movk_i32 s15, 0x58
	v_add_u32_e32 v68, -11, v0
	s_movk_i32 s16, 0x158
	s_mov_b64 s[2:3], 0
.LBB30_193:                             ; =>This Inner Loop Header: Depth=1
	scratch_load_dwordx2 v[70:71], off, s15
	v_mov_b32_e32 v69, s16
	ds_read_b64 v[72:73], v69
	v_add_u32_e32 v68, -1, v68
	s_add_i32 s16, s16, 8
	s_add_i32 s15, s15, 8
	v_cmp_eq_u32_e32 vcc, 0, v68
	s_or_b64 s[2:3], vcc, s[2:3]
	s_waitcnt vmcnt(0) lgkmcnt(0)
	v_fmac_f64_e32 v[66:67], v[70:71], v[72:73]
	s_andn2_b64 exec, exec, s[2:3]
	s_cbranch_execnz .LBB30_193
; %bb.194:
	s_or_b64 exec, exec, s[2:3]
.LBB30_195:
	s_or_b64 exec, exec, s[8:9]
	v_mov_b32_e32 v68, 0
	ds_read_b64 v[68:69], v68 offset:80
	s_waitcnt lgkmcnt(0)
	v_mul_f64 v[66:67], v[66:67], v[68:69]
	scratch_store_dwordx2 off, v[66:67], off offset:80
.LBB30_196:
	s_or_b64 exec, exec, s[4:5]
	scratch_load_dwordx2 v[66:67], off, off offset:72
	v_cmp_lt_u32_e64 s[2:3], 9, v0
	s_waitcnt vmcnt(0)
	ds_write_b64 v1, v[66:67]
	s_waitcnt lgkmcnt(0)
	; wave barrier
	s_and_saveexec_b64 s[4:5], s[2:3]
	s_cbranch_execz .LBB30_206
; %bb.197:
	s_andn2_b64 vcc, exec, s[6:7]
	s_cbranch_vccnz .LBB30_199
; %bb.198:
	scratch_load_dwordx2 v[66:67], v13, off
	ds_read_b64 v[68:69], v1
	s_waitcnt vmcnt(0) lgkmcnt(0)
	v_mul_f64 v[66:67], v[66:67], v[68:69]
	s_cbranch_execz .LBB30_200
	s_branch .LBB30_201
.LBB30_199:
                                        ; implicit-def: $vgpr66_vgpr67
.LBB30_200:
	ds_read_b64 v[66:67], v1
.LBB30_201:
	s_and_saveexec_b64 s[8:9], s[0:1]
	s_cbranch_execz .LBB30_205
; %bb.202:
	v_add_u32_e32 v68, -10, v0
	s_movk_i32 s15, 0x150
	s_mov_b64 s[0:1], 0
.LBB30_203:                             ; =>This Inner Loop Header: Depth=1
	scratch_load_dwordx2 v[70:71], off, s14
	v_mov_b32_e32 v69, s15
	ds_read_b64 v[72:73], v69
	v_add_u32_e32 v68, -1, v68
	s_add_i32 s15, s15, 8
	s_add_i32 s14, s14, 8
	v_cmp_eq_u32_e32 vcc, 0, v68
	s_or_b64 s[0:1], vcc, s[0:1]
	s_waitcnt vmcnt(0) lgkmcnt(0)
	v_fmac_f64_e32 v[66:67], v[70:71], v[72:73]
	s_andn2_b64 exec, exec, s[0:1]
	s_cbranch_execnz .LBB30_203
; %bb.204:
	s_or_b64 exec, exec, s[0:1]
.LBB30_205:
	s_or_b64 exec, exec, s[8:9]
	v_mov_b32_e32 v68, 0
	ds_read_b64 v[68:69], v68 offset:72
	s_waitcnt lgkmcnt(0)
	v_mul_f64 v[66:67], v[66:67], v[68:69]
	scratch_store_dwordx2 off, v[66:67], off offset:72
.LBB30_206:
	s_or_b64 exec, exec, s[4:5]
	scratch_load_dwordx2 v[66:67], off, off offset:64
	v_cmp_lt_u32_e64 s[0:1], 8, v0
	s_waitcnt vmcnt(0)
	ds_write_b64 v1, v[66:67]
	s_waitcnt lgkmcnt(0)
	; wave barrier
	s_and_saveexec_b64 s[4:5], s[0:1]
	s_cbranch_execz .LBB30_216
; %bb.207:
	s_andn2_b64 vcc, exec, s[6:7]
	s_cbranch_vccnz .LBB30_209
; %bb.208:
	scratch_load_dwordx2 v[66:67], v13, off
	ds_read_b64 v[68:69], v1
	s_waitcnt vmcnt(0) lgkmcnt(0)
	v_mul_f64 v[66:67], v[66:67], v[68:69]
	s_cbranch_execz .LBB30_210
	s_branch .LBB30_211
.LBB30_209:
                                        ; implicit-def: $vgpr66_vgpr67
.LBB30_210:
	ds_read_b64 v[66:67], v1
.LBB30_211:
	s_and_saveexec_b64 s[8:9], s[2:3]
	s_cbranch_execz .LBB30_215
; %bb.212:
	s_movk_i32 s14, 0x48
	v_add_u32_e32 v68, -9, v0
	s_movk_i32 s15, 0x148
	s_mov_b64 s[2:3], 0
.LBB30_213:                             ; =>This Inner Loop Header: Depth=1
	scratch_load_dwordx2 v[70:71], off, s14
	v_mov_b32_e32 v69, s15
	ds_read_b64 v[72:73], v69
	v_add_u32_e32 v68, -1, v68
	s_add_i32 s15, s15, 8
	s_add_i32 s14, s14, 8
	v_cmp_eq_u32_e32 vcc, 0, v68
	s_or_b64 s[2:3], vcc, s[2:3]
	s_waitcnt vmcnt(0) lgkmcnt(0)
	v_fmac_f64_e32 v[66:67], v[70:71], v[72:73]
	s_andn2_b64 exec, exec, s[2:3]
	s_cbranch_execnz .LBB30_213
; %bb.214:
	s_or_b64 exec, exec, s[2:3]
.LBB30_215:
	s_or_b64 exec, exec, s[8:9]
	v_mov_b32_e32 v68, 0
	ds_read_b64 v[68:69], v68 offset:64
	s_waitcnt lgkmcnt(0)
	v_mul_f64 v[66:67], v[66:67], v[68:69]
	scratch_store_dwordx2 off, v[66:67], off offset:64
.LBB30_216:
	s_or_b64 exec, exec, s[4:5]
	scratch_load_dwordx2 v[66:67], off, off offset:56
	v_cmp_lt_u32_e64 s[2:3], 7, v0
	s_waitcnt vmcnt(0)
	ds_write_b64 v1, v[66:67]
	s_waitcnt lgkmcnt(0)
	; wave barrier
	s_and_saveexec_b64 s[4:5], s[2:3]
	s_cbranch_execz .LBB30_226
; %bb.217:
	s_andn2_b64 vcc, exec, s[6:7]
	s_cbranch_vccnz .LBB30_219
; %bb.218:
	scratch_load_dwordx2 v[66:67], v13, off
	ds_read_b64 v[68:69], v1
	s_waitcnt vmcnt(0) lgkmcnt(0)
	v_mul_f64 v[66:67], v[66:67], v[68:69]
	s_cbranch_execz .LBB30_220
	s_branch .LBB30_221
.LBB30_219:
                                        ; implicit-def: $vgpr66_vgpr67
.LBB30_220:
	ds_read_b64 v[66:67], v1
.LBB30_221:
	s_and_saveexec_b64 s[8:9], s[0:1]
	s_cbranch_execz .LBB30_225
; %bb.222:
	v_add_u32_e32 v68, -8, v0
	s_movk_i32 s14, 0x140
	s_mov_b64 s[0:1], 0
.LBB30_223:                             ; =>This Inner Loop Header: Depth=1
	scratch_load_dwordx2 v[70:71], off, s13
	v_mov_b32_e32 v69, s14
	ds_read_b64 v[72:73], v69
	v_add_u32_e32 v68, -1, v68
	s_add_i32 s14, s14, 8
	s_add_i32 s13, s13, 8
	v_cmp_eq_u32_e32 vcc, 0, v68
	s_or_b64 s[0:1], vcc, s[0:1]
	s_waitcnt vmcnt(0) lgkmcnt(0)
	v_fmac_f64_e32 v[66:67], v[70:71], v[72:73]
	s_andn2_b64 exec, exec, s[0:1]
	s_cbranch_execnz .LBB30_223
; %bb.224:
	s_or_b64 exec, exec, s[0:1]
.LBB30_225:
	s_or_b64 exec, exec, s[8:9]
	v_mov_b32_e32 v68, 0
	ds_read_b64 v[68:69], v68 offset:56
	s_waitcnt lgkmcnt(0)
	v_mul_f64 v[66:67], v[66:67], v[68:69]
	scratch_store_dwordx2 off, v[66:67], off offset:56
.LBB30_226:
	s_or_b64 exec, exec, s[4:5]
	scratch_load_dwordx2 v[66:67], off, off offset:48
	v_cmp_lt_u32_e64 s[0:1], 6, v0
	s_waitcnt vmcnt(0)
	ds_write_b64 v1, v[66:67]
	s_waitcnt lgkmcnt(0)
	; wave barrier
	s_and_saveexec_b64 s[4:5], s[0:1]
	s_cbranch_execz .LBB30_236
; %bb.227:
	s_andn2_b64 vcc, exec, s[6:7]
	s_cbranch_vccnz .LBB30_229
; %bb.228:
	scratch_load_dwordx2 v[66:67], v13, off
	ds_read_b64 v[68:69], v1
	s_waitcnt vmcnt(0) lgkmcnt(0)
	v_mul_f64 v[66:67], v[66:67], v[68:69]
	s_cbranch_execz .LBB30_230
	s_branch .LBB30_231
.LBB30_229:
                                        ; implicit-def: $vgpr66_vgpr67
.LBB30_230:
	ds_read_b64 v[66:67], v1
.LBB30_231:
	s_and_saveexec_b64 s[8:9], s[2:3]
	s_cbranch_execz .LBB30_235
; %bb.232:
	s_mov_b32 s13, 56
	v_add_u32_e32 v68, -7, v0
	s_movk_i32 s14, 0x138
	s_mov_b64 s[2:3], 0
.LBB30_233:                             ; =>This Inner Loop Header: Depth=1
	scratch_load_dwordx2 v[70:71], off, s13
	v_mov_b32_e32 v69, s14
	ds_read_b64 v[72:73], v69
	v_add_u32_e32 v68, -1, v68
	s_add_i32 s14, s14, 8
	s_add_i32 s13, s13, 8
	v_cmp_eq_u32_e32 vcc, 0, v68
	s_or_b64 s[2:3], vcc, s[2:3]
	s_waitcnt vmcnt(0) lgkmcnt(0)
	v_fmac_f64_e32 v[66:67], v[70:71], v[72:73]
	s_andn2_b64 exec, exec, s[2:3]
	s_cbranch_execnz .LBB30_233
; %bb.234:
	s_or_b64 exec, exec, s[2:3]
.LBB30_235:
	s_or_b64 exec, exec, s[8:9]
	v_mov_b32_e32 v68, 0
	ds_read_b64 v[68:69], v68 offset:48
	s_waitcnt lgkmcnt(0)
	v_mul_f64 v[66:67], v[66:67], v[68:69]
	scratch_store_dwordx2 off, v[66:67], off offset:48
.LBB30_236:
	s_or_b64 exec, exec, s[4:5]
	scratch_load_dwordx2 v[66:67], off, off offset:40
	v_cmp_lt_u32_e64 s[2:3], 5, v0
	s_waitcnt vmcnt(0)
	ds_write_b64 v1, v[66:67]
	s_waitcnt lgkmcnt(0)
	; wave barrier
	s_and_saveexec_b64 s[4:5], s[2:3]
	s_cbranch_execz .LBB30_246
; %bb.237:
	s_andn2_b64 vcc, exec, s[6:7]
	s_cbranch_vccnz .LBB30_239
; %bb.238:
	scratch_load_dwordx2 v[66:67], v13, off
	ds_read_b64 v[68:69], v1
	s_waitcnt vmcnt(0) lgkmcnt(0)
	v_mul_f64 v[66:67], v[66:67], v[68:69]
	s_cbranch_execz .LBB30_240
	s_branch .LBB30_241
.LBB30_239:
                                        ; implicit-def: $vgpr66_vgpr67
.LBB30_240:
	ds_read_b64 v[66:67], v1
.LBB30_241:
	s_and_saveexec_b64 s[8:9], s[0:1]
	s_cbranch_execz .LBB30_245
; %bb.242:
	v_add_u32_e32 v68, -6, v0
	s_movk_i32 s13, 0x130
	s_mov_b64 s[0:1], 0
.LBB30_243:                             ; =>This Inner Loop Header: Depth=1
	scratch_load_dwordx2 v[70:71], off, s12
	v_mov_b32_e32 v69, s13
	ds_read_b64 v[72:73], v69
	v_add_u32_e32 v68, -1, v68
	s_add_i32 s13, s13, 8
	s_add_i32 s12, s12, 8
	v_cmp_eq_u32_e32 vcc, 0, v68
	s_or_b64 s[0:1], vcc, s[0:1]
	s_waitcnt vmcnt(0) lgkmcnt(0)
	v_fmac_f64_e32 v[66:67], v[70:71], v[72:73]
	s_andn2_b64 exec, exec, s[0:1]
	s_cbranch_execnz .LBB30_243
; %bb.244:
	s_or_b64 exec, exec, s[0:1]
.LBB30_245:
	s_or_b64 exec, exec, s[8:9]
	v_mov_b32_e32 v68, 0
	ds_read_b64 v[68:69], v68 offset:40
	s_waitcnt lgkmcnt(0)
	v_mul_f64 v[66:67], v[66:67], v[68:69]
	scratch_store_dwordx2 off, v[66:67], off offset:40
.LBB30_246:
	s_or_b64 exec, exec, s[4:5]
	scratch_load_dwordx2 v[66:67], off, off offset:32
	v_cmp_lt_u32_e64 s[0:1], 4, v0
	s_waitcnt vmcnt(0)
	ds_write_b64 v1, v[66:67]
	s_waitcnt lgkmcnt(0)
	; wave barrier
	s_and_saveexec_b64 s[4:5], s[0:1]
	s_cbranch_execz .LBB30_256
; %bb.247:
	s_andn2_b64 vcc, exec, s[6:7]
	s_cbranch_vccnz .LBB30_249
; %bb.248:
	scratch_load_dwordx2 v[66:67], v13, off
	ds_read_b64 v[68:69], v1
	s_waitcnt vmcnt(0) lgkmcnt(0)
	v_mul_f64 v[66:67], v[66:67], v[68:69]
	s_cbranch_execz .LBB30_250
	s_branch .LBB30_251
.LBB30_249:
                                        ; implicit-def: $vgpr66_vgpr67
.LBB30_250:
	ds_read_b64 v[66:67], v1
.LBB30_251:
	s_and_saveexec_b64 s[8:9], s[2:3]
	s_cbranch_execz .LBB30_255
; %bb.252:
	s_mov_b32 s12, 40
	v_add_u32_e32 v68, -5, v0
	s_movk_i32 s13, 0x128
	s_mov_b64 s[2:3], 0
.LBB30_253:                             ; =>This Inner Loop Header: Depth=1
	scratch_load_dwordx2 v[70:71], off, s12
	v_mov_b32_e32 v69, s13
	ds_read_b64 v[72:73], v69
	v_add_u32_e32 v68, -1, v68
	s_add_i32 s13, s13, 8
	s_add_i32 s12, s12, 8
	v_cmp_eq_u32_e32 vcc, 0, v68
	s_or_b64 s[2:3], vcc, s[2:3]
	s_waitcnt vmcnt(0) lgkmcnt(0)
	v_fmac_f64_e32 v[66:67], v[70:71], v[72:73]
	s_andn2_b64 exec, exec, s[2:3]
	s_cbranch_execnz .LBB30_253
; %bb.254:
	s_or_b64 exec, exec, s[2:3]
.LBB30_255:
	s_or_b64 exec, exec, s[8:9]
	v_mov_b32_e32 v68, 0
	ds_read_b64 v[68:69], v68 offset:32
	s_waitcnt lgkmcnt(0)
	v_mul_f64 v[66:67], v[66:67], v[68:69]
	scratch_store_dwordx2 off, v[66:67], off offset:32
.LBB30_256:
	s_or_b64 exec, exec, s[4:5]
	scratch_load_dwordx2 v[66:67], off, off offset:24
	v_cmp_lt_u32_e64 s[2:3], 3, v0
	s_waitcnt vmcnt(0)
	ds_write_b64 v1, v[66:67]
	s_waitcnt lgkmcnt(0)
	; wave barrier
	s_and_saveexec_b64 s[4:5], s[2:3]
	s_cbranch_execz .LBB30_266
; %bb.257:
	s_andn2_b64 vcc, exec, s[6:7]
	s_cbranch_vccnz .LBB30_259
; %bb.258:
	scratch_load_dwordx2 v[66:67], v13, off
	ds_read_b64 v[68:69], v1
	s_waitcnt vmcnt(0) lgkmcnt(0)
	v_mul_f64 v[66:67], v[66:67], v[68:69]
	s_cbranch_execz .LBB30_260
	s_branch .LBB30_261
.LBB30_259:
                                        ; implicit-def: $vgpr66_vgpr67
.LBB30_260:
	ds_read_b64 v[66:67], v1
.LBB30_261:
	s_and_saveexec_b64 s[8:9], s[0:1]
	s_cbranch_execz .LBB30_265
; %bb.262:
	v_add_u32_e32 v68, -4, v0
	s_movk_i32 s12, 0x120
	s_mov_b64 s[0:1], 0
.LBB30_263:                             ; =>This Inner Loop Header: Depth=1
	scratch_load_dwordx2 v[70:71], off, s11
	v_mov_b32_e32 v69, s12
	ds_read_b64 v[72:73], v69
	v_add_u32_e32 v68, -1, v68
	s_add_i32 s12, s12, 8
	s_add_i32 s11, s11, 8
	v_cmp_eq_u32_e32 vcc, 0, v68
	s_or_b64 s[0:1], vcc, s[0:1]
	s_waitcnt vmcnt(0) lgkmcnt(0)
	v_fmac_f64_e32 v[66:67], v[70:71], v[72:73]
	s_andn2_b64 exec, exec, s[0:1]
	s_cbranch_execnz .LBB30_263
; %bb.264:
	s_or_b64 exec, exec, s[0:1]
.LBB30_265:
	s_or_b64 exec, exec, s[8:9]
	v_mov_b32_e32 v68, 0
	ds_read_b64 v[68:69], v68 offset:24
	s_waitcnt lgkmcnt(0)
	v_mul_f64 v[66:67], v[66:67], v[68:69]
	scratch_store_dwordx2 off, v[66:67], off offset:24
.LBB30_266:
	s_or_b64 exec, exec, s[4:5]
	scratch_load_dwordx2 v[66:67], off, off offset:16
	v_cmp_lt_u32_e64 s[0:1], 2, v0
	s_waitcnt vmcnt(0)
	ds_write_b64 v1, v[66:67]
	s_waitcnt lgkmcnt(0)
	; wave barrier
	s_and_saveexec_b64 s[4:5], s[0:1]
	s_cbranch_execz .LBB30_276
; %bb.267:
	s_andn2_b64 vcc, exec, s[6:7]
	s_cbranch_vccnz .LBB30_269
; %bb.268:
	scratch_load_dwordx2 v[66:67], v13, off
	ds_read_b64 v[68:69], v1
	s_waitcnt vmcnt(0) lgkmcnt(0)
	v_mul_f64 v[66:67], v[66:67], v[68:69]
	s_cbranch_execz .LBB30_270
	s_branch .LBB30_271
.LBB30_269:
                                        ; implicit-def: $vgpr66_vgpr67
.LBB30_270:
	ds_read_b64 v[66:67], v1
.LBB30_271:
	s_and_saveexec_b64 s[8:9], s[2:3]
	s_cbranch_execz .LBB30_275
; %bb.272:
	s_mov_b32 s11, 24
	v_add_u32_e32 v68, -3, v0
	s_movk_i32 s12, 0x118
	s_mov_b64 s[2:3], 0
.LBB30_273:                             ; =>This Inner Loop Header: Depth=1
	scratch_load_dwordx2 v[70:71], off, s11
	v_mov_b32_e32 v69, s12
	ds_read_b64 v[72:73], v69
	v_add_u32_e32 v68, -1, v68
	s_add_i32 s12, s12, 8
	s_add_i32 s11, s11, 8
	v_cmp_eq_u32_e32 vcc, 0, v68
	s_or_b64 s[2:3], vcc, s[2:3]
	s_waitcnt vmcnt(0) lgkmcnt(0)
	v_fmac_f64_e32 v[66:67], v[70:71], v[72:73]
	s_andn2_b64 exec, exec, s[2:3]
	s_cbranch_execnz .LBB30_273
; %bb.274:
	s_or_b64 exec, exec, s[2:3]
.LBB30_275:
	s_or_b64 exec, exec, s[8:9]
	v_mov_b32_e32 v68, 0
	ds_read_b64 v[68:69], v68 offset:16
	s_waitcnt lgkmcnt(0)
	v_mul_f64 v[66:67], v[66:67], v[68:69]
	scratch_store_dwordx2 off, v[66:67], off offset:16
.LBB30_276:
	s_or_b64 exec, exec, s[4:5]
	scratch_load_dwordx2 v[66:67], off, off offset:8
	v_cmp_lt_u32_e64 s[2:3], 1, v0
	s_waitcnt vmcnt(0)
	ds_write_b64 v1, v[66:67]
	s_waitcnt lgkmcnt(0)
	; wave barrier
	s_and_saveexec_b64 s[4:5], s[2:3]
	s_cbranch_execz .LBB30_286
; %bb.277:
	s_andn2_b64 vcc, exec, s[6:7]
	s_cbranch_vccnz .LBB30_279
; %bb.278:
	scratch_load_dwordx2 v[66:67], v13, off
	ds_read_b64 v[68:69], v1
	s_waitcnt vmcnt(0) lgkmcnt(0)
	v_mul_f64 v[66:67], v[66:67], v[68:69]
	s_cbranch_execz .LBB30_280
	s_branch .LBB30_281
.LBB30_279:
                                        ; implicit-def: $vgpr66_vgpr67
.LBB30_280:
	ds_read_b64 v[66:67], v1
.LBB30_281:
	s_and_saveexec_b64 s[8:9], s[0:1]
	s_cbranch_execz .LBB30_285
; %bb.282:
	v_add_u32_e32 v68, -2, v0
	s_movk_i32 s11, 0x110
	s_mov_b64 s[0:1], 0
.LBB30_283:                             ; =>This Inner Loop Header: Depth=1
	scratch_load_dwordx2 v[70:71], off, s10
	v_mov_b32_e32 v69, s11
	ds_read_b64 v[72:73], v69
	v_add_u32_e32 v68, -1, v68
	s_add_i32 s11, s11, 8
	s_add_i32 s10, s10, 8
	v_cmp_eq_u32_e32 vcc, 0, v68
	s_or_b64 s[0:1], vcc, s[0:1]
	s_waitcnt vmcnt(0) lgkmcnt(0)
	v_fmac_f64_e32 v[66:67], v[70:71], v[72:73]
	s_andn2_b64 exec, exec, s[0:1]
	s_cbranch_execnz .LBB30_283
; %bb.284:
	s_or_b64 exec, exec, s[0:1]
.LBB30_285:
	s_or_b64 exec, exec, s[8:9]
	v_mov_b32_e32 v68, 0
	ds_read_b64 v[68:69], v68 offset:8
	s_waitcnt lgkmcnt(0)
	v_mul_f64 v[66:67], v[66:67], v[68:69]
	scratch_store_dwordx2 off, v[66:67], off offset:8
.LBB30_286:
	s_or_b64 exec, exec, s[4:5]
	scratch_load_dwordx2 v[66:67], off, off
	v_cmp_ne_u32_e32 vcc, 0, v0
	s_waitcnt vmcnt(0)
	ds_write_b64 v1, v[66:67]
	s_waitcnt lgkmcnt(0)
	; wave barrier
	s_and_saveexec_b64 s[0:1], vcc
	s_cbranch_execz .LBB30_296
; %bb.287:
	s_andn2_b64 vcc, exec, s[6:7]
	s_cbranch_vccnz .LBB30_289
; %bb.288:
	scratch_load_dwordx2 v[66:67], v13, off
	ds_read_b64 v[68:69], v1
	s_waitcnt vmcnt(0) lgkmcnt(0)
	v_mul_f64 v[66:67], v[66:67], v[68:69]
	s_cbranch_execz .LBB30_290
	s_branch .LBB30_291
.LBB30_289:
                                        ; implicit-def: $vgpr66_vgpr67
.LBB30_290:
	ds_read_b64 v[66:67], v1
.LBB30_291:
	s_and_saveexec_b64 s[4:5], s[2:3]
	s_cbranch_execz .LBB30_295
; %bb.292:
	s_or_b32 s8, 0, 8
	v_add_u32_e32 v68, -1, v0
	s_movk_i32 s9, 0x108
	s_mov_b64 s[2:3], 0
.LBB30_293:                             ; =>This Inner Loop Header: Depth=1
	scratch_load_dwordx2 v[70:71], off, s8
	v_mov_b32_e32 v69, s9
	ds_read_b64 v[72:73], v69
	v_add_u32_e32 v68, -1, v68
	s_add_i32 s9, s9, 8
	s_add_i32 s8, s8, 8
	v_cmp_eq_u32_e32 vcc, 0, v68
	s_or_b64 s[2:3], vcc, s[2:3]
	s_waitcnt vmcnt(0) lgkmcnt(0)
	v_fmac_f64_e32 v[66:67], v[70:71], v[72:73]
	s_andn2_b64 exec, exec, s[2:3]
	s_cbranch_execnz .LBB30_293
; %bb.294:
	s_or_b64 exec, exec, s[2:3]
.LBB30_295:
	s_or_b64 exec, exec, s[4:5]
	v_mov_b32_e32 v68, 0
	ds_read_b64 v[68:69], v68
	s_waitcnt lgkmcnt(0)
	v_mul_f64 v[66:67], v[66:67], v[68:69]
	scratch_store_dwordx2 off, v[66:67], off
.LBB30_296:
	s_or_b64 exec, exec, s[0:1]
	s_mov_b64 s[0:1], 0
.LBB30_297:
	s_and_b64 vcc, exec, s[0:1]
	s_cbranch_vccz .LBB30_589
; %bb.298:
	scratch_load_dwordx2 v[66:67], off, off offset:8
	v_cmp_eq_u32_e64 s[2:3], 0, v0
	s_waitcnt vmcnt(0)
	ds_write_b64 v1, v[66:67]
	s_waitcnt lgkmcnt(0)
	; wave barrier
	s_and_saveexec_b64 s[0:1], s[2:3]
	s_cbranch_execz .LBB30_304
; %bb.299:
	s_and_b64 vcc, exec, s[6:7]
	s_cbranch_vccz .LBB30_301
; %bb.300:
	scratch_load_dwordx2 v[66:67], v13, off
	ds_read_b64 v[68:69], v1
	s_waitcnt vmcnt(0) lgkmcnt(0)
	v_mul_f64 v[66:67], v[66:67], v[68:69]
	s_cbranch_execz .LBB30_302
	s_branch .LBB30_303
.LBB30_301:
                                        ; implicit-def: $vgpr66_vgpr67
.LBB30_302:
	ds_read_b64 v[66:67], v1
.LBB30_303:
	v_mov_b32_e32 v68, 0
	ds_read_b64 v[68:69], v68 offset:8
	s_waitcnt lgkmcnt(0)
	v_mul_f64 v[66:67], v[66:67], v[68:69]
	scratch_store_dwordx2 off, v[66:67], off offset:8
.LBB30_304:
	s_or_b64 exec, exec, s[0:1]
	scratch_load_dwordx2 v[66:67], off, off offset:16
	v_cndmask_b32_e64 v68, 0, 1, s[6:7]
	v_cmp_gt_u32_e32 vcc, 2, v0
	v_cmp_ne_u32_e64 s[0:1], 1, v68
	s_waitcnt vmcnt(0)
	ds_write_b64 v1, v[66:67]
	s_waitcnt lgkmcnt(0)
	; wave barrier
	s_and_saveexec_b64 s[4:5], vcc
	s_cbranch_execz .LBB30_310
; %bb.305:
	s_and_b64 vcc, exec, s[0:1]
	s_cbranch_vccnz .LBB30_307
; %bb.306:
	scratch_load_dwordx2 v[66:67], v13, off
	ds_read_b64 v[68:69], v1
	s_waitcnt vmcnt(0) lgkmcnt(0)
	v_mul_f64 v[66:67], v[66:67], v[68:69]
	s_cbranch_execz .LBB30_308
	s_branch .LBB30_309
.LBB30_307:
                                        ; implicit-def: $vgpr66_vgpr67
.LBB30_308:
	ds_read_b64 v[66:67], v1
.LBB30_309:
	scratch_load_dwordx2 v[72:73], off, off offset:8
	v_mov_b32_e32 v68, 0
	ds_read2_b64 v[68:71], v68 offset0:2 offset1:33
	s_waitcnt vmcnt(0) lgkmcnt(0)
	v_fma_f64 v[70:71], v[72:73], v[70:71], v[66:67]
	v_cndmask_b32_e64 v67, v67, v71, s[2:3]
	v_cndmask_b32_e64 v66, v66, v70, s[2:3]
	v_mul_f64 v[66:67], v[66:67], v[68:69]
	scratch_store_dwordx2 off, v[66:67], off offset:16
.LBB30_310:
	s_or_b64 exec, exec, s[4:5]
	scratch_load_dwordx2 v[66:67], off, off offset:24
	v_cmp_gt_u32_e32 vcc, 3, v0
	s_waitcnt vmcnt(0)
	ds_write_b64 v1, v[66:67]
	s_waitcnt lgkmcnt(0)
	; wave barrier
	s_and_saveexec_b64 s[4:5], vcc
	s_cbranch_execz .LBB30_318
; %bb.311:
	s_and_b64 vcc, exec, s[0:1]
	s_cbranch_vccnz .LBB30_313
; %bb.312:
	scratch_load_dwordx2 v[66:67], v13, off
	ds_read_b64 v[68:69], v1
	s_waitcnt vmcnt(0) lgkmcnt(0)
	v_mul_f64 v[66:67], v[66:67], v[68:69]
	s_cbranch_execz .LBB30_314
	s_branch .LBB30_315
.LBB30_313:
                                        ; implicit-def: $vgpr66_vgpr67
.LBB30_314:
	ds_read_b64 v[66:67], v1
.LBB30_315:
	v_cmp_ne_u32_e32 vcc, 2, v0
	s_and_saveexec_b64 s[6:7], vcc
	s_cbranch_execz .LBB30_317
; %bb.316:
	scratch_load_dwordx2 v[68:69], v13, off offset:8
	scratch_load_dwordx2 v[70:71], off, off offset:16
	ds_read_b64 v[72:73], v1 offset:8
	v_mov_b32_e32 v74, 0
	ds_read_b64 v[74:75], v74 offset:272
	s_waitcnt vmcnt(1) lgkmcnt(1)
	v_fmac_f64_e32 v[66:67], v[68:69], v[72:73]
	s_waitcnt vmcnt(0) lgkmcnt(0)
	v_fma_f64 v[68:69], v[70:71], v[74:75], v[66:67]
	v_cndmask_b32_e64 v67, v67, v69, s[2:3]
	v_cndmask_b32_e64 v66, v66, v68, s[2:3]
.LBB30_317:
	s_or_b64 exec, exec, s[6:7]
	v_mov_b32_e32 v68, 0
	ds_read_b64 v[68:69], v68 offset:24
	s_waitcnt lgkmcnt(0)
	v_mul_f64 v[66:67], v[66:67], v[68:69]
	scratch_store_dwordx2 off, v[66:67], off offset:24
.LBB30_318:
	s_or_b64 exec, exec, s[4:5]
	scratch_load_dwordx2 v[66:67], off, off offset:32
	v_cmp_gt_u32_e32 vcc, 4, v0
	s_waitcnt vmcnt(0)
	ds_write_b64 v1, v[66:67]
	s_waitcnt lgkmcnt(0)
	; wave barrier
	s_and_saveexec_b64 s[2:3], vcc
	s_cbranch_execz .LBB30_328
; %bb.319:
	s_and_b64 vcc, exec, s[0:1]
	s_cbranch_vccnz .LBB30_321
; %bb.320:
	scratch_load_dwordx2 v[66:67], v13, off
	ds_read_b64 v[68:69], v1
	s_waitcnt vmcnt(0) lgkmcnt(0)
	v_mul_f64 v[66:67], v[66:67], v[68:69]
	s_cbranch_execz .LBB30_322
	s_branch .LBB30_323
.LBB30_321:
                                        ; implicit-def: $vgpr66_vgpr67
.LBB30_322:
	ds_read_b64 v[66:67], v1
.LBB30_323:
	v_cmp_ne_u32_e32 vcc, 3, v0
	s_and_saveexec_b64 s[4:5], vcc
	s_cbranch_execz .LBB30_327
; %bb.324:
	s_mov_b32 s6, 0
	v_add_u32_e32 v68, 0x108, v12
	v_add3_u32 v69, v12, s6, 8
	s_mov_b64 s[6:7], 0
	v_mov_b32_e32 v70, v0
.LBB30_325:                             ; =>This Inner Loop Header: Depth=1
	scratch_load_dwordx2 v[72:73], v69, off
	ds_read_b64 v[74:75], v68
	v_add_u32_e32 v70, 1, v70
	v_cmp_lt_u32_e32 vcc, 2, v70
	v_add_u32_e32 v68, 8, v68
	v_add_u32_e32 v69, 8, v69
	s_or_b64 s[6:7], vcc, s[6:7]
	s_waitcnt vmcnt(0) lgkmcnt(0)
	v_fmac_f64_e32 v[66:67], v[72:73], v[74:75]
	s_andn2_b64 exec, exec, s[6:7]
	s_cbranch_execnz .LBB30_325
; %bb.326:
	s_or_b64 exec, exec, s[6:7]
.LBB30_327:
	s_or_b64 exec, exec, s[4:5]
	v_mov_b32_e32 v68, 0
	ds_read_b64 v[68:69], v68 offset:32
	s_waitcnt lgkmcnt(0)
	v_mul_f64 v[66:67], v[66:67], v[68:69]
	scratch_store_dwordx2 off, v[66:67], off offset:32
.LBB30_328:
	s_or_b64 exec, exec, s[2:3]
	scratch_load_dwordx2 v[66:67], off, off offset:40
	v_cmp_gt_u32_e32 vcc, 5, v0
	s_waitcnt vmcnt(0)
	ds_write_b64 v1, v[66:67]
	s_waitcnt lgkmcnt(0)
	; wave barrier
	s_and_saveexec_b64 s[2:3], vcc
	s_cbranch_execz .LBB30_338
; %bb.329:
	s_and_b64 vcc, exec, s[0:1]
	s_cbranch_vccnz .LBB30_331
; %bb.330:
	scratch_load_dwordx2 v[66:67], v13, off
	ds_read_b64 v[68:69], v1
	s_waitcnt vmcnt(0) lgkmcnt(0)
	v_mul_f64 v[66:67], v[66:67], v[68:69]
	s_cbranch_execz .LBB30_332
	s_branch .LBB30_333
.LBB30_331:
                                        ; implicit-def: $vgpr66_vgpr67
.LBB30_332:
	ds_read_b64 v[66:67], v1
.LBB30_333:
	v_cmp_ne_u32_e32 vcc, 4, v0
	s_and_saveexec_b64 s[4:5], vcc
	s_cbranch_execz .LBB30_337
; %bb.334:
	s_mov_b32 s6, 0
	v_add_u32_e32 v68, 0x108, v12
	v_add3_u32 v69, v12, s6, 8
	s_mov_b64 s[6:7], 0
	v_mov_b32_e32 v70, v0
.LBB30_335:                             ; =>This Inner Loop Header: Depth=1
	scratch_load_dwordx2 v[72:73], v69, off
	ds_read_b64 v[74:75], v68
	v_add_u32_e32 v70, 1, v70
	v_cmp_lt_u32_e32 vcc, 3, v70
	v_add_u32_e32 v68, 8, v68
	v_add_u32_e32 v69, 8, v69
	s_or_b64 s[6:7], vcc, s[6:7]
	s_waitcnt vmcnt(0) lgkmcnt(0)
	v_fmac_f64_e32 v[66:67], v[72:73], v[74:75]
	s_andn2_b64 exec, exec, s[6:7]
	s_cbranch_execnz .LBB30_335
; %bb.336:
	s_or_b64 exec, exec, s[6:7]
.LBB30_337:
	s_or_b64 exec, exec, s[4:5]
	v_mov_b32_e32 v68, 0
	ds_read_b64 v[68:69], v68 offset:40
	s_waitcnt lgkmcnt(0)
	v_mul_f64 v[66:67], v[66:67], v[68:69]
	scratch_store_dwordx2 off, v[66:67], off offset:40
.LBB30_338:
	;; [unrolled: 55-line block ×25, first 2 shown]
	s_or_b64 exec, exec, s[2:3]
	scratch_load_dwordx2 v[66:67], off, off offset:232
	v_cmp_gt_u32_e64 s[2:3], 29, v0
	s_waitcnt vmcnt(0)
	ds_write_b64 v1, v[66:67]
	s_waitcnt lgkmcnt(0)
	; wave barrier
	s_and_saveexec_b64 s[4:5], s[2:3]
	s_cbranch_execz .LBB30_578
; %bb.569:
	s_and_b64 vcc, exec, s[0:1]
	s_cbranch_vccnz .LBB30_571
; %bb.570:
	scratch_load_dwordx2 v[66:67], v13, off
	ds_read_b64 v[68:69], v1
	s_waitcnt vmcnt(0) lgkmcnt(0)
	v_mul_f64 v[66:67], v[66:67], v[68:69]
	s_cbranch_execz .LBB30_572
	s_branch .LBB30_573
.LBB30_571:
                                        ; implicit-def: $vgpr66_vgpr67
.LBB30_572:
	ds_read_b64 v[66:67], v1
.LBB30_573:
	v_cmp_ne_u32_e32 vcc, 28, v0
	s_and_saveexec_b64 s[6:7], vcc
	s_cbranch_execz .LBB30_577
; %bb.574:
	s_mov_b32 s8, 0
	v_add_u32_e32 v68, 0x108, v12
	v_add3_u32 v69, v12, s8, 8
	s_mov_b64 s[8:9], 0
	v_mov_b32_e32 v70, v0
.LBB30_575:                             ; =>This Inner Loop Header: Depth=1
	scratch_load_dwordx2 v[72:73], v69, off
	ds_read_b64 v[74:75], v68
	v_add_u32_e32 v70, 1, v70
	v_cmp_lt_u32_e32 vcc, 27, v70
	v_add_u32_e32 v68, 8, v68
	v_add_u32_e32 v69, 8, v69
	s_or_b64 s[8:9], vcc, s[8:9]
	s_waitcnt vmcnt(0) lgkmcnt(0)
	v_fmac_f64_e32 v[66:67], v[72:73], v[74:75]
	s_andn2_b64 exec, exec, s[8:9]
	s_cbranch_execnz .LBB30_575
; %bb.576:
	s_or_b64 exec, exec, s[8:9]
.LBB30_577:
	s_or_b64 exec, exec, s[6:7]
	v_mov_b32_e32 v68, 0
	ds_read_b64 v[68:69], v68 offset:232
	s_waitcnt lgkmcnt(0)
	v_mul_f64 v[66:67], v[66:67], v[68:69]
	scratch_store_dwordx2 off, v[66:67], off offset:232
.LBB30_578:
	s_or_b64 exec, exec, s[4:5]
	scratch_load_dwordx2 v[66:67], off, off offset:240
	v_cmp_ne_u32_e32 vcc, 30, v0
	s_waitcnt vmcnt(0)
	ds_write_b64 v1, v[66:67]
	s_waitcnt lgkmcnt(0)
	; wave barrier
	s_and_saveexec_b64 s[4:5], vcc
	s_cbranch_execz .LBB30_588
; %bb.579:
	s_and_b64 vcc, exec, s[0:1]
	s_cbranch_vccnz .LBB30_581
; %bb.580:
	scratch_load_dwordx2 v[66:67], v13, off
	ds_read_b64 v[68:69], v1
	s_waitcnt vmcnt(0) lgkmcnt(0)
	v_mul_f64 v[66:67], v[66:67], v[68:69]
	s_cbranch_execz .LBB30_582
	s_branch .LBB30_583
.LBB30_581:
                                        ; implicit-def: $vgpr66_vgpr67
.LBB30_582:
	ds_read_b64 v[66:67], v1
.LBB30_583:
	s_and_saveexec_b64 s[0:1], s[2:3]
	s_cbranch_execz .LBB30_587
; %bb.584:
	s_mov_b32 s2, 0
	v_add_u32_e32 v1, 0x108, v12
	v_add3_u32 v12, v12, s2, 8
	s_mov_b64 s[2:3], 0
.LBB30_585:                             ; =>This Inner Loop Header: Depth=1
	scratch_load_dwordx2 v[68:69], v12, off
	ds_read_b64 v[70:71], v1
	v_add_u32_e32 v0, 1, v0
	v_cmp_lt_u32_e32 vcc, 28, v0
	v_add_u32_e32 v1, 8, v1
	v_add_u32_e32 v12, 8, v12
	s_or_b64 s[2:3], vcc, s[2:3]
	s_waitcnt vmcnt(0) lgkmcnt(0)
	v_fmac_f64_e32 v[66:67], v[68:69], v[70:71]
	s_andn2_b64 exec, exec, s[2:3]
	s_cbranch_execnz .LBB30_585
; %bb.586:
	s_or_b64 exec, exec, s[2:3]
.LBB30_587:
	s_or_b64 exec, exec, s[0:1]
	v_mov_b32_e32 v0, 0
	ds_read_b64 v[0:1], v0 offset:240
	s_waitcnt lgkmcnt(0)
	v_mul_f64 v[0:1], v[66:67], v[0:1]
	scratch_store_dwordx2 off, v[0:1], off offset:240
.LBB30_588:
	s_or_b64 exec, exec, s[4:5]
.LBB30_589:
	scratch_load_dwordx4 v[66:69], off, off
	s_waitcnt vmcnt(0)
	global_store_dwordx2 v[2:3], v[66:67], off
	global_store_dwordx2 v[4:5], v[68:69], off
	scratch_load_dwordx4 v[0:3], off, off offset:16
	s_waitcnt vmcnt(0)
	global_store_dwordx2 v[6:7], v[0:1], off
	global_store_dwordx2 v[8:9], v[2:3], off
	scratch_load_dwordx4 v[0:3], off, off offset:32
	;; [unrolled: 4-line block ×14, first 2 shown]
	s_waitcnt vmcnt(0)
	global_store_dwordx2 v[62:63], v[0:1], off
	global_store_dwordx2 v[64:65], v[2:3], off
	scratch_load_dwordx2 v[0:1], off, off offset:240
	s_waitcnt vmcnt(0)
	global_store_dwordx2 v[60:61], v[0:1], off
.LBB30_590:
	s_endpgm
	.section	.rodata,"a",@progbits
	.p2align	6, 0x0
	.amdhsa_kernel _ZN9rocsolver6v33100L18trti2_kernel_smallILi31EdPdEEv13rocblas_fill_17rocblas_diagonal_T1_iil
		.amdhsa_group_segment_fixed_size 504
		.amdhsa_private_segment_fixed_size 256
		.amdhsa_kernarg_size 32
		.amdhsa_user_sgpr_count 2
		.amdhsa_user_sgpr_dispatch_ptr 0
		.amdhsa_user_sgpr_queue_ptr 0
		.amdhsa_user_sgpr_kernarg_segment_ptr 1
		.amdhsa_user_sgpr_dispatch_id 0
		.amdhsa_user_sgpr_kernarg_preload_length 0
		.amdhsa_user_sgpr_kernarg_preload_offset 0
		.amdhsa_user_sgpr_private_segment_size 0
		.amdhsa_uses_dynamic_stack 0
		.amdhsa_enable_private_segment 1
		.amdhsa_system_sgpr_workgroup_id_x 1
		.amdhsa_system_sgpr_workgroup_id_y 0
		.amdhsa_system_sgpr_workgroup_id_z 0
		.amdhsa_system_sgpr_workgroup_info 0
		.amdhsa_system_vgpr_workitem_id 0
		.amdhsa_next_free_vgpr 76
		.amdhsa_next_free_sgpr 25
		.amdhsa_accum_offset 76
		.amdhsa_reserve_vcc 1
		.amdhsa_float_round_mode_32 0
		.amdhsa_float_round_mode_16_64 0
		.amdhsa_float_denorm_mode_32 3
		.amdhsa_float_denorm_mode_16_64 3
		.amdhsa_dx10_clamp 1
		.amdhsa_ieee_mode 1
		.amdhsa_fp16_overflow 0
		.amdhsa_tg_split 0
		.amdhsa_exception_fp_ieee_invalid_op 0
		.amdhsa_exception_fp_denorm_src 0
		.amdhsa_exception_fp_ieee_div_zero 0
		.amdhsa_exception_fp_ieee_overflow 0
		.amdhsa_exception_fp_ieee_underflow 0
		.amdhsa_exception_fp_ieee_inexact 0
		.amdhsa_exception_int_div_zero 0
	.end_amdhsa_kernel
	.section	.text._ZN9rocsolver6v33100L18trti2_kernel_smallILi31EdPdEEv13rocblas_fill_17rocblas_diagonal_T1_iil,"axG",@progbits,_ZN9rocsolver6v33100L18trti2_kernel_smallILi31EdPdEEv13rocblas_fill_17rocblas_diagonal_T1_iil,comdat
.Lfunc_end30:
	.size	_ZN9rocsolver6v33100L18trti2_kernel_smallILi31EdPdEEv13rocblas_fill_17rocblas_diagonal_T1_iil, .Lfunc_end30-_ZN9rocsolver6v33100L18trti2_kernel_smallILi31EdPdEEv13rocblas_fill_17rocblas_diagonal_T1_iil
                                        ; -- End function
	.set _ZN9rocsolver6v33100L18trti2_kernel_smallILi31EdPdEEv13rocblas_fill_17rocblas_diagonal_T1_iil.num_vgpr, 76
	.set _ZN9rocsolver6v33100L18trti2_kernel_smallILi31EdPdEEv13rocblas_fill_17rocblas_diagonal_T1_iil.num_agpr, 0
	.set _ZN9rocsolver6v33100L18trti2_kernel_smallILi31EdPdEEv13rocblas_fill_17rocblas_diagonal_T1_iil.numbered_sgpr, 25
	.set _ZN9rocsolver6v33100L18trti2_kernel_smallILi31EdPdEEv13rocblas_fill_17rocblas_diagonal_T1_iil.num_named_barrier, 0
	.set _ZN9rocsolver6v33100L18trti2_kernel_smallILi31EdPdEEv13rocblas_fill_17rocblas_diagonal_T1_iil.private_seg_size, 256
	.set _ZN9rocsolver6v33100L18trti2_kernel_smallILi31EdPdEEv13rocblas_fill_17rocblas_diagonal_T1_iil.uses_vcc, 1
	.set _ZN9rocsolver6v33100L18trti2_kernel_smallILi31EdPdEEv13rocblas_fill_17rocblas_diagonal_T1_iil.uses_flat_scratch, 0
	.set _ZN9rocsolver6v33100L18trti2_kernel_smallILi31EdPdEEv13rocblas_fill_17rocblas_diagonal_T1_iil.has_dyn_sized_stack, 0
	.set _ZN9rocsolver6v33100L18trti2_kernel_smallILi31EdPdEEv13rocblas_fill_17rocblas_diagonal_T1_iil.has_recursion, 0
	.set _ZN9rocsolver6v33100L18trti2_kernel_smallILi31EdPdEEv13rocblas_fill_17rocblas_diagonal_T1_iil.has_indirect_call, 0
	.section	.AMDGPU.csdata,"",@progbits
; Kernel info:
; codeLenInByte = 14588
; TotalNumSgprs: 31
; NumVgprs: 76
; NumAgprs: 0
; TotalNumVgprs: 76
; ScratchSize: 256
; MemoryBound: 0
; FloatMode: 240
; IeeeMode: 1
; LDSByteSize: 504 bytes/workgroup (compile time only)
; SGPRBlocks: 3
; VGPRBlocks: 9
; NumSGPRsForWavesPerEU: 31
; NumVGPRsForWavesPerEU: 76
; AccumOffset: 76
; Occupancy: 6
; WaveLimiterHint : 0
; COMPUTE_PGM_RSRC2:SCRATCH_EN: 1
; COMPUTE_PGM_RSRC2:USER_SGPR: 2
; COMPUTE_PGM_RSRC2:TRAP_HANDLER: 0
; COMPUTE_PGM_RSRC2:TGID_X_EN: 1
; COMPUTE_PGM_RSRC2:TGID_Y_EN: 0
; COMPUTE_PGM_RSRC2:TGID_Z_EN: 0
; COMPUTE_PGM_RSRC2:TIDIG_COMP_CNT: 0
; COMPUTE_PGM_RSRC3_GFX90A:ACCUM_OFFSET: 18
; COMPUTE_PGM_RSRC3_GFX90A:TG_SPLIT: 0
	.section	.text._ZN9rocsolver6v33100L18trti2_kernel_smallILi32EdPdEEv13rocblas_fill_17rocblas_diagonal_T1_iil,"axG",@progbits,_ZN9rocsolver6v33100L18trti2_kernel_smallILi32EdPdEEv13rocblas_fill_17rocblas_diagonal_T1_iil,comdat
	.globl	_ZN9rocsolver6v33100L18trti2_kernel_smallILi32EdPdEEv13rocblas_fill_17rocblas_diagonal_T1_iil ; -- Begin function _ZN9rocsolver6v33100L18trti2_kernel_smallILi32EdPdEEv13rocblas_fill_17rocblas_diagonal_T1_iil
	.p2align	8
	.type	_ZN9rocsolver6v33100L18trti2_kernel_smallILi32EdPdEEv13rocblas_fill_17rocblas_diagonal_T1_iil,@function
_ZN9rocsolver6v33100L18trti2_kernel_smallILi32EdPdEEv13rocblas_fill_17rocblas_diagonal_T1_iil: ; @_ZN9rocsolver6v33100L18trti2_kernel_smallILi32EdPdEEv13rocblas_fill_17rocblas_diagonal_T1_iil
; %bb.0:
	v_cmp_gt_u32_e32 vcc, 32, v0
	s_and_saveexec_b64 s[4:5], vcc
	s_cbranch_execz .LBB31_610
; %bb.1:
	s_load_dwordx8 s[4:11], s[0:1], 0x0
	s_ashr_i32 s3, s2, 31
	v_lshlrev_b32_e32 v16, 3, v0
	v_mov_b32_e32 v17, 0
	s_waitcnt lgkmcnt(0)
	s_ashr_i32 s1, s8, 31
	s_mov_b32 s0, s8
	s_mul_hi_u32 s8, s10, s2
	s_mul_i32 s3, s10, s3
	s_add_i32 s3, s8, s3
	s_mul_i32 s8, s11, s2
	s_add_i32 s3, s3, s8
	s_mul_i32 s2, s10, s2
	s_lshl_b64 s[2:3], s[2:3], 3
	s_add_u32 s2, s6, s2
	s_addc_u32 s3, s7, s3
	s_lshl_b64 s[0:1], s[0:1], 3
	s_add_u32 s0, s2, s0
	s_addc_u32 s1, s3, s1
	v_lshl_add_u64 v[2:3], s[0:1], 0, v[16:17]
	s_ashr_i32 s3, s9, 31
	s_mov_b32 s2, s9
	v_lshl_add_u64 v[4:5], s[2:3], 3, v[2:3]
	global_load_dwordx2 v[6:7], v16, s[0:1]
	global_load_dwordx2 v[8:9], v[4:5], off
	s_add_i32 s2, s9, s9
	s_cmpk_lg_i32 s5, 0x84
	s_cselect_b64 s[6:7], -1, 0
	s_cmpk_eq_i32 s5, 0x84
	s_waitcnt vmcnt(0)
	scratch_store_dwordx4 off, v[6:9], off
	s_nop 1
	v_add_u32_e32 v8, s2, v0
	v_add_u32_e32 v10, s9, v8
	v_ashrrev_i32_e32 v9, 31, v8
	v_ashrrev_i32_e32 v11, 31, v10
	v_lshl_add_u64 v[6:7], v[8:9], 3, s[0:1]
	v_lshl_add_u64 v[8:9], v[10:11], 3, s[0:1]
	global_load_dwordx2 v[12:13], v[6:7], off
	global_load_dwordx2 v[14:15], v[8:9], off
	s_waitcnt vmcnt(0)
	scratch_store_dwordx4 off, v[12:15], off offset:16
	s_nop 1
	v_add_u32_e32 v12, s9, v10
	v_add_u32_e32 v14, s9, v12
	v_ashrrev_i32_e32 v13, 31, v12
	v_ashrrev_i32_e32 v15, 31, v14
	v_lshl_add_u64 v[10:11], v[12:13], 3, s[0:1]
	v_lshl_add_u64 v[12:13], v[14:15], 3, s[0:1]
	global_load_dwordx2 v[18:19], v[10:11], off
	global_load_dwordx2 v[20:21], v[12:13], off
	s_waitcnt vmcnt(0)
	scratch_store_dwordx4 off, v[18:21], off offset:32
	;; [unrolled: 11-line block ×11, first 2 shown]
	s_nop 1
	v_add_u32_e32 v54, s9, v52
	v_add_u32_e32 v56, s9, v54
	v_ashrrev_i32_e32 v55, 31, v54
	v_ashrrev_i32_e32 v57, 31, v56
	v_lshl_add_u64 v[52:53], v[54:55], 3, s[0:1]
	v_lshl_add_u64 v[54:55], v[56:57], 3, s[0:1]
	global_load_dwordx2 v[58:59], v[52:53], off
	global_load_dwordx2 v[60:61], v[54:55], off
	v_add_u32_e32 v56, s9, v56
	v_ashrrev_i32_e32 v57, 31, v56
	s_waitcnt vmcnt(0)
	scratch_store_dwordx4 off, v[58:61], off offset:192
	s_nop 1
	v_lshl_add_u64 v[58:59], v[56:57], 3, s[0:1]
	v_add_u32_e32 v56, s9, v56
	v_ashrrev_i32_e32 v57, 31, v56
	v_lshl_add_u64 v[62:63], v[56:57], 3, s[0:1]
	global_load_dwordx2 v[64:65], v[58:59], off
	global_load_dwordx2 v[66:67], v[62:63], off
	v_add_u32_e32 v56, s9, v56
	v_ashrrev_i32_e32 v57, 31, v56
	s_waitcnt vmcnt(0)
	scratch_store_dwordx4 off, v[64:67], off offset:208
	s_nop 1
	v_lshl_add_u64 v[64:65], v[56:57], 3, s[0:1]
	v_add_u32_e32 v56, s9, v56
	v_ashrrev_i32_e32 v57, 31, v56
	v_lshl_add_u64 v[66:67], v[56:57], 3, s[0:1]
	global_load_dwordx2 v[68:69], v[64:65], off
	global_load_dwordx2 v[70:71], v[66:67], off
	v_add_u32_e32 v60, s9, v56
	v_ashrrev_i32_e32 v61, 31, v60
	v_lshl_add_u64 v[56:57], v[60:61], 3, s[0:1]
	v_add_u32_e32 v60, s9, v60
	v_ashrrev_i32_e32 v61, 31, v60
	v_lshl_add_u64 v[60:61], v[60:61], 3, s[0:1]
	s_waitcnt vmcnt(0)
	scratch_store_dwordx4 off, v[68:71], off offset:224
	global_load_dwordx2 v[68:69], v[56:57], off
	s_nop 0
	global_load_dwordx2 v[70:71], v[60:61], off
	s_waitcnt vmcnt(0)
	scratch_store_dwordx4 off, v[68:71], off offset:240
	s_nop 1
	v_mov_b64_e32 v[68:69], -1.0
	s_cbranch_scc1 .LBB31_3
; %bb.2:
	scratch_load_dwordx2 v[68:69], v16, off
	s_waitcnt vmcnt(0)
	v_div_scale_f64 v[70:71], s[0:1], v[68:69], v[68:69], 1.0
	v_rcp_f64_e32 v[72:73], v[70:71]
	v_div_scale_f64 v[74:75], vcc, 1.0, v[68:69], 1.0
	v_fma_f64 v[76:77], -v[70:71], v[72:73], 1.0
	v_fmac_f64_e32 v[72:73], v[72:73], v[76:77]
	v_fma_f64 v[76:77], -v[70:71], v[72:73], 1.0
	v_fmac_f64_e32 v[72:73], v[72:73], v[76:77]
	v_mul_f64 v[76:77], v[74:75], v[72:73]
	v_fma_f64 v[70:71], -v[70:71], v[76:77], v[74:75]
	v_div_fmas_f64 v[70:71], v[70:71], v[72:73], v[76:77]
	v_div_fixup_f64 v[68:69], v[70:71], v[68:69], 1.0
	scratch_store_dwordx2 v16, v[68:69], off
	v_xor_b32_e32 v69, 0x80000000, v69
.LBB31_3:
	s_cmpk_eq_i32 s4, 0x79
	v_add_u32_e32 v1, 0x100, v16
	v_mov_b32_e32 v17, v16
	s_mov_b64 s[0:1], -1
	ds_write_b64 v16, v[68:69]
	s_cbranch_scc1 .LBB31_307
; %bb.4:
	scratch_load_dwordx2 v[68:69], off, off offset:240
	s_movk_i32 s8, 0x50
	s_movk_i32 s9, 0x60
	;; [unrolled: 1-line block ×10, first 2 shown]
	v_cmp_eq_u32_e64 s[0:1], 31, v0
	s_waitcnt vmcnt(0)
	ds_write_b64 v1, v[68:69]
	s_waitcnt lgkmcnt(0)
	; wave barrier
	s_and_saveexec_b64 s[2:3], s[0:1]
	s_cbranch_execz .LBB31_10
; %bb.5:
	s_and_b64 vcc, exec, s[6:7]
	s_cbranch_vccz .LBB31_7
; %bb.6:
	scratch_load_dwordx2 v[68:69], v17, off
	ds_read_b64 v[70:71], v1
	s_waitcnt vmcnt(0) lgkmcnt(0)
	v_mul_f64 v[68:69], v[68:69], v[70:71]
	s_cbranch_execz .LBB31_8
	s_branch .LBB31_9
.LBB31_7:
                                        ; implicit-def: $vgpr68_vgpr69
.LBB31_8:
	ds_read_b64 v[68:69], v1
.LBB31_9:
	v_mov_b32_e32 v70, 0
	ds_read_b64 v[70:71], v70 offset:240
	s_waitcnt lgkmcnt(0)
	v_mul_f64 v[68:69], v[68:69], v[70:71]
	scratch_store_dwordx2 off, v[68:69], off offset:240
.LBB31_10:
	s_or_b64 exec, exec, s[2:3]
	scratch_load_dwordx2 v[68:69], off, off offset:232
	s_mov_b32 s10, 16
	s_mov_b32 s11, 32
	;; [unrolled: 1-line block ×6, first 2 shown]
	v_cmp_lt_u32_e64 s[2:3], 29, v0
	s_waitcnt vmcnt(0)
	ds_write_b64 v1, v[68:69]
	s_waitcnt lgkmcnt(0)
	; wave barrier
	s_and_saveexec_b64 s[4:5], s[2:3]
	s_cbranch_execz .LBB31_16
; %bb.11:
	s_andn2_b64 vcc, exec, s[6:7]
	s_cbranch_vccnz .LBB31_13
; %bb.12:
	scratch_load_dwordx2 v[68:69], v17, off
	ds_read_b64 v[70:71], v1
	s_waitcnt vmcnt(0) lgkmcnt(0)
	v_mul_f64 v[68:69], v[68:69], v[70:71]
	s_cbranch_execz .LBB31_14
	s_branch .LBB31_15
.LBB31_13:
                                        ; implicit-def: $vgpr68_vgpr69
.LBB31_14:
	ds_read_b64 v[68:69], v1
.LBB31_15:
	scratch_load_dwordx2 v[74:75], off, off offset:240
	v_mov_b32_e32 v70, 0
	ds_read2_b64 v[70:73], v70 offset0:29 offset1:62
	s_waitcnt vmcnt(0) lgkmcnt(0)
	v_fma_f64 v[72:73], v[74:75], v[72:73], v[68:69]
	v_cndmask_b32_e64 v69, v69, v73, s[0:1]
	v_cndmask_b32_e64 v68, v68, v72, s[0:1]
	v_mul_f64 v[68:69], v[68:69], v[70:71]
	scratch_store_dwordx2 off, v[68:69], off offset:232
.LBB31_16:
	s_or_b64 exec, exec, s[4:5]
	scratch_load_dwordx2 v[68:69], off, off offset:224
	v_cmp_lt_u32_e64 s[0:1], 28, v0
	s_waitcnt vmcnt(0)
	ds_write_b64 v1, v[68:69]
	s_waitcnt lgkmcnt(0)
	; wave barrier
	s_and_saveexec_b64 s[4:5], s[0:1]
	s_cbranch_execz .LBB31_26
; %bb.17:
	s_andn2_b64 vcc, exec, s[6:7]
	s_cbranch_vccnz .LBB31_19
; %bb.18:
	scratch_load_dwordx2 v[68:69], v17, off
	ds_read_b64 v[70:71], v1
	s_waitcnt vmcnt(0) lgkmcnt(0)
	v_mul_f64 v[68:69], v[68:69], v[70:71]
	s_cbranch_execz .LBB31_20
	s_branch .LBB31_21
.LBB31_19:
                                        ; implicit-def: $vgpr68_vgpr69
.LBB31_20:
	ds_read_b64 v[68:69], v1
.LBB31_21:
	s_and_saveexec_b64 s[8:9], s[2:3]
	s_cbranch_execz .LBB31_25
; %bb.22:
	s_movk_i32 s24, 0xe8
	v_subrev_u32_e32 v70, 29, v0
	s_movk_i32 s25, 0x1e8
	s_mov_b64 s[2:3], 0
.LBB31_23:                              ; =>This Inner Loop Header: Depth=1
	scratch_load_dwordx2 v[72:73], off, s24
	v_mov_b32_e32 v71, s25
	ds_read_b64 v[74:75], v71
	v_add_u32_e32 v70, -1, v70
	s_add_i32 s25, s25, 8
	s_add_i32 s24, s24, 8
	v_cmp_eq_u32_e32 vcc, 0, v70
	s_or_b64 s[2:3], vcc, s[2:3]
	s_waitcnt vmcnt(0) lgkmcnt(0)
	v_fmac_f64_e32 v[68:69], v[72:73], v[74:75]
	s_andn2_b64 exec, exec, s[2:3]
	s_cbranch_execnz .LBB31_23
; %bb.24:
	s_or_b64 exec, exec, s[2:3]
.LBB31_25:
	s_or_b64 exec, exec, s[8:9]
	v_mov_b32_e32 v70, 0
	ds_read_b64 v[70:71], v70 offset:224
	s_waitcnt lgkmcnt(0)
	v_mul_f64 v[68:69], v[68:69], v[70:71]
	scratch_store_dwordx2 off, v[68:69], off offset:224
.LBB31_26:
	s_or_b64 exec, exec, s[4:5]
	scratch_load_dwordx2 v[68:69], off, off offset:216
	v_cmp_lt_u32_e64 s[2:3], 27, v0
	s_waitcnt vmcnt(0)
	ds_write_b64 v1, v[68:69]
	s_waitcnt lgkmcnt(0)
	; wave barrier
	s_and_saveexec_b64 s[4:5], s[2:3]
	s_cbranch_execz .LBB31_36
; %bb.27:
	s_andn2_b64 vcc, exec, s[6:7]
	s_cbranch_vccnz .LBB31_29
; %bb.28:
	scratch_load_dwordx2 v[68:69], v17, off
	ds_read_b64 v[70:71], v1
	s_waitcnt vmcnt(0) lgkmcnt(0)
	v_mul_f64 v[68:69], v[68:69], v[70:71]
	s_cbranch_execz .LBB31_30
	s_branch .LBB31_31
.LBB31_29:
                                        ; implicit-def: $vgpr68_vgpr69
.LBB31_30:
	ds_read_b64 v[68:69], v1
.LBB31_31:
	s_and_saveexec_b64 s[8:9], s[0:1]
	s_cbranch_execz .LBB31_35
; %bb.32:
	v_subrev_u32_e32 v70, 28, v0
	s_movk_i32 s24, 0x1e0
	s_mov_b64 s[0:1], 0
.LBB31_33:                              ; =>This Inner Loop Header: Depth=1
	scratch_load_dwordx2 v[72:73], off, s23
	v_mov_b32_e32 v71, s24
	ds_read_b64 v[74:75], v71
	v_add_u32_e32 v70, -1, v70
	s_add_i32 s24, s24, 8
	s_add_i32 s23, s23, 8
	v_cmp_eq_u32_e32 vcc, 0, v70
	s_or_b64 s[0:1], vcc, s[0:1]
	s_waitcnt vmcnt(0) lgkmcnt(0)
	v_fmac_f64_e32 v[68:69], v[72:73], v[74:75]
	s_andn2_b64 exec, exec, s[0:1]
	s_cbranch_execnz .LBB31_33
; %bb.34:
	s_or_b64 exec, exec, s[0:1]
.LBB31_35:
	s_or_b64 exec, exec, s[8:9]
	v_mov_b32_e32 v70, 0
	ds_read_b64 v[70:71], v70 offset:216
	s_waitcnt lgkmcnt(0)
	v_mul_f64 v[68:69], v[68:69], v[70:71]
	scratch_store_dwordx2 off, v[68:69], off offset:216
.LBB31_36:
	s_or_b64 exec, exec, s[4:5]
	scratch_load_dwordx2 v[68:69], off, off offset:208
	v_cmp_lt_u32_e64 s[0:1], 26, v0
	s_waitcnt vmcnt(0)
	ds_write_b64 v1, v[68:69]
	s_waitcnt lgkmcnt(0)
	; wave barrier
	s_and_saveexec_b64 s[4:5], s[0:1]
	s_cbranch_execz .LBB31_46
; %bb.37:
	s_andn2_b64 vcc, exec, s[6:7]
	s_cbranch_vccnz .LBB31_39
; %bb.38:
	scratch_load_dwordx2 v[68:69], v17, off
	ds_read_b64 v[70:71], v1
	s_waitcnt vmcnt(0) lgkmcnt(0)
	v_mul_f64 v[68:69], v[68:69], v[70:71]
	s_cbranch_execz .LBB31_40
	s_branch .LBB31_41
.LBB31_39:
                                        ; implicit-def: $vgpr68_vgpr69
.LBB31_40:
	ds_read_b64 v[68:69], v1
.LBB31_41:
	s_and_saveexec_b64 s[8:9], s[2:3]
	s_cbranch_execz .LBB31_45
; %bb.42:
	s_movk_i32 s23, 0xd8
	v_subrev_u32_e32 v70, 27, v0
	s_movk_i32 s24, 0x1d8
	s_mov_b64 s[2:3], 0
.LBB31_43:                              ; =>This Inner Loop Header: Depth=1
	scratch_load_dwordx2 v[72:73], off, s23
	v_mov_b32_e32 v71, s24
	ds_read_b64 v[74:75], v71
	v_add_u32_e32 v70, -1, v70
	s_add_i32 s24, s24, 8
	s_add_i32 s23, s23, 8
	v_cmp_eq_u32_e32 vcc, 0, v70
	s_or_b64 s[2:3], vcc, s[2:3]
	s_waitcnt vmcnt(0) lgkmcnt(0)
	v_fmac_f64_e32 v[68:69], v[72:73], v[74:75]
	s_andn2_b64 exec, exec, s[2:3]
	s_cbranch_execnz .LBB31_43
; %bb.44:
	s_or_b64 exec, exec, s[2:3]
.LBB31_45:
	s_or_b64 exec, exec, s[8:9]
	v_mov_b32_e32 v70, 0
	ds_read_b64 v[70:71], v70 offset:208
	s_waitcnt lgkmcnt(0)
	v_mul_f64 v[68:69], v[68:69], v[70:71]
	scratch_store_dwordx2 off, v[68:69], off offset:208
.LBB31_46:
	s_or_b64 exec, exec, s[4:5]
	scratch_load_dwordx2 v[68:69], off, off offset:200
	v_cmp_lt_u32_e64 s[2:3], 25, v0
	s_waitcnt vmcnt(0)
	ds_write_b64 v1, v[68:69]
	s_waitcnt lgkmcnt(0)
	; wave barrier
	s_and_saveexec_b64 s[4:5], s[2:3]
	s_cbranch_execz .LBB31_56
; %bb.47:
	s_andn2_b64 vcc, exec, s[6:7]
	s_cbranch_vccnz .LBB31_49
; %bb.48:
	scratch_load_dwordx2 v[68:69], v17, off
	ds_read_b64 v[70:71], v1
	s_waitcnt vmcnt(0) lgkmcnt(0)
	v_mul_f64 v[68:69], v[68:69], v[70:71]
	s_cbranch_execz .LBB31_50
	s_branch .LBB31_51
.LBB31_49:
                                        ; implicit-def: $vgpr68_vgpr69
.LBB31_50:
	ds_read_b64 v[68:69], v1
.LBB31_51:
	s_and_saveexec_b64 s[8:9], s[0:1]
	s_cbranch_execz .LBB31_55
; %bb.52:
	v_subrev_u32_e32 v70, 26, v0
	s_movk_i32 s23, 0x1d0
	s_mov_b64 s[0:1], 0
.LBB31_53:                              ; =>This Inner Loop Header: Depth=1
	scratch_load_dwordx2 v[72:73], off, s22
	v_mov_b32_e32 v71, s23
	ds_read_b64 v[74:75], v71
	v_add_u32_e32 v70, -1, v70
	s_add_i32 s23, s23, 8
	s_add_i32 s22, s22, 8
	v_cmp_eq_u32_e32 vcc, 0, v70
	s_or_b64 s[0:1], vcc, s[0:1]
	s_waitcnt vmcnt(0) lgkmcnt(0)
	v_fmac_f64_e32 v[68:69], v[72:73], v[74:75]
	s_andn2_b64 exec, exec, s[0:1]
	s_cbranch_execnz .LBB31_53
; %bb.54:
	s_or_b64 exec, exec, s[0:1]
.LBB31_55:
	s_or_b64 exec, exec, s[8:9]
	v_mov_b32_e32 v70, 0
	ds_read_b64 v[70:71], v70 offset:200
	s_waitcnt lgkmcnt(0)
	v_mul_f64 v[68:69], v[68:69], v[70:71]
	scratch_store_dwordx2 off, v[68:69], off offset:200
.LBB31_56:
	s_or_b64 exec, exec, s[4:5]
	scratch_load_dwordx2 v[68:69], off, off offset:192
	v_cmp_lt_u32_e64 s[0:1], 24, v0
	s_waitcnt vmcnt(0)
	ds_write_b64 v1, v[68:69]
	s_waitcnt lgkmcnt(0)
	; wave barrier
	s_and_saveexec_b64 s[4:5], s[0:1]
	s_cbranch_execz .LBB31_66
; %bb.57:
	s_andn2_b64 vcc, exec, s[6:7]
	s_cbranch_vccnz .LBB31_59
; %bb.58:
	scratch_load_dwordx2 v[68:69], v17, off
	ds_read_b64 v[70:71], v1
	s_waitcnt vmcnt(0) lgkmcnt(0)
	v_mul_f64 v[68:69], v[68:69], v[70:71]
	s_cbranch_execz .LBB31_60
	s_branch .LBB31_61
.LBB31_59:
                                        ; implicit-def: $vgpr68_vgpr69
.LBB31_60:
	ds_read_b64 v[68:69], v1
.LBB31_61:
	s_and_saveexec_b64 s[8:9], s[2:3]
	s_cbranch_execz .LBB31_65
; %bb.62:
	s_movk_i32 s22, 0xc8
	v_subrev_u32_e32 v70, 25, v0
	s_movk_i32 s23, 0x1c8
	s_mov_b64 s[2:3], 0
.LBB31_63:                              ; =>This Inner Loop Header: Depth=1
	scratch_load_dwordx2 v[72:73], off, s22
	v_mov_b32_e32 v71, s23
	ds_read_b64 v[74:75], v71
	v_add_u32_e32 v70, -1, v70
	s_add_i32 s23, s23, 8
	s_add_i32 s22, s22, 8
	v_cmp_eq_u32_e32 vcc, 0, v70
	s_or_b64 s[2:3], vcc, s[2:3]
	s_waitcnt vmcnt(0) lgkmcnt(0)
	v_fmac_f64_e32 v[68:69], v[72:73], v[74:75]
	s_andn2_b64 exec, exec, s[2:3]
	s_cbranch_execnz .LBB31_63
; %bb.64:
	s_or_b64 exec, exec, s[2:3]
.LBB31_65:
	s_or_b64 exec, exec, s[8:9]
	v_mov_b32_e32 v70, 0
	ds_read_b64 v[70:71], v70 offset:192
	s_waitcnt lgkmcnt(0)
	v_mul_f64 v[68:69], v[68:69], v[70:71]
	scratch_store_dwordx2 off, v[68:69], off offset:192
.LBB31_66:
	s_or_b64 exec, exec, s[4:5]
	scratch_load_dwordx2 v[68:69], off, off offset:184
	v_cmp_lt_u32_e64 s[2:3], 23, v0
	s_waitcnt vmcnt(0)
	ds_write_b64 v1, v[68:69]
	s_waitcnt lgkmcnt(0)
	; wave barrier
	s_and_saveexec_b64 s[4:5], s[2:3]
	s_cbranch_execz .LBB31_76
; %bb.67:
	s_andn2_b64 vcc, exec, s[6:7]
	s_cbranch_vccnz .LBB31_69
; %bb.68:
	scratch_load_dwordx2 v[68:69], v17, off
	ds_read_b64 v[70:71], v1
	s_waitcnt vmcnt(0) lgkmcnt(0)
	v_mul_f64 v[68:69], v[68:69], v[70:71]
	s_cbranch_execz .LBB31_70
	s_branch .LBB31_71
.LBB31_69:
                                        ; implicit-def: $vgpr68_vgpr69
.LBB31_70:
	ds_read_b64 v[68:69], v1
.LBB31_71:
	s_and_saveexec_b64 s[8:9], s[0:1]
	s_cbranch_execz .LBB31_75
; %bb.72:
	v_subrev_u32_e32 v70, 24, v0
	s_movk_i32 s22, 0x1c0
	s_mov_b64 s[0:1], 0
.LBB31_73:                              ; =>This Inner Loop Header: Depth=1
	scratch_load_dwordx2 v[72:73], off, s21
	v_mov_b32_e32 v71, s22
	ds_read_b64 v[74:75], v71
	v_add_u32_e32 v70, -1, v70
	s_add_i32 s22, s22, 8
	s_add_i32 s21, s21, 8
	v_cmp_eq_u32_e32 vcc, 0, v70
	s_or_b64 s[0:1], vcc, s[0:1]
	s_waitcnt vmcnt(0) lgkmcnt(0)
	v_fmac_f64_e32 v[68:69], v[72:73], v[74:75]
	s_andn2_b64 exec, exec, s[0:1]
	s_cbranch_execnz .LBB31_73
; %bb.74:
	s_or_b64 exec, exec, s[0:1]
.LBB31_75:
	s_or_b64 exec, exec, s[8:9]
	v_mov_b32_e32 v70, 0
	ds_read_b64 v[70:71], v70 offset:184
	s_waitcnt lgkmcnt(0)
	v_mul_f64 v[68:69], v[68:69], v[70:71]
	scratch_store_dwordx2 off, v[68:69], off offset:184
.LBB31_76:
	s_or_b64 exec, exec, s[4:5]
	scratch_load_dwordx2 v[68:69], off, off offset:176
	v_cmp_lt_u32_e64 s[0:1], 22, v0
	s_waitcnt vmcnt(0)
	ds_write_b64 v1, v[68:69]
	s_waitcnt lgkmcnt(0)
	; wave barrier
	s_and_saveexec_b64 s[4:5], s[0:1]
	s_cbranch_execz .LBB31_86
; %bb.77:
	s_andn2_b64 vcc, exec, s[6:7]
	s_cbranch_vccnz .LBB31_79
; %bb.78:
	scratch_load_dwordx2 v[68:69], v17, off
	ds_read_b64 v[70:71], v1
	s_waitcnt vmcnt(0) lgkmcnt(0)
	v_mul_f64 v[68:69], v[68:69], v[70:71]
	s_cbranch_execz .LBB31_80
	s_branch .LBB31_81
.LBB31_79:
                                        ; implicit-def: $vgpr68_vgpr69
.LBB31_80:
	ds_read_b64 v[68:69], v1
.LBB31_81:
	s_and_saveexec_b64 s[8:9], s[2:3]
	s_cbranch_execz .LBB31_85
; %bb.82:
	s_movk_i32 s21, 0xb8
	v_subrev_u32_e32 v70, 23, v0
	s_movk_i32 s22, 0x1b8
	s_mov_b64 s[2:3], 0
.LBB31_83:                              ; =>This Inner Loop Header: Depth=1
	scratch_load_dwordx2 v[72:73], off, s21
	v_mov_b32_e32 v71, s22
	ds_read_b64 v[74:75], v71
	v_add_u32_e32 v70, -1, v70
	s_add_i32 s22, s22, 8
	s_add_i32 s21, s21, 8
	v_cmp_eq_u32_e32 vcc, 0, v70
	s_or_b64 s[2:3], vcc, s[2:3]
	s_waitcnt vmcnt(0) lgkmcnt(0)
	v_fmac_f64_e32 v[68:69], v[72:73], v[74:75]
	s_andn2_b64 exec, exec, s[2:3]
	s_cbranch_execnz .LBB31_83
; %bb.84:
	s_or_b64 exec, exec, s[2:3]
.LBB31_85:
	s_or_b64 exec, exec, s[8:9]
	v_mov_b32_e32 v70, 0
	ds_read_b64 v[70:71], v70 offset:176
	s_waitcnt lgkmcnt(0)
	v_mul_f64 v[68:69], v[68:69], v[70:71]
	scratch_store_dwordx2 off, v[68:69], off offset:176
.LBB31_86:
	s_or_b64 exec, exec, s[4:5]
	scratch_load_dwordx2 v[68:69], off, off offset:168
	v_cmp_lt_u32_e64 s[2:3], 21, v0
	s_waitcnt vmcnt(0)
	ds_write_b64 v1, v[68:69]
	s_waitcnt lgkmcnt(0)
	; wave barrier
	s_and_saveexec_b64 s[4:5], s[2:3]
	s_cbranch_execz .LBB31_96
; %bb.87:
	s_andn2_b64 vcc, exec, s[6:7]
	s_cbranch_vccnz .LBB31_89
; %bb.88:
	scratch_load_dwordx2 v[68:69], v17, off
	ds_read_b64 v[70:71], v1
	s_waitcnt vmcnt(0) lgkmcnt(0)
	v_mul_f64 v[68:69], v[68:69], v[70:71]
	s_cbranch_execz .LBB31_90
	s_branch .LBB31_91
.LBB31_89:
                                        ; implicit-def: $vgpr68_vgpr69
.LBB31_90:
	ds_read_b64 v[68:69], v1
.LBB31_91:
	s_and_saveexec_b64 s[8:9], s[0:1]
	s_cbranch_execz .LBB31_95
; %bb.92:
	v_subrev_u32_e32 v70, 22, v0
	s_movk_i32 s21, 0x1b0
	s_mov_b64 s[0:1], 0
.LBB31_93:                              ; =>This Inner Loop Header: Depth=1
	scratch_load_dwordx2 v[72:73], off, s20
	v_mov_b32_e32 v71, s21
	ds_read_b64 v[74:75], v71
	v_add_u32_e32 v70, -1, v70
	s_add_i32 s21, s21, 8
	s_add_i32 s20, s20, 8
	v_cmp_eq_u32_e32 vcc, 0, v70
	s_or_b64 s[0:1], vcc, s[0:1]
	s_waitcnt vmcnt(0) lgkmcnt(0)
	v_fmac_f64_e32 v[68:69], v[72:73], v[74:75]
	s_andn2_b64 exec, exec, s[0:1]
	s_cbranch_execnz .LBB31_93
; %bb.94:
	s_or_b64 exec, exec, s[0:1]
.LBB31_95:
	s_or_b64 exec, exec, s[8:9]
	v_mov_b32_e32 v70, 0
	ds_read_b64 v[70:71], v70 offset:168
	s_waitcnt lgkmcnt(0)
	v_mul_f64 v[68:69], v[68:69], v[70:71]
	scratch_store_dwordx2 off, v[68:69], off offset:168
.LBB31_96:
	s_or_b64 exec, exec, s[4:5]
	scratch_load_dwordx2 v[68:69], off, off offset:160
	v_cmp_lt_u32_e64 s[0:1], 20, v0
	s_waitcnt vmcnt(0)
	ds_write_b64 v1, v[68:69]
	s_waitcnt lgkmcnt(0)
	; wave barrier
	s_and_saveexec_b64 s[4:5], s[0:1]
	s_cbranch_execz .LBB31_106
; %bb.97:
	s_andn2_b64 vcc, exec, s[6:7]
	s_cbranch_vccnz .LBB31_99
; %bb.98:
	scratch_load_dwordx2 v[68:69], v17, off
	ds_read_b64 v[70:71], v1
	s_waitcnt vmcnt(0) lgkmcnt(0)
	v_mul_f64 v[68:69], v[68:69], v[70:71]
	s_cbranch_execz .LBB31_100
	s_branch .LBB31_101
.LBB31_99:
                                        ; implicit-def: $vgpr68_vgpr69
.LBB31_100:
	ds_read_b64 v[68:69], v1
.LBB31_101:
	s_and_saveexec_b64 s[8:9], s[2:3]
	s_cbranch_execz .LBB31_105
; %bb.102:
	s_movk_i32 s20, 0xa8
	v_subrev_u32_e32 v70, 21, v0
	s_movk_i32 s21, 0x1a8
	s_mov_b64 s[2:3], 0
.LBB31_103:                             ; =>This Inner Loop Header: Depth=1
	scratch_load_dwordx2 v[72:73], off, s20
	v_mov_b32_e32 v71, s21
	ds_read_b64 v[74:75], v71
	v_add_u32_e32 v70, -1, v70
	s_add_i32 s21, s21, 8
	s_add_i32 s20, s20, 8
	v_cmp_eq_u32_e32 vcc, 0, v70
	s_or_b64 s[2:3], vcc, s[2:3]
	s_waitcnt vmcnt(0) lgkmcnt(0)
	v_fmac_f64_e32 v[68:69], v[72:73], v[74:75]
	s_andn2_b64 exec, exec, s[2:3]
	s_cbranch_execnz .LBB31_103
; %bb.104:
	s_or_b64 exec, exec, s[2:3]
.LBB31_105:
	s_or_b64 exec, exec, s[8:9]
	v_mov_b32_e32 v70, 0
	ds_read_b64 v[70:71], v70 offset:160
	s_waitcnt lgkmcnt(0)
	v_mul_f64 v[68:69], v[68:69], v[70:71]
	scratch_store_dwordx2 off, v[68:69], off offset:160
.LBB31_106:
	s_or_b64 exec, exec, s[4:5]
	scratch_load_dwordx2 v[68:69], off, off offset:152
	v_cmp_lt_u32_e64 s[2:3], 19, v0
	s_waitcnt vmcnt(0)
	ds_write_b64 v1, v[68:69]
	s_waitcnt lgkmcnt(0)
	; wave barrier
	s_and_saveexec_b64 s[4:5], s[2:3]
	s_cbranch_execz .LBB31_116
; %bb.107:
	s_andn2_b64 vcc, exec, s[6:7]
	s_cbranch_vccnz .LBB31_109
; %bb.108:
	scratch_load_dwordx2 v[68:69], v17, off
	ds_read_b64 v[70:71], v1
	s_waitcnt vmcnt(0) lgkmcnt(0)
	v_mul_f64 v[68:69], v[68:69], v[70:71]
	s_cbranch_execz .LBB31_110
	s_branch .LBB31_111
.LBB31_109:
                                        ; implicit-def: $vgpr68_vgpr69
.LBB31_110:
	ds_read_b64 v[68:69], v1
.LBB31_111:
	s_and_saveexec_b64 s[8:9], s[0:1]
	s_cbranch_execz .LBB31_115
; %bb.112:
	v_subrev_u32_e32 v70, 20, v0
	s_movk_i32 s20, 0x1a0
	s_mov_b64 s[0:1], 0
.LBB31_113:                             ; =>This Inner Loop Header: Depth=1
	scratch_load_dwordx2 v[72:73], off, s19
	v_mov_b32_e32 v71, s20
	ds_read_b64 v[74:75], v71
	v_add_u32_e32 v70, -1, v70
	s_add_i32 s20, s20, 8
	s_add_i32 s19, s19, 8
	v_cmp_eq_u32_e32 vcc, 0, v70
	s_or_b64 s[0:1], vcc, s[0:1]
	s_waitcnt vmcnt(0) lgkmcnt(0)
	v_fmac_f64_e32 v[68:69], v[72:73], v[74:75]
	s_andn2_b64 exec, exec, s[0:1]
	s_cbranch_execnz .LBB31_113
; %bb.114:
	s_or_b64 exec, exec, s[0:1]
.LBB31_115:
	s_or_b64 exec, exec, s[8:9]
	v_mov_b32_e32 v70, 0
	ds_read_b64 v[70:71], v70 offset:152
	s_waitcnt lgkmcnt(0)
	v_mul_f64 v[68:69], v[68:69], v[70:71]
	scratch_store_dwordx2 off, v[68:69], off offset:152
.LBB31_116:
	s_or_b64 exec, exec, s[4:5]
	scratch_load_dwordx2 v[68:69], off, off offset:144
	v_cmp_lt_u32_e64 s[0:1], 18, v0
	s_waitcnt vmcnt(0)
	ds_write_b64 v1, v[68:69]
	s_waitcnt lgkmcnt(0)
	; wave barrier
	s_and_saveexec_b64 s[4:5], s[0:1]
	s_cbranch_execz .LBB31_126
; %bb.117:
	s_andn2_b64 vcc, exec, s[6:7]
	s_cbranch_vccnz .LBB31_119
; %bb.118:
	scratch_load_dwordx2 v[68:69], v17, off
	ds_read_b64 v[70:71], v1
	s_waitcnt vmcnt(0) lgkmcnt(0)
	v_mul_f64 v[68:69], v[68:69], v[70:71]
	s_cbranch_execz .LBB31_120
	s_branch .LBB31_121
.LBB31_119:
                                        ; implicit-def: $vgpr68_vgpr69
.LBB31_120:
	ds_read_b64 v[68:69], v1
.LBB31_121:
	s_and_saveexec_b64 s[8:9], s[2:3]
	s_cbranch_execz .LBB31_125
; %bb.122:
	s_movk_i32 s19, 0x98
	v_subrev_u32_e32 v70, 19, v0
	s_movk_i32 s20, 0x198
	s_mov_b64 s[2:3], 0
.LBB31_123:                             ; =>This Inner Loop Header: Depth=1
	scratch_load_dwordx2 v[72:73], off, s19
	v_mov_b32_e32 v71, s20
	ds_read_b64 v[74:75], v71
	v_add_u32_e32 v70, -1, v70
	s_add_i32 s20, s20, 8
	s_add_i32 s19, s19, 8
	v_cmp_eq_u32_e32 vcc, 0, v70
	s_or_b64 s[2:3], vcc, s[2:3]
	s_waitcnt vmcnt(0) lgkmcnt(0)
	v_fmac_f64_e32 v[68:69], v[72:73], v[74:75]
	s_andn2_b64 exec, exec, s[2:3]
	s_cbranch_execnz .LBB31_123
; %bb.124:
	s_or_b64 exec, exec, s[2:3]
.LBB31_125:
	s_or_b64 exec, exec, s[8:9]
	v_mov_b32_e32 v70, 0
	ds_read_b64 v[70:71], v70 offset:144
	s_waitcnt lgkmcnt(0)
	v_mul_f64 v[68:69], v[68:69], v[70:71]
	scratch_store_dwordx2 off, v[68:69], off offset:144
.LBB31_126:
	s_or_b64 exec, exec, s[4:5]
	scratch_load_dwordx2 v[68:69], off, off offset:136
	v_cmp_lt_u32_e64 s[2:3], 17, v0
	s_waitcnt vmcnt(0)
	ds_write_b64 v1, v[68:69]
	s_waitcnt lgkmcnt(0)
	; wave barrier
	s_and_saveexec_b64 s[4:5], s[2:3]
	s_cbranch_execz .LBB31_136
; %bb.127:
	s_andn2_b64 vcc, exec, s[6:7]
	s_cbranch_vccnz .LBB31_129
; %bb.128:
	scratch_load_dwordx2 v[68:69], v17, off
	ds_read_b64 v[70:71], v1
	s_waitcnt vmcnt(0) lgkmcnt(0)
	v_mul_f64 v[68:69], v[68:69], v[70:71]
	s_cbranch_execz .LBB31_130
	s_branch .LBB31_131
.LBB31_129:
                                        ; implicit-def: $vgpr68_vgpr69
.LBB31_130:
	ds_read_b64 v[68:69], v1
.LBB31_131:
	s_and_saveexec_b64 s[8:9], s[0:1]
	s_cbranch_execz .LBB31_135
; %bb.132:
	v_subrev_u32_e32 v70, 18, v0
	s_movk_i32 s19, 0x190
	s_mov_b64 s[0:1], 0
.LBB31_133:                             ; =>This Inner Loop Header: Depth=1
	scratch_load_dwordx2 v[72:73], off, s18
	v_mov_b32_e32 v71, s19
	ds_read_b64 v[74:75], v71
	v_add_u32_e32 v70, -1, v70
	s_add_i32 s19, s19, 8
	s_add_i32 s18, s18, 8
	v_cmp_eq_u32_e32 vcc, 0, v70
	s_or_b64 s[0:1], vcc, s[0:1]
	s_waitcnt vmcnt(0) lgkmcnt(0)
	v_fmac_f64_e32 v[68:69], v[72:73], v[74:75]
	s_andn2_b64 exec, exec, s[0:1]
	s_cbranch_execnz .LBB31_133
; %bb.134:
	s_or_b64 exec, exec, s[0:1]
.LBB31_135:
	s_or_b64 exec, exec, s[8:9]
	v_mov_b32_e32 v70, 0
	ds_read_b64 v[70:71], v70 offset:136
	s_waitcnt lgkmcnt(0)
	v_mul_f64 v[68:69], v[68:69], v[70:71]
	scratch_store_dwordx2 off, v[68:69], off offset:136
.LBB31_136:
	s_or_b64 exec, exec, s[4:5]
	scratch_load_dwordx2 v[68:69], off, off offset:128
	v_cmp_lt_u32_e64 s[0:1], 16, v0
	s_waitcnt vmcnt(0)
	ds_write_b64 v1, v[68:69]
	s_waitcnt lgkmcnt(0)
	; wave barrier
	s_and_saveexec_b64 s[4:5], s[0:1]
	s_cbranch_execz .LBB31_146
; %bb.137:
	s_andn2_b64 vcc, exec, s[6:7]
	s_cbranch_vccnz .LBB31_139
; %bb.138:
	scratch_load_dwordx2 v[68:69], v17, off
	ds_read_b64 v[70:71], v1
	s_waitcnt vmcnt(0) lgkmcnt(0)
	v_mul_f64 v[68:69], v[68:69], v[70:71]
	s_cbranch_execz .LBB31_140
	s_branch .LBB31_141
.LBB31_139:
                                        ; implicit-def: $vgpr68_vgpr69
.LBB31_140:
	ds_read_b64 v[68:69], v1
.LBB31_141:
	s_and_saveexec_b64 s[8:9], s[2:3]
	s_cbranch_execz .LBB31_145
; %bb.142:
	s_movk_i32 s18, 0x88
	v_subrev_u32_e32 v70, 17, v0
	s_movk_i32 s19, 0x188
	s_mov_b64 s[2:3], 0
.LBB31_143:                             ; =>This Inner Loop Header: Depth=1
	scratch_load_dwordx2 v[72:73], off, s18
	v_mov_b32_e32 v71, s19
	ds_read_b64 v[74:75], v71
	v_add_u32_e32 v70, -1, v70
	s_add_i32 s19, s19, 8
	s_add_i32 s18, s18, 8
	v_cmp_eq_u32_e32 vcc, 0, v70
	s_or_b64 s[2:3], vcc, s[2:3]
	s_waitcnt vmcnt(0) lgkmcnt(0)
	v_fmac_f64_e32 v[68:69], v[72:73], v[74:75]
	s_andn2_b64 exec, exec, s[2:3]
	s_cbranch_execnz .LBB31_143
; %bb.144:
	s_or_b64 exec, exec, s[2:3]
.LBB31_145:
	s_or_b64 exec, exec, s[8:9]
	v_mov_b32_e32 v70, 0
	ds_read_b64 v[70:71], v70 offset:128
	s_waitcnt lgkmcnt(0)
	v_mul_f64 v[68:69], v[68:69], v[70:71]
	scratch_store_dwordx2 off, v[68:69], off offset:128
.LBB31_146:
	s_or_b64 exec, exec, s[4:5]
	scratch_load_dwordx2 v[68:69], off, off offset:120
	v_cmp_lt_u32_e64 s[2:3], 15, v0
	s_waitcnt vmcnt(0)
	ds_write_b64 v1, v[68:69]
	s_waitcnt lgkmcnt(0)
	; wave barrier
	s_and_saveexec_b64 s[4:5], s[2:3]
	s_cbranch_execz .LBB31_156
; %bb.147:
	s_andn2_b64 vcc, exec, s[6:7]
	s_cbranch_vccnz .LBB31_149
; %bb.148:
	scratch_load_dwordx2 v[68:69], v17, off
	ds_read_b64 v[70:71], v1
	s_waitcnt vmcnt(0) lgkmcnt(0)
	v_mul_f64 v[68:69], v[68:69], v[70:71]
	s_cbranch_execz .LBB31_150
	s_branch .LBB31_151
.LBB31_149:
                                        ; implicit-def: $vgpr68_vgpr69
.LBB31_150:
	ds_read_b64 v[68:69], v1
.LBB31_151:
	s_and_saveexec_b64 s[8:9], s[0:1]
	s_cbranch_execz .LBB31_155
; %bb.152:
	v_add_u32_e32 v70, -16, v0
	s_movk_i32 s18, 0x180
	s_mov_b64 s[0:1], 0
.LBB31_153:                             ; =>This Inner Loop Header: Depth=1
	scratch_load_dwordx2 v[72:73], off, s17
	v_mov_b32_e32 v71, s18
	ds_read_b64 v[74:75], v71
	v_add_u32_e32 v70, -1, v70
	s_add_i32 s18, s18, 8
	s_add_i32 s17, s17, 8
	v_cmp_eq_u32_e32 vcc, 0, v70
	s_or_b64 s[0:1], vcc, s[0:1]
	s_waitcnt vmcnt(0) lgkmcnt(0)
	v_fmac_f64_e32 v[68:69], v[72:73], v[74:75]
	s_andn2_b64 exec, exec, s[0:1]
	s_cbranch_execnz .LBB31_153
; %bb.154:
	s_or_b64 exec, exec, s[0:1]
.LBB31_155:
	s_or_b64 exec, exec, s[8:9]
	v_mov_b32_e32 v70, 0
	ds_read_b64 v[70:71], v70 offset:120
	s_waitcnt lgkmcnt(0)
	v_mul_f64 v[68:69], v[68:69], v[70:71]
	scratch_store_dwordx2 off, v[68:69], off offset:120
.LBB31_156:
	s_or_b64 exec, exec, s[4:5]
	scratch_load_dwordx2 v[68:69], off, off offset:112
	v_cmp_lt_u32_e64 s[0:1], 14, v0
	s_waitcnt vmcnt(0)
	ds_write_b64 v1, v[68:69]
	s_waitcnt lgkmcnt(0)
	; wave barrier
	s_and_saveexec_b64 s[4:5], s[0:1]
	s_cbranch_execz .LBB31_166
; %bb.157:
	s_andn2_b64 vcc, exec, s[6:7]
	s_cbranch_vccnz .LBB31_159
; %bb.158:
	scratch_load_dwordx2 v[68:69], v17, off
	ds_read_b64 v[70:71], v1
	s_waitcnt vmcnt(0) lgkmcnt(0)
	v_mul_f64 v[68:69], v[68:69], v[70:71]
	s_cbranch_execz .LBB31_160
	s_branch .LBB31_161
.LBB31_159:
                                        ; implicit-def: $vgpr68_vgpr69
.LBB31_160:
	ds_read_b64 v[68:69], v1
.LBB31_161:
	s_and_saveexec_b64 s[8:9], s[2:3]
	s_cbranch_execz .LBB31_165
; %bb.162:
	s_movk_i32 s17, 0x78
	v_add_u32_e32 v70, -15, v0
	s_movk_i32 s18, 0x178
	s_mov_b64 s[2:3], 0
.LBB31_163:                             ; =>This Inner Loop Header: Depth=1
	scratch_load_dwordx2 v[72:73], off, s17
	v_mov_b32_e32 v71, s18
	ds_read_b64 v[74:75], v71
	v_add_u32_e32 v70, -1, v70
	s_add_i32 s18, s18, 8
	s_add_i32 s17, s17, 8
	v_cmp_eq_u32_e32 vcc, 0, v70
	s_or_b64 s[2:3], vcc, s[2:3]
	s_waitcnt vmcnt(0) lgkmcnt(0)
	v_fmac_f64_e32 v[68:69], v[72:73], v[74:75]
	s_andn2_b64 exec, exec, s[2:3]
	s_cbranch_execnz .LBB31_163
; %bb.164:
	s_or_b64 exec, exec, s[2:3]
.LBB31_165:
	s_or_b64 exec, exec, s[8:9]
	v_mov_b32_e32 v70, 0
	ds_read_b64 v[70:71], v70 offset:112
	s_waitcnt lgkmcnt(0)
	v_mul_f64 v[68:69], v[68:69], v[70:71]
	scratch_store_dwordx2 off, v[68:69], off offset:112
.LBB31_166:
	s_or_b64 exec, exec, s[4:5]
	scratch_load_dwordx2 v[68:69], off, off offset:104
	v_cmp_lt_u32_e64 s[2:3], 13, v0
	s_waitcnt vmcnt(0)
	ds_write_b64 v1, v[68:69]
	s_waitcnt lgkmcnt(0)
	; wave barrier
	s_and_saveexec_b64 s[4:5], s[2:3]
	s_cbranch_execz .LBB31_176
; %bb.167:
	s_andn2_b64 vcc, exec, s[6:7]
	s_cbranch_vccnz .LBB31_169
; %bb.168:
	scratch_load_dwordx2 v[68:69], v17, off
	ds_read_b64 v[70:71], v1
	s_waitcnt vmcnt(0) lgkmcnt(0)
	v_mul_f64 v[68:69], v[68:69], v[70:71]
	s_cbranch_execz .LBB31_170
	s_branch .LBB31_171
.LBB31_169:
                                        ; implicit-def: $vgpr68_vgpr69
.LBB31_170:
	ds_read_b64 v[68:69], v1
.LBB31_171:
	s_and_saveexec_b64 s[8:9], s[0:1]
	s_cbranch_execz .LBB31_175
; %bb.172:
	v_add_u32_e32 v70, -14, v0
	s_movk_i32 s17, 0x170
	s_mov_b64 s[0:1], 0
.LBB31_173:                             ; =>This Inner Loop Header: Depth=1
	scratch_load_dwordx2 v[72:73], off, s16
	v_mov_b32_e32 v71, s17
	ds_read_b64 v[74:75], v71
	v_add_u32_e32 v70, -1, v70
	s_add_i32 s17, s17, 8
	s_add_i32 s16, s16, 8
	v_cmp_eq_u32_e32 vcc, 0, v70
	s_or_b64 s[0:1], vcc, s[0:1]
	s_waitcnt vmcnt(0) lgkmcnt(0)
	v_fmac_f64_e32 v[68:69], v[72:73], v[74:75]
	s_andn2_b64 exec, exec, s[0:1]
	s_cbranch_execnz .LBB31_173
; %bb.174:
	s_or_b64 exec, exec, s[0:1]
.LBB31_175:
	s_or_b64 exec, exec, s[8:9]
	v_mov_b32_e32 v70, 0
	ds_read_b64 v[70:71], v70 offset:104
	s_waitcnt lgkmcnt(0)
	v_mul_f64 v[68:69], v[68:69], v[70:71]
	scratch_store_dwordx2 off, v[68:69], off offset:104
.LBB31_176:
	s_or_b64 exec, exec, s[4:5]
	scratch_load_dwordx2 v[68:69], off, off offset:96
	v_cmp_lt_u32_e64 s[0:1], 12, v0
	s_waitcnt vmcnt(0)
	ds_write_b64 v1, v[68:69]
	s_waitcnt lgkmcnt(0)
	; wave barrier
	s_and_saveexec_b64 s[4:5], s[0:1]
	s_cbranch_execz .LBB31_186
; %bb.177:
	s_andn2_b64 vcc, exec, s[6:7]
	s_cbranch_vccnz .LBB31_179
; %bb.178:
	scratch_load_dwordx2 v[68:69], v17, off
	ds_read_b64 v[70:71], v1
	s_waitcnt vmcnt(0) lgkmcnt(0)
	v_mul_f64 v[68:69], v[68:69], v[70:71]
	s_cbranch_execz .LBB31_180
	s_branch .LBB31_181
.LBB31_179:
                                        ; implicit-def: $vgpr68_vgpr69
.LBB31_180:
	ds_read_b64 v[68:69], v1
.LBB31_181:
	s_and_saveexec_b64 s[8:9], s[2:3]
	s_cbranch_execz .LBB31_185
; %bb.182:
	s_movk_i32 s16, 0x68
	v_add_u32_e32 v70, -13, v0
	s_movk_i32 s17, 0x168
	s_mov_b64 s[2:3], 0
.LBB31_183:                             ; =>This Inner Loop Header: Depth=1
	scratch_load_dwordx2 v[72:73], off, s16
	v_mov_b32_e32 v71, s17
	ds_read_b64 v[74:75], v71
	v_add_u32_e32 v70, -1, v70
	s_add_i32 s17, s17, 8
	s_add_i32 s16, s16, 8
	v_cmp_eq_u32_e32 vcc, 0, v70
	s_or_b64 s[2:3], vcc, s[2:3]
	s_waitcnt vmcnt(0) lgkmcnt(0)
	v_fmac_f64_e32 v[68:69], v[72:73], v[74:75]
	s_andn2_b64 exec, exec, s[2:3]
	s_cbranch_execnz .LBB31_183
; %bb.184:
	s_or_b64 exec, exec, s[2:3]
.LBB31_185:
	s_or_b64 exec, exec, s[8:9]
	v_mov_b32_e32 v70, 0
	ds_read_b64 v[70:71], v70 offset:96
	s_waitcnt lgkmcnt(0)
	v_mul_f64 v[68:69], v[68:69], v[70:71]
	scratch_store_dwordx2 off, v[68:69], off offset:96
.LBB31_186:
	s_or_b64 exec, exec, s[4:5]
	scratch_load_dwordx2 v[68:69], off, off offset:88
	v_cmp_lt_u32_e64 s[2:3], 11, v0
	s_waitcnt vmcnt(0)
	ds_write_b64 v1, v[68:69]
	s_waitcnt lgkmcnt(0)
	; wave barrier
	s_and_saveexec_b64 s[4:5], s[2:3]
	s_cbranch_execz .LBB31_196
; %bb.187:
	s_andn2_b64 vcc, exec, s[6:7]
	s_cbranch_vccnz .LBB31_189
; %bb.188:
	scratch_load_dwordx2 v[68:69], v17, off
	ds_read_b64 v[70:71], v1
	s_waitcnt vmcnt(0) lgkmcnt(0)
	v_mul_f64 v[68:69], v[68:69], v[70:71]
	s_cbranch_execz .LBB31_190
	s_branch .LBB31_191
.LBB31_189:
                                        ; implicit-def: $vgpr68_vgpr69
.LBB31_190:
	ds_read_b64 v[68:69], v1
.LBB31_191:
	s_and_saveexec_b64 s[8:9], s[0:1]
	s_cbranch_execz .LBB31_195
; %bb.192:
	v_add_u32_e32 v70, -12, v0
	s_movk_i32 s16, 0x160
	s_mov_b64 s[0:1], 0
.LBB31_193:                             ; =>This Inner Loop Header: Depth=1
	scratch_load_dwordx2 v[72:73], off, s15
	v_mov_b32_e32 v71, s16
	ds_read_b64 v[74:75], v71
	v_add_u32_e32 v70, -1, v70
	s_add_i32 s16, s16, 8
	s_add_i32 s15, s15, 8
	v_cmp_eq_u32_e32 vcc, 0, v70
	s_or_b64 s[0:1], vcc, s[0:1]
	s_waitcnt vmcnt(0) lgkmcnt(0)
	v_fmac_f64_e32 v[68:69], v[72:73], v[74:75]
	s_andn2_b64 exec, exec, s[0:1]
	s_cbranch_execnz .LBB31_193
; %bb.194:
	s_or_b64 exec, exec, s[0:1]
.LBB31_195:
	s_or_b64 exec, exec, s[8:9]
	v_mov_b32_e32 v70, 0
	ds_read_b64 v[70:71], v70 offset:88
	s_waitcnt lgkmcnt(0)
	v_mul_f64 v[68:69], v[68:69], v[70:71]
	scratch_store_dwordx2 off, v[68:69], off offset:88
.LBB31_196:
	s_or_b64 exec, exec, s[4:5]
	scratch_load_dwordx2 v[68:69], off, off offset:80
	v_cmp_lt_u32_e64 s[0:1], 10, v0
	s_waitcnt vmcnt(0)
	ds_write_b64 v1, v[68:69]
	s_waitcnt lgkmcnt(0)
	; wave barrier
	s_and_saveexec_b64 s[4:5], s[0:1]
	s_cbranch_execz .LBB31_206
; %bb.197:
	s_andn2_b64 vcc, exec, s[6:7]
	s_cbranch_vccnz .LBB31_199
; %bb.198:
	scratch_load_dwordx2 v[68:69], v17, off
	ds_read_b64 v[70:71], v1
	s_waitcnt vmcnt(0) lgkmcnt(0)
	v_mul_f64 v[68:69], v[68:69], v[70:71]
	s_cbranch_execz .LBB31_200
	s_branch .LBB31_201
.LBB31_199:
                                        ; implicit-def: $vgpr68_vgpr69
.LBB31_200:
	ds_read_b64 v[68:69], v1
.LBB31_201:
	s_and_saveexec_b64 s[8:9], s[2:3]
	s_cbranch_execz .LBB31_205
; %bb.202:
	s_movk_i32 s15, 0x58
	v_add_u32_e32 v70, -11, v0
	s_movk_i32 s16, 0x158
	s_mov_b64 s[2:3], 0
.LBB31_203:                             ; =>This Inner Loop Header: Depth=1
	scratch_load_dwordx2 v[72:73], off, s15
	v_mov_b32_e32 v71, s16
	ds_read_b64 v[74:75], v71
	v_add_u32_e32 v70, -1, v70
	s_add_i32 s16, s16, 8
	s_add_i32 s15, s15, 8
	v_cmp_eq_u32_e32 vcc, 0, v70
	s_or_b64 s[2:3], vcc, s[2:3]
	s_waitcnt vmcnt(0) lgkmcnt(0)
	v_fmac_f64_e32 v[68:69], v[72:73], v[74:75]
	s_andn2_b64 exec, exec, s[2:3]
	s_cbranch_execnz .LBB31_203
; %bb.204:
	s_or_b64 exec, exec, s[2:3]
.LBB31_205:
	s_or_b64 exec, exec, s[8:9]
	v_mov_b32_e32 v70, 0
	ds_read_b64 v[70:71], v70 offset:80
	s_waitcnt lgkmcnt(0)
	v_mul_f64 v[68:69], v[68:69], v[70:71]
	scratch_store_dwordx2 off, v[68:69], off offset:80
.LBB31_206:
	s_or_b64 exec, exec, s[4:5]
	scratch_load_dwordx2 v[68:69], off, off offset:72
	v_cmp_lt_u32_e64 s[2:3], 9, v0
	s_waitcnt vmcnt(0)
	ds_write_b64 v1, v[68:69]
	s_waitcnt lgkmcnt(0)
	; wave barrier
	s_and_saveexec_b64 s[4:5], s[2:3]
	s_cbranch_execz .LBB31_216
; %bb.207:
	s_andn2_b64 vcc, exec, s[6:7]
	s_cbranch_vccnz .LBB31_209
; %bb.208:
	scratch_load_dwordx2 v[68:69], v17, off
	ds_read_b64 v[70:71], v1
	s_waitcnt vmcnt(0) lgkmcnt(0)
	v_mul_f64 v[68:69], v[68:69], v[70:71]
	s_cbranch_execz .LBB31_210
	s_branch .LBB31_211
.LBB31_209:
                                        ; implicit-def: $vgpr68_vgpr69
.LBB31_210:
	ds_read_b64 v[68:69], v1
.LBB31_211:
	s_and_saveexec_b64 s[8:9], s[0:1]
	s_cbranch_execz .LBB31_215
; %bb.212:
	v_add_u32_e32 v70, -10, v0
	s_movk_i32 s15, 0x150
	s_mov_b64 s[0:1], 0
.LBB31_213:                             ; =>This Inner Loop Header: Depth=1
	scratch_load_dwordx2 v[72:73], off, s14
	v_mov_b32_e32 v71, s15
	ds_read_b64 v[74:75], v71
	v_add_u32_e32 v70, -1, v70
	s_add_i32 s15, s15, 8
	s_add_i32 s14, s14, 8
	v_cmp_eq_u32_e32 vcc, 0, v70
	s_or_b64 s[0:1], vcc, s[0:1]
	s_waitcnt vmcnt(0) lgkmcnt(0)
	v_fmac_f64_e32 v[68:69], v[72:73], v[74:75]
	s_andn2_b64 exec, exec, s[0:1]
	s_cbranch_execnz .LBB31_213
; %bb.214:
	s_or_b64 exec, exec, s[0:1]
.LBB31_215:
	s_or_b64 exec, exec, s[8:9]
	v_mov_b32_e32 v70, 0
	ds_read_b64 v[70:71], v70 offset:72
	s_waitcnt lgkmcnt(0)
	v_mul_f64 v[68:69], v[68:69], v[70:71]
	scratch_store_dwordx2 off, v[68:69], off offset:72
.LBB31_216:
	s_or_b64 exec, exec, s[4:5]
	scratch_load_dwordx2 v[68:69], off, off offset:64
	v_cmp_lt_u32_e64 s[0:1], 8, v0
	s_waitcnt vmcnt(0)
	ds_write_b64 v1, v[68:69]
	s_waitcnt lgkmcnt(0)
	; wave barrier
	s_and_saveexec_b64 s[4:5], s[0:1]
	s_cbranch_execz .LBB31_226
; %bb.217:
	s_andn2_b64 vcc, exec, s[6:7]
	s_cbranch_vccnz .LBB31_219
; %bb.218:
	scratch_load_dwordx2 v[68:69], v17, off
	ds_read_b64 v[70:71], v1
	s_waitcnt vmcnt(0) lgkmcnt(0)
	v_mul_f64 v[68:69], v[68:69], v[70:71]
	s_cbranch_execz .LBB31_220
	s_branch .LBB31_221
.LBB31_219:
                                        ; implicit-def: $vgpr68_vgpr69
.LBB31_220:
	ds_read_b64 v[68:69], v1
.LBB31_221:
	s_and_saveexec_b64 s[8:9], s[2:3]
	s_cbranch_execz .LBB31_225
; %bb.222:
	s_movk_i32 s14, 0x48
	v_add_u32_e32 v70, -9, v0
	s_movk_i32 s15, 0x148
	s_mov_b64 s[2:3], 0
.LBB31_223:                             ; =>This Inner Loop Header: Depth=1
	scratch_load_dwordx2 v[72:73], off, s14
	v_mov_b32_e32 v71, s15
	ds_read_b64 v[74:75], v71
	v_add_u32_e32 v70, -1, v70
	s_add_i32 s15, s15, 8
	s_add_i32 s14, s14, 8
	v_cmp_eq_u32_e32 vcc, 0, v70
	s_or_b64 s[2:3], vcc, s[2:3]
	s_waitcnt vmcnt(0) lgkmcnt(0)
	v_fmac_f64_e32 v[68:69], v[72:73], v[74:75]
	s_andn2_b64 exec, exec, s[2:3]
	s_cbranch_execnz .LBB31_223
; %bb.224:
	s_or_b64 exec, exec, s[2:3]
.LBB31_225:
	s_or_b64 exec, exec, s[8:9]
	v_mov_b32_e32 v70, 0
	ds_read_b64 v[70:71], v70 offset:64
	s_waitcnt lgkmcnt(0)
	v_mul_f64 v[68:69], v[68:69], v[70:71]
	scratch_store_dwordx2 off, v[68:69], off offset:64
.LBB31_226:
	s_or_b64 exec, exec, s[4:5]
	scratch_load_dwordx2 v[68:69], off, off offset:56
	v_cmp_lt_u32_e64 s[2:3], 7, v0
	s_waitcnt vmcnt(0)
	ds_write_b64 v1, v[68:69]
	s_waitcnt lgkmcnt(0)
	; wave barrier
	s_and_saveexec_b64 s[4:5], s[2:3]
	s_cbranch_execz .LBB31_236
; %bb.227:
	s_andn2_b64 vcc, exec, s[6:7]
	s_cbranch_vccnz .LBB31_229
; %bb.228:
	scratch_load_dwordx2 v[68:69], v17, off
	ds_read_b64 v[70:71], v1
	s_waitcnt vmcnt(0) lgkmcnt(0)
	v_mul_f64 v[68:69], v[68:69], v[70:71]
	s_cbranch_execz .LBB31_230
	s_branch .LBB31_231
.LBB31_229:
                                        ; implicit-def: $vgpr68_vgpr69
.LBB31_230:
	ds_read_b64 v[68:69], v1
.LBB31_231:
	s_and_saveexec_b64 s[8:9], s[0:1]
	s_cbranch_execz .LBB31_235
; %bb.232:
	v_add_u32_e32 v70, -8, v0
	s_movk_i32 s14, 0x140
	s_mov_b64 s[0:1], 0
.LBB31_233:                             ; =>This Inner Loop Header: Depth=1
	scratch_load_dwordx2 v[72:73], off, s13
	v_mov_b32_e32 v71, s14
	ds_read_b64 v[74:75], v71
	v_add_u32_e32 v70, -1, v70
	s_add_i32 s14, s14, 8
	s_add_i32 s13, s13, 8
	v_cmp_eq_u32_e32 vcc, 0, v70
	s_or_b64 s[0:1], vcc, s[0:1]
	s_waitcnt vmcnt(0) lgkmcnt(0)
	v_fmac_f64_e32 v[68:69], v[72:73], v[74:75]
	s_andn2_b64 exec, exec, s[0:1]
	s_cbranch_execnz .LBB31_233
; %bb.234:
	s_or_b64 exec, exec, s[0:1]
.LBB31_235:
	s_or_b64 exec, exec, s[8:9]
	v_mov_b32_e32 v70, 0
	ds_read_b64 v[70:71], v70 offset:56
	s_waitcnt lgkmcnt(0)
	v_mul_f64 v[68:69], v[68:69], v[70:71]
	scratch_store_dwordx2 off, v[68:69], off offset:56
.LBB31_236:
	s_or_b64 exec, exec, s[4:5]
	scratch_load_dwordx2 v[68:69], off, off offset:48
	v_cmp_lt_u32_e64 s[0:1], 6, v0
	s_waitcnt vmcnt(0)
	ds_write_b64 v1, v[68:69]
	s_waitcnt lgkmcnt(0)
	; wave barrier
	s_and_saveexec_b64 s[4:5], s[0:1]
	s_cbranch_execz .LBB31_246
; %bb.237:
	s_andn2_b64 vcc, exec, s[6:7]
	s_cbranch_vccnz .LBB31_239
; %bb.238:
	scratch_load_dwordx2 v[68:69], v17, off
	ds_read_b64 v[70:71], v1
	s_waitcnt vmcnt(0) lgkmcnt(0)
	v_mul_f64 v[68:69], v[68:69], v[70:71]
	s_cbranch_execz .LBB31_240
	s_branch .LBB31_241
.LBB31_239:
                                        ; implicit-def: $vgpr68_vgpr69
.LBB31_240:
	ds_read_b64 v[68:69], v1
.LBB31_241:
	s_and_saveexec_b64 s[8:9], s[2:3]
	s_cbranch_execz .LBB31_245
; %bb.242:
	s_mov_b32 s13, 56
	v_add_u32_e32 v70, -7, v0
	s_movk_i32 s14, 0x138
	s_mov_b64 s[2:3], 0
.LBB31_243:                             ; =>This Inner Loop Header: Depth=1
	scratch_load_dwordx2 v[72:73], off, s13
	v_mov_b32_e32 v71, s14
	ds_read_b64 v[74:75], v71
	v_add_u32_e32 v70, -1, v70
	s_add_i32 s14, s14, 8
	s_add_i32 s13, s13, 8
	v_cmp_eq_u32_e32 vcc, 0, v70
	s_or_b64 s[2:3], vcc, s[2:3]
	s_waitcnt vmcnt(0) lgkmcnt(0)
	v_fmac_f64_e32 v[68:69], v[72:73], v[74:75]
	s_andn2_b64 exec, exec, s[2:3]
	s_cbranch_execnz .LBB31_243
; %bb.244:
	s_or_b64 exec, exec, s[2:3]
.LBB31_245:
	s_or_b64 exec, exec, s[8:9]
	v_mov_b32_e32 v70, 0
	ds_read_b64 v[70:71], v70 offset:48
	s_waitcnt lgkmcnt(0)
	v_mul_f64 v[68:69], v[68:69], v[70:71]
	scratch_store_dwordx2 off, v[68:69], off offset:48
.LBB31_246:
	s_or_b64 exec, exec, s[4:5]
	scratch_load_dwordx2 v[68:69], off, off offset:40
	v_cmp_lt_u32_e64 s[2:3], 5, v0
	s_waitcnt vmcnt(0)
	ds_write_b64 v1, v[68:69]
	s_waitcnt lgkmcnt(0)
	; wave barrier
	s_and_saveexec_b64 s[4:5], s[2:3]
	s_cbranch_execz .LBB31_256
; %bb.247:
	s_andn2_b64 vcc, exec, s[6:7]
	s_cbranch_vccnz .LBB31_249
; %bb.248:
	scratch_load_dwordx2 v[68:69], v17, off
	ds_read_b64 v[70:71], v1
	s_waitcnt vmcnt(0) lgkmcnt(0)
	v_mul_f64 v[68:69], v[68:69], v[70:71]
	s_cbranch_execz .LBB31_250
	s_branch .LBB31_251
.LBB31_249:
                                        ; implicit-def: $vgpr68_vgpr69
.LBB31_250:
	ds_read_b64 v[68:69], v1
.LBB31_251:
	s_and_saveexec_b64 s[8:9], s[0:1]
	s_cbranch_execz .LBB31_255
; %bb.252:
	v_add_u32_e32 v70, -6, v0
	s_movk_i32 s13, 0x130
	s_mov_b64 s[0:1], 0
.LBB31_253:                             ; =>This Inner Loop Header: Depth=1
	scratch_load_dwordx2 v[72:73], off, s12
	v_mov_b32_e32 v71, s13
	ds_read_b64 v[74:75], v71
	v_add_u32_e32 v70, -1, v70
	s_add_i32 s13, s13, 8
	s_add_i32 s12, s12, 8
	v_cmp_eq_u32_e32 vcc, 0, v70
	s_or_b64 s[0:1], vcc, s[0:1]
	s_waitcnt vmcnt(0) lgkmcnt(0)
	v_fmac_f64_e32 v[68:69], v[72:73], v[74:75]
	s_andn2_b64 exec, exec, s[0:1]
	s_cbranch_execnz .LBB31_253
; %bb.254:
	s_or_b64 exec, exec, s[0:1]
.LBB31_255:
	s_or_b64 exec, exec, s[8:9]
	v_mov_b32_e32 v70, 0
	ds_read_b64 v[70:71], v70 offset:40
	s_waitcnt lgkmcnt(0)
	v_mul_f64 v[68:69], v[68:69], v[70:71]
	scratch_store_dwordx2 off, v[68:69], off offset:40
.LBB31_256:
	s_or_b64 exec, exec, s[4:5]
	scratch_load_dwordx2 v[68:69], off, off offset:32
	v_cmp_lt_u32_e64 s[0:1], 4, v0
	s_waitcnt vmcnt(0)
	ds_write_b64 v1, v[68:69]
	s_waitcnt lgkmcnt(0)
	; wave barrier
	s_and_saveexec_b64 s[4:5], s[0:1]
	s_cbranch_execz .LBB31_266
; %bb.257:
	s_andn2_b64 vcc, exec, s[6:7]
	s_cbranch_vccnz .LBB31_259
; %bb.258:
	scratch_load_dwordx2 v[68:69], v17, off
	ds_read_b64 v[70:71], v1
	s_waitcnt vmcnt(0) lgkmcnt(0)
	v_mul_f64 v[68:69], v[68:69], v[70:71]
	s_cbranch_execz .LBB31_260
	s_branch .LBB31_261
.LBB31_259:
                                        ; implicit-def: $vgpr68_vgpr69
.LBB31_260:
	ds_read_b64 v[68:69], v1
.LBB31_261:
	s_and_saveexec_b64 s[8:9], s[2:3]
	s_cbranch_execz .LBB31_265
; %bb.262:
	s_mov_b32 s12, 40
	v_add_u32_e32 v70, -5, v0
	s_movk_i32 s13, 0x128
	s_mov_b64 s[2:3], 0
.LBB31_263:                             ; =>This Inner Loop Header: Depth=1
	scratch_load_dwordx2 v[72:73], off, s12
	v_mov_b32_e32 v71, s13
	ds_read_b64 v[74:75], v71
	v_add_u32_e32 v70, -1, v70
	s_add_i32 s13, s13, 8
	s_add_i32 s12, s12, 8
	v_cmp_eq_u32_e32 vcc, 0, v70
	s_or_b64 s[2:3], vcc, s[2:3]
	s_waitcnt vmcnt(0) lgkmcnt(0)
	v_fmac_f64_e32 v[68:69], v[72:73], v[74:75]
	s_andn2_b64 exec, exec, s[2:3]
	s_cbranch_execnz .LBB31_263
; %bb.264:
	s_or_b64 exec, exec, s[2:3]
.LBB31_265:
	s_or_b64 exec, exec, s[8:9]
	v_mov_b32_e32 v70, 0
	ds_read_b64 v[70:71], v70 offset:32
	s_waitcnt lgkmcnt(0)
	v_mul_f64 v[68:69], v[68:69], v[70:71]
	scratch_store_dwordx2 off, v[68:69], off offset:32
.LBB31_266:
	s_or_b64 exec, exec, s[4:5]
	scratch_load_dwordx2 v[68:69], off, off offset:24
	v_cmp_lt_u32_e64 s[2:3], 3, v0
	s_waitcnt vmcnt(0)
	ds_write_b64 v1, v[68:69]
	s_waitcnt lgkmcnt(0)
	; wave barrier
	s_and_saveexec_b64 s[4:5], s[2:3]
	s_cbranch_execz .LBB31_276
; %bb.267:
	s_andn2_b64 vcc, exec, s[6:7]
	s_cbranch_vccnz .LBB31_269
; %bb.268:
	scratch_load_dwordx2 v[68:69], v17, off
	ds_read_b64 v[70:71], v1
	s_waitcnt vmcnt(0) lgkmcnt(0)
	v_mul_f64 v[68:69], v[68:69], v[70:71]
	s_cbranch_execz .LBB31_270
	s_branch .LBB31_271
.LBB31_269:
                                        ; implicit-def: $vgpr68_vgpr69
.LBB31_270:
	ds_read_b64 v[68:69], v1
.LBB31_271:
	s_and_saveexec_b64 s[8:9], s[0:1]
	s_cbranch_execz .LBB31_275
; %bb.272:
	v_add_u32_e32 v70, -4, v0
	s_movk_i32 s12, 0x120
	s_mov_b64 s[0:1], 0
.LBB31_273:                             ; =>This Inner Loop Header: Depth=1
	scratch_load_dwordx2 v[72:73], off, s11
	v_mov_b32_e32 v71, s12
	ds_read_b64 v[74:75], v71
	v_add_u32_e32 v70, -1, v70
	s_add_i32 s12, s12, 8
	s_add_i32 s11, s11, 8
	v_cmp_eq_u32_e32 vcc, 0, v70
	s_or_b64 s[0:1], vcc, s[0:1]
	s_waitcnt vmcnt(0) lgkmcnt(0)
	v_fmac_f64_e32 v[68:69], v[72:73], v[74:75]
	s_andn2_b64 exec, exec, s[0:1]
	s_cbranch_execnz .LBB31_273
; %bb.274:
	s_or_b64 exec, exec, s[0:1]
.LBB31_275:
	s_or_b64 exec, exec, s[8:9]
	v_mov_b32_e32 v70, 0
	ds_read_b64 v[70:71], v70 offset:24
	s_waitcnt lgkmcnt(0)
	v_mul_f64 v[68:69], v[68:69], v[70:71]
	scratch_store_dwordx2 off, v[68:69], off offset:24
.LBB31_276:
	s_or_b64 exec, exec, s[4:5]
	scratch_load_dwordx2 v[68:69], off, off offset:16
	v_cmp_lt_u32_e64 s[0:1], 2, v0
	s_waitcnt vmcnt(0)
	ds_write_b64 v1, v[68:69]
	s_waitcnt lgkmcnt(0)
	; wave barrier
	s_and_saveexec_b64 s[4:5], s[0:1]
	s_cbranch_execz .LBB31_286
; %bb.277:
	s_andn2_b64 vcc, exec, s[6:7]
	s_cbranch_vccnz .LBB31_279
; %bb.278:
	scratch_load_dwordx2 v[68:69], v17, off
	ds_read_b64 v[70:71], v1
	s_waitcnt vmcnt(0) lgkmcnt(0)
	v_mul_f64 v[68:69], v[68:69], v[70:71]
	s_cbranch_execz .LBB31_280
	s_branch .LBB31_281
.LBB31_279:
                                        ; implicit-def: $vgpr68_vgpr69
.LBB31_280:
	ds_read_b64 v[68:69], v1
.LBB31_281:
	s_and_saveexec_b64 s[8:9], s[2:3]
	s_cbranch_execz .LBB31_285
; %bb.282:
	s_mov_b32 s11, 24
	v_add_u32_e32 v70, -3, v0
	s_movk_i32 s12, 0x118
	s_mov_b64 s[2:3], 0
.LBB31_283:                             ; =>This Inner Loop Header: Depth=1
	scratch_load_dwordx2 v[72:73], off, s11
	v_mov_b32_e32 v71, s12
	ds_read_b64 v[74:75], v71
	v_add_u32_e32 v70, -1, v70
	s_add_i32 s12, s12, 8
	s_add_i32 s11, s11, 8
	v_cmp_eq_u32_e32 vcc, 0, v70
	s_or_b64 s[2:3], vcc, s[2:3]
	s_waitcnt vmcnt(0) lgkmcnt(0)
	v_fmac_f64_e32 v[68:69], v[72:73], v[74:75]
	s_andn2_b64 exec, exec, s[2:3]
	s_cbranch_execnz .LBB31_283
; %bb.284:
	s_or_b64 exec, exec, s[2:3]
.LBB31_285:
	s_or_b64 exec, exec, s[8:9]
	v_mov_b32_e32 v70, 0
	ds_read_b64 v[70:71], v70 offset:16
	s_waitcnt lgkmcnt(0)
	v_mul_f64 v[68:69], v[68:69], v[70:71]
	scratch_store_dwordx2 off, v[68:69], off offset:16
.LBB31_286:
	s_or_b64 exec, exec, s[4:5]
	scratch_load_dwordx2 v[68:69], off, off offset:8
	v_cmp_lt_u32_e64 s[2:3], 1, v0
	s_waitcnt vmcnt(0)
	ds_write_b64 v1, v[68:69]
	s_waitcnt lgkmcnt(0)
	; wave barrier
	s_and_saveexec_b64 s[4:5], s[2:3]
	s_cbranch_execz .LBB31_296
; %bb.287:
	s_andn2_b64 vcc, exec, s[6:7]
	s_cbranch_vccnz .LBB31_289
; %bb.288:
	scratch_load_dwordx2 v[68:69], v17, off
	ds_read_b64 v[70:71], v1
	s_waitcnt vmcnt(0) lgkmcnt(0)
	v_mul_f64 v[68:69], v[68:69], v[70:71]
	s_cbranch_execz .LBB31_290
	s_branch .LBB31_291
.LBB31_289:
                                        ; implicit-def: $vgpr68_vgpr69
.LBB31_290:
	ds_read_b64 v[68:69], v1
.LBB31_291:
	s_and_saveexec_b64 s[8:9], s[0:1]
	s_cbranch_execz .LBB31_295
; %bb.292:
	v_add_u32_e32 v70, -2, v0
	s_movk_i32 s11, 0x110
	s_mov_b64 s[0:1], 0
.LBB31_293:                             ; =>This Inner Loop Header: Depth=1
	scratch_load_dwordx2 v[72:73], off, s10
	v_mov_b32_e32 v71, s11
	ds_read_b64 v[74:75], v71
	v_add_u32_e32 v70, -1, v70
	s_add_i32 s11, s11, 8
	s_add_i32 s10, s10, 8
	v_cmp_eq_u32_e32 vcc, 0, v70
	s_or_b64 s[0:1], vcc, s[0:1]
	s_waitcnt vmcnt(0) lgkmcnt(0)
	v_fmac_f64_e32 v[68:69], v[72:73], v[74:75]
	s_andn2_b64 exec, exec, s[0:1]
	s_cbranch_execnz .LBB31_293
; %bb.294:
	s_or_b64 exec, exec, s[0:1]
.LBB31_295:
	s_or_b64 exec, exec, s[8:9]
	v_mov_b32_e32 v70, 0
	ds_read_b64 v[70:71], v70 offset:8
	s_waitcnt lgkmcnt(0)
	v_mul_f64 v[68:69], v[68:69], v[70:71]
	scratch_store_dwordx2 off, v[68:69], off offset:8
.LBB31_296:
	s_or_b64 exec, exec, s[4:5]
	scratch_load_dwordx2 v[68:69], off, off
	v_cmp_ne_u32_e32 vcc, 0, v0
	s_waitcnt vmcnt(0)
	ds_write_b64 v1, v[68:69]
	s_waitcnt lgkmcnt(0)
	; wave barrier
	s_and_saveexec_b64 s[0:1], vcc
	s_cbranch_execz .LBB31_306
; %bb.297:
	s_andn2_b64 vcc, exec, s[6:7]
	s_cbranch_vccnz .LBB31_299
; %bb.298:
	scratch_load_dwordx2 v[68:69], v17, off
	ds_read_b64 v[70:71], v1
	s_waitcnt vmcnt(0) lgkmcnt(0)
	v_mul_f64 v[68:69], v[68:69], v[70:71]
	s_cbranch_execz .LBB31_300
	s_branch .LBB31_301
.LBB31_299:
                                        ; implicit-def: $vgpr68_vgpr69
.LBB31_300:
	ds_read_b64 v[68:69], v1
.LBB31_301:
	s_and_saveexec_b64 s[4:5], s[2:3]
	s_cbranch_execz .LBB31_305
; %bb.302:
	s_or_b32 s8, 0, 8
	v_add_u32_e32 v70, -1, v0
	s_movk_i32 s9, 0x108
	s_mov_b64 s[2:3], 0
.LBB31_303:                             ; =>This Inner Loop Header: Depth=1
	scratch_load_dwordx2 v[72:73], off, s8
	v_mov_b32_e32 v71, s9
	ds_read_b64 v[74:75], v71
	v_add_u32_e32 v70, -1, v70
	s_add_i32 s9, s9, 8
	s_add_i32 s8, s8, 8
	v_cmp_eq_u32_e32 vcc, 0, v70
	s_or_b64 s[2:3], vcc, s[2:3]
	s_waitcnt vmcnt(0) lgkmcnt(0)
	v_fmac_f64_e32 v[68:69], v[72:73], v[74:75]
	s_andn2_b64 exec, exec, s[2:3]
	s_cbranch_execnz .LBB31_303
; %bb.304:
	s_or_b64 exec, exec, s[2:3]
.LBB31_305:
	s_or_b64 exec, exec, s[4:5]
	v_mov_b32_e32 v70, 0
	ds_read_b64 v[70:71], v70
	s_waitcnt lgkmcnt(0)
	v_mul_f64 v[68:69], v[68:69], v[70:71]
	scratch_store_dwordx2 off, v[68:69], off
.LBB31_306:
	s_or_b64 exec, exec, s[0:1]
	s_mov_b64 s[0:1], 0
.LBB31_307:
	s_and_b64 vcc, exec, s[0:1]
	s_cbranch_vccz .LBB31_609
; %bb.308:
	scratch_load_dwordx2 v[68:69], off, off offset:8
	v_cmp_eq_u32_e64 s[2:3], 0, v0
	s_waitcnt vmcnt(0)
	ds_write_b64 v1, v[68:69]
	s_waitcnt lgkmcnt(0)
	; wave barrier
	s_and_saveexec_b64 s[0:1], s[2:3]
	s_cbranch_execz .LBB31_314
; %bb.309:
	s_and_b64 vcc, exec, s[6:7]
	s_cbranch_vccz .LBB31_311
; %bb.310:
	scratch_load_dwordx2 v[68:69], v17, off
	ds_read_b64 v[70:71], v1
	s_waitcnt vmcnt(0) lgkmcnt(0)
	v_mul_f64 v[68:69], v[68:69], v[70:71]
	s_cbranch_execz .LBB31_312
	s_branch .LBB31_313
.LBB31_311:
                                        ; implicit-def: $vgpr68_vgpr69
.LBB31_312:
	ds_read_b64 v[68:69], v1
.LBB31_313:
	v_mov_b32_e32 v70, 0
	ds_read_b64 v[70:71], v70 offset:8
	s_waitcnt lgkmcnt(0)
	v_mul_f64 v[68:69], v[68:69], v[70:71]
	scratch_store_dwordx2 off, v[68:69], off offset:8
.LBB31_314:
	s_or_b64 exec, exec, s[0:1]
	scratch_load_dwordx2 v[68:69], off, off offset:16
	v_cndmask_b32_e64 v70, 0, 1, s[6:7]
	v_cmp_gt_u32_e32 vcc, 2, v0
	v_cmp_ne_u32_e64 s[0:1], 1, v70
	s_waitcnt vmcnt(0)
	ds_write_b64 v1, v[68:69]
	s_waitcnt lgkmcnt(0)
	; wave barrier
	s_and_saveexec_b64 s[4:5], vcc
	s_cbranch_execz .LBB31_320
; %bb.315:
	s_and_b64 vcc, exec, s[0:1]
	s_cbranch_vccnz .LBB31_317
; %bb.316:
	scratch_load_dwordx2 v[68:69], v17, off
	ds_read_b64 v[70:71], v1
	s_waitcnt vmcnt(0) lgkmcnt(0)
	v_mul_f64 v[68:69], v[68:69], v[70:71]
	s_cbranch_execz .LBB31_318
	s_branch .LBB31_319
.LBB31_317:
                                        ; implicit-def: $vgpr68_vgpr69
.LBB31_318:
	ds_read_b64 v[68:69], v1
.LBB31_319:
	scratch_load_dwordx2 v[74:75], off, off offset:8
	v_mov_b32_e32 v70, 0
	ds_read2_b64 v[70:73], v70 offset0:2 offset1:33
	s_waitcnt vmcnt(0) lgkmcnt(0)
	v_fma_f64 v[72:73], v[74:75], v[72:73], v[68:69]
	v_cndmask_b32_e64 v69, v69, v73, s[2:3]
	v_cndmask_b32_e64 v68, v68, v72, s[2:3]
	v_mul_f64 v[68:69], v[68:69], v[70:71]
	scratch_store_dwordx2 off, v[68:69], off offset:16
.LBB31_320:
	s_or_b64 exec, exec, s[4:5]
	scratch_load_dwordx2 v[68:69], off, off offset:24
	v_cmp_gt_u32_e32 vcc, 3, v0
	s_waitcnt vmcnt(0)
	ds_write_b64 v1, v[68:69]
	s_waitcnt lgkmcnt(0)
	; wave barrier
	s_and_saveexec_b64 s[4:5], vcc
	s_cbranch_execz .LBB31_328
; %bb.321:
	s_and_b64 vcc, exec, s[0:1]
	s_cbranch_vccnz .LBB31_323
; %bb.322:
	scratch_load_dwordx2 v[68:69], v17, off
	ds_read_b64 v[70:71], v1
	s_waitcnt vmcnt(0) lgkmcnt(0)
	v_mul_f64 v[68:69], v[68:69], v[70:71]
	s_cbranch_execz .LBB31_324
	s_branch .LBB31_325
.LBB31_323:
                                        ; implicit-def: $vgpr68_vgpr69
.LBB31_324:
	ds_read_b64 v[68:69], v1
.LBB31_325:
	v_cmp_ne_u32_e32 vcc, 2, v0
	s_and_saveexec_b64 s[6:7], vcc
	s_cbranch_execz .LBB31_327
; %bb.326:
	scratch_load_dwordx2 v[70:71], v17, off offset:8
	scratch_load_dwordx2 v[72:73], off, off offset:16
	ds_read_b64 v[74:75], v1 offset:8
	v_mov_b32_e32 v76, 0
	ds_read_b64 v[76:77], v76 offset:272
	s_waitcnt vmcnt(1) lgkmcnt(1)
	v_fmac_f64_e32 v[68:69], v[70:71], v[74:75]
	s_waitcnt vmcnt(0) lgkmcnt(0)
	v_fma_f64 v[70:71], v[72:73], v[76:77], v[68:69]
	v_cndmask_b32_e64 v69, v69, v71, s[2:3]
	v_cndmask_b32_e64 v68, v68, v70, s[2:3]
.LBB31_327:
	s_or_b64 exec, exec, s[6:7]
	v_mov_b32_e32 v70, 0
	ds_read_b64 v[70:71], v70 offset:24
	s_waitcnt lgkmcnt(0)
	v_mul_f64 v[68:69], v[68:69], v[70:71]
	scratch_store_dwordx2 off, v[68:69], off offset:24
.LBB31_328:
	s_or_b64 exec, exec, s[4:5]
	scratch_load_dwordx2 v[68:69], off, off offset:32
	v_cmp_gt_u32_e32 vcc, 4, v0
	s_waitcnt vmcnt(0)
	ds_write_b64 v1, v[68:69]
	s_waitcnt lgkmcnt(0)
	; wave barrier
	s_and_saveexec_b64 s[2:3], vcc
	s_cbranch_execz .LBB31_338
; %bb.329:
	s_and_b64 vcc, exec, s[0:1]
	s_cbranch_vccnz .LBB31_331
; %bb.330:
	scratch_load_dwordx2 v[68:69], v17, off
	ds_read_b64 v[70:71], v1
	s_waitcnt vmcnt(0) lgkmcnt(0)
	v_mul_f64 v[68:69], v[68:69], v[70:71]
	s_cbranch_execz .LBB31_332
	s_branch .LBB31_333
.LBB31_331:
                                        ; implicit-def: $vgpr68_vgpr69
.LBB31_332:
	ds_read_b64 v[68:69], v1
.LBB31_333:
	v_cmp_ne_u32_e32 vcc, 3, v0
	s_and_saveexec_b64 s[4:5], vcc
	s_cbranch_execz .LBB31_337
; %bb.334:
	s_mov_b32 s6, 0
	v_add_u32_e32 v70, 0x108, v16
	v_add3_u32 v71, v16, s6, 8
	s_mov_b64 s[6:7], 0
	v_mov_b32_e32 v72, v0
.LBB31_335:                             ; =>This Inner Loop Header: Depth=1
	scratch_load_dwordx2 v[74:75], v71, off
	ds_read_b64 v[76:77], v70
	v_add_u32_e32 v72, 1, v72
	v_cmp_lt_u32_e32 vcc, 2, v72
	v_add_u32_e32 v70, 8, v70
	v_add_u32_e32 v71, 8, v71
	s_or_b64 s[6:7], vcc, s[6:7]
	s_waitcnt vmcnt(0) lgkmcnt(0)
	v_fmac_f64_e32 v[68:69], v[74:75], v[76:77]
	s_andn2_b64 exec, exec, s[6:7]
	s_cbranch_execnz .LBB31_335
; %bb.336:
	s_or_b64 exec, exec, s[6:7]
.LBB31_337:
	s_or_b64 exec, exec, s[4:5]
	v_mov_b32_e32 v70, 0
	ds_read_b64 v[70:71], v70 offset:32
	s_waitcnt lgkmcnt(0)
	v_mul_f64 v[68:69], v[68:69], v[70:71]
	scratch_store_dwordx2 off, v[68:69], off offset:32
.LBB31_338:
	s_or_b64 exec, exec, s[2:3]
	scratch_load_dwordx2 v[68:69], off, off offset:40
	v_cmp_gt_u32_e32 vcc, 5, v0
	s_waitcnt vmcnt(0)
	ds_write_b64 v1, v[68:69]
	s_waitcnt lgkmcnt(0)
	; wave barrier
	s_and_saveexec_b64 s[2:3], vcc
	s_cbranch_execz .LBB31_348
; %bb.339:
	s_and_b64 vcc, exec, s[0:1]
	s_cbranch_vccnz .LBB31_341
; %bb.340:
	scratch_load_dwordx2 v[68:69], v17, off
	ds_read_b64 v[70:71], v1
	s_waitcnt vmcnt(0) lgkmcnt(0)
	v_mul_f64 v[68:69], v[68:69], v[70:71]
	s_cbranch_execz .LBB31_342
	s_branch .LBB31_343
.LBB31_341:
                                        ; implicit-def: $vgpr68_vgpr69
.LBB31_342:
	ds_read_b64 v[68:69], v1
.LBB31_343:
	v_cmp_ne_u32_e32 vcc, 4, v0
	s_and_saveexec_b64 s[4:5], vcc
	s_cbranch_execz .LBB31_347
; %bb.344:
	s_mov_b32 s6, 0
	v_add_u32_e32 v70, 0x108, v16
	v_add3_u32 v71, v16, s6, 8
	s_mov_b64 s[6:7], 0
	v_mov_b32_e32 v72, v0
.LBB31_345:                             ; =>This Inner Loop Header: Depth=1
	scratch_load_dwordx2 v[74:75], v71, off
	ds_read_b64 v[76:77], v70
	v_add_u32_e32 v72, 1, v72
	v_cmp_lt_u32_e32 vcc, 3, v72
	v_add_u32_e32 v70, 8, v70
	v_add_u32_e32 v71, 8, v71
	s_or_b64 s[6:7], vcc, s[6:7]
	s_waitcnt vmcnt(0) lgkmcnt(0)
	v_fmac_f64_e32 v[68:69], v[74:75], v[76:77]
	s_andn2_b64 exec, exec, s[6:7]
	s_cbranch_execnz .LBB31_345
; %bb.346:
	s_or_b64 exec, exec, s[6:7]
.LBB31_347:
	s_or_b64 exec, exec, s[4:5]
	v_mov_b32_e32 v70, 0
	ds_read_b64 v[70:71], v70 offset:40
	s_waitcnt lgkmcnt(0)
	v_mul_f64 v[68:69], v[68:69], v[70:71]
	scratch_store_dwordx2 off, v[68:69], off offset:40
.LBB31_348:
	s_or_b64 exec, exec, s[2:3]
	scratch_load_dwordx2 v[68:69], off, off offset:48
	v_cmp_gt_u32_e32 vcc, 6, v0
	s_waitcnt vmcnt(0)
	ds_write_b64 v1, v[68:69]
	s_waitcnt lgkmcnt(0)
	; wave barrier
	s_and_saveexec_b64 s[2:3], vcc
	s_cbranch_execz .LBB31_358
; %bb.349:
	s_and_b64 vcc, exec, s[0:1]
	s_cbranch_vccnz .LBB31_351
; %bb.350:
	scratch_load_dwordx2 v[68:69], v17, off
	ds_read_b64 v[70:71], v1
	s_waitcnt vmcnt(0) lgkmcnt(0)
	v_mul_f64 v[68:69], v[68:69], v[70:71]
	s_cbranch_execz .LBB31_352
	s_branch .LBB31_353
.LBB31_351:
                                        ; implicit-def: $vgpr68_vgpr69
.LBB31_352:
	ds_read_b64 v[68:69], v1
.LBB31_353:
	v_cmp_ne_u32_e32 vcc, 5, v0
	s_and_saveexec_b64 s[4:5], vcc
	s_cbranch_execz .LBB31_357
; %bb.354:
	s_mov_b32 s6, 0
	v_add_u32_e32 v70, 0x108, v16
	v_add3_u32 v71, v16, s6, 8
	s_mov_b64 s[6:7], 0
	v_mov_b32_e32 v72, v0
.LBB31_355:                             ; =>This Inner Loop Header: Depth=1
	scratch_load_dwordx2 v[74:75], v71, off
	ds_read_b64 v[76:77], v70
	v_add_u32_e32 v72, 1, v72
	v_cmp_lt_u32_e32 vcc, 4, v72
	v_add_u32_e32 v70, 8, v70
	v_add_u32_e32 v71, 8, v71
	s_or_b64 s[6:7], vcc, s[6:7]
	s_waitcnt vmcnt(0) lgkmcnt(0)
	v_fmac_f64_e32 v[68:69], v[74:75], v[76:77]
	s_andn2_b64 exec, exec, s[6:7]
	s_cbranch_execnz .LBB31_355
; %bb.356:
	s_or_b64 exec, exec, s[6:7]
.LBB31_357:
	s_or_b64 exec, exec, s[4:5]
	v_mov_b32_e32 v70, 0
	ds_read_b64 v[70:71], v70 offset:48
	s_waitcnt lgkmcnt(0)
	v_mul_f64 v[68:69], v[68:69], v[70:71]
	scratch_store_dwordx2 off, v[68:69], off offset:48
.LBB31_358:
	s_or_b64 exec, exec, s[2:3]
	scratch_load_dwordx2 v[68:69], off, off offset:56
	v_cmp_gt_u32_e32 vcc, 7, v0
	s_waitcnt vmcnt(0)
	ds_write_b64 v1, v[68:69]
	s_waitcnt lgkmcnt(0)
	; wave barrier
	s_and_saveexec_b64 s[2:3], vcc
	s_cbranch_execz .LBB31_368
; %bb.359:
	s_and_b64 vcc, exec, s[0:1]
	s_cbranch_vccnz .LBB31_361
; %bb.360:
	scratch_load_dwordx2 v[68:69], v17, off
	ds_read_b64 v[70:71], v1
	s_waitcnt vmcnt(0) lgkmcnt(0)
	v_mul_f64 v[68:69], v[68:69], v[70:71]
	s_cbranch_execz .LBB31_362
	s_branch .LBB31_363
.LBB31_361:
                                        ; implicit-def: $vgpr68_vgpr69
.LBB31_362:
	ds_read_b64 v[68:69], v1
.LBB31_363:
	v_cmp_ne_u32_e32 vcc, 6, v0
	s_and_saveexec_b64 s[4:5], vcc
	s_cbranch_execz .LBB31_367
; %bb.364:
	s_mov_b32 s6, 0
	v_add_u32_e32 v70, 0x108, v16
	v_add3_u32 v71, v16, s6, 8
	s_mov_b64 s[6:7], 0
	v_mov_b32_e32 v72, v0
.LBB31_365:                             ; =>This Inner Loop Header: Depth=1
	scratch_load_dwordx2 v[74:75], v71, off
	ds_read_b64 v[76:77], v70
	v_add_u32_e32 v72, 1, v72
	v_cmp_lt_u32_e32 vcc, 5, v72
	v_add_u32_e32 v70, 8, v70
	v_add_u32_e32 v71, 8, v71
	s_or_b64 s[6:7], vcc, s[6:7]
	s_waitcnt vmcnt(0) lgkmcnt(0)
	v_fmac_f64_e32 v[68:69], v[74:75], v[76:77]
	s_andn2_b64 exec, exec, s[6:7]
	s_cbranch_execnz .LBB31_365
; %bb.366:
	s_or_b64 exec, exec, s[6:7]
.LBB31_367:
	s_or_b64 exec, exec, s[4:5]
	v_mov_b32_e32 v70, 0
	ds_read_b64 v[70:71], v70 offset:56
	s_waitcnt lgkmcnt(0)
	v_mul_f64 v[68:69], v[68:69], v[70:71]
	scratch_store_dwordx2 off, v[68:69], off offset:56
.LBB31_368:
	s_or_b64 exec, exec, s[2:3]
	scratch_load_dwordx2 v[68:69], off, off offset:64
	v_cmp_gt_u32_e32 vcc, 8, v0
	s_waitcnt vmcnt(0)
	ds_write_b64 v1, v[68:69]
	s_waitcnt lgkmcnt(0)
	; wave barrier
	s_and_saveexec_b64 s[2:3], vcc
	s_cbranch_execz .LBB31_378
; %bb.369:
	s_and_b64 vcc, exec, s[0:1]
	s_cbranch_vccnz .LBB31_371
; %bb.370:
	scratch_load_dwordx2 v[68:69], v17, off
	ds_read_b64 v[70:71], v1
	s_waitcnt vmcnt(0) lgkmcnt(0)
	v_mul_f64 v[68:69], v[68:69], v[70:71]
	s_cbranch_execz .LBB31_372
	s_branch .LBB31_373
.LBB31_371:
                                        ; implicit-def: $vgpr68_vgpr69
.LBB31_372:
	ds_read_b64 v[68:69], v1
.LBB31_373:
	v_cmp_ne_u32_e32 vcc, 7, v0
	s_and_saveexec_b64 s[4:5], vcc
	s_cbranch_execz .LBB31_377
; %bb.374:
	s_mov_b32 s6, 0
	v_add_u32_e32 v70, 0x108, v16
	v_add3_u32 v71, v16, s6, 8
	s_mov_b64 s[6:7], 0
	v_mov_b32_e32 v72, v0
.LBB31_375:                             ; =>This Inner Loop Header: Depth=1
	scratch_load_dwordx2 v[74:75], v71, off
	ds_read_b64 v[76:77], v70
	v_add_u32_e32 v72, 1, v72
	v_cmp_lt_u32_e32 vcc, 6, v72
	v_add_u32_e32 v70, 8, v70
	v_add_u32_e32 v71, 8, v71
	s_or_b64 s[6:7], vcc, s[6:7]
	s_waitcnt vmcnt(0) lgkmcnt(0)
	v_fmac_f64_e32 v[68:69], v[74:75], v[76:77]
	s_andn2_b64 exec, exec, s[6:7]
	s_cbranch_execnz .LBB31_375
; %bb.376:
	s_or_b64 exec, exec, s[6:7]
.LBB31_377:
	s_or_b64 exec, exec, s[4:5]
	v_mov_b32_e32 v70, 0
	ds_read_b64 v[70:71], v70 offset:64
	s_waitcnt lgkmcnt(0)
	v_mul_f64 v[68:69], v[68:69], v[70:71]
	scratch_store_dwordx2 off, v[68:69], off offset:64
.LBB31_378:
	s_or_b64 exec, exec, s[2:3]
	scratch_load_dwordx2 v[68:69], off, off offset:72
	v_cmp_gt_u32_e32 vcc, 9, v0
	s_waitcnt vmcnt(0)
	ds_write_b64 v1, v[68:69]
	s_waitcnt lgkmcnt(0)
	; wave barrier
	s_and_saveexec_b64 s[2:3], vcc
	s_cbranch_execz .LBB31_388
; %bb.379:
	s_and_b64 vcc, exec, s[0:1]
	s_cbranch_vccnz .LBB31_381
; %bb.380:
	scratch_load_dwordx2 v[68:69], v17, off
	ds_read_b64 v[70:71], v1
	s_waitcnt vmcnt(0) lgkmcnt(0)
	v_mul_f64 v[68:69], v[68:69], v[70:71]
	s_cbranch_execz .LBB31_382
	s_branch .LBB31_383
.LBB31_381:
                                        ; implicit-def: $vgpr68_vgpr69
.LBB31_382:
	ds_read_b64 v[68:69], v1
.LBB31_383:
	v_cmp_ne_u32_e32 vcc, 8, v0
	s_and_saveexec_b64 s[4:5], vcc
	s_cbranch_execz .LBB31_387
; %bb.384:
	s_mov_b32 s6, 0
	v_add_u32_e32 v70, 0x108, v16
	v_add3_u32 v71, v16, s6, 8
	s_mov_b64 s[6:7], 0
	v_mov_b32_e32 v72, v0
.LBB31_385:                             ; =>This Inner Loop Header: Depth=1
	scratch_load_dwordx2 v[74:75], v71, off
	ds_read_b64 v[76:77], v70
	v_add_u32_e32 v72, 1, v72
	v_cmp_lt_u32_e32 vcc, 7, v72
	v_add_u32_e32 v70, 8, v70
	v_add_u32_e32 v71, 8, v71
	s_or_b64 s[6:7], vcc, s[6:7]
	s_waitcnt vmcnt(0) lgkmcnt(0)
	v_fmac_f64_e32 v[68:69], v[74:75], v[76:77]
	s_andn2_b64 exec, exec, s[6:7]
	s_cbranch_execnz .LBB31_385
; %bb.386:
	s_or_b64 exec, exec, s[6:7]
.LBB31_387:
	s_or_b64 exec, exec, s[4:5]
	v_mov_b32_e32 v70, 0
	ds_read_b64 v[70:71], v70 offset:72
	s_waitcnt lgkmcnt(0)
	v_mul_f64 v[68:69], v[68:69], v[70:71]
	scratch_store_dwordx2 off, v[68:69], off offset:72
.LBB31_388:
	s_or_b64 exec, exec, s[2:3]
	scratch_load_dwordx2 v[68:69], off, off offset:80
	v_cmp_gt_u32_e32 vcc, 10, v0
	s_waitcnt vmcnt(0)
	ds_write_b64 v1, v[68:69]
	s_waitcnt lgkmcnt(0)
	; wave barrier
	s_and_saveexec_b64 s[2:3], vcc
	s_cbranch_execz .LBB31_398
; %bb.389:
	s_and_b64 vcc, exec, s[0:1]
	s_cbranch_vccnz .LBB31_391
; %bb.390:
	scratch_load_dwordx2 v[68:69], v17, off
	ds_read_b64 v[70:71], v1
	s_waitcnt vmcnt(0) lgkmcnt(0)
	v_mul_f64 v[68:69], v[68:69], v[70:71]
	s_cbranch_execz .LBB31_392
	s_branch .LBB31_393
.LBB31_391:
                                        ; implicit-def: $vgpr68_vgpr69
.LBB31_392:
	ds_read_b64 v[68:69], v1
.LBB31_393:
	v_cmp_ne_u32_e32 vcc, 9, v0
	s_and_saveexec_b64 s[4:5], vcc
	s_cbranch_execz .LBB31_397
; %bb.394:
	s_mov_b32 s6, 0
	v_add_u32_e32 v70, 0x108, v16
	v_add3_u32 v71, v16, s6, 8
	s_mov_b64 s[6:7], 0
	v_mov_b32_e32 v72, v0
.LBB31_395:                             ; =>This Inner Loop Header: Depth=1
	scratch_load_dwordx2 v[74:75], v71, off
	ds_read_b64 v[76:77], v70
	v_add_u32_e32 v72, 1, v72
	v_cmp_lt_u32_e32 vcc, 8, v72
	v_add_u32_e32 v70, 8, v70
	v_add_u32_e32 v71, 8, v71
	s_or_b64 s[6:7], vcc, s[6:7]
	s_waitcnt vmcnt(0) lgkmcnt(0)
	v_fmac_f64_e32 v[68:69], v[74:75], v[76:77]
	s_andn2_b64 exec, exec, s[6:7]
	s_cbranch_execnz .LBB31_395
; %bb.396:
	s_or_b64 exec, exec, s[6:7]
.LBB31_397:
	s_or_b64 exec, exec, s[4:5]
	v_mov_b32_e32 v70, 0
	ds_read_b64 v[70:71], v70 offset:80
	s_waitcnt lgkmcnt(0)
	v_mul_f64 v[68:69], v[68:69], v[70:71]
	scratch_store_dwordx2 off, v[68:69], off offset:80
.LBB31_398:
	s_or_b64 exec, exec, s[2:3]
	scratch_load_dwordx2 v[68:69], off, off offset:88
	v_cmp_gt_u32_e32 vcc, 11, v0
	s_waitcnt vmcnt(0)
	ds_write_b64 v1, v[68:69]
	s_waitcnt lgkmcnt(0)
	; wave barrier
	s_and_saveexec_b64 s[2:3], vcc
	s_cbranch_execz .LBB31_408
; %bb.399:
	s_and_b64 vcc, exec, s[0:1]
	s_cbranch_vccnz .LBB31_401
; %bb.400:
	scratch_load_dwordx2 v[68:69], v17, off
	ds_read_b64 v[70:71], v1
	s_waitcnt vmcnt(0) lgkmcnt(0)
	v_mul_f64 v[68:69], v[68:69], v[70:71]
	s_cbranch_execz .LBB31_402
	s_branch .LBB31_403
.LBB31_401:
                                        ; implicit-def: $vgpr68_vgpr69
.LBB31_402:
	ds_read_b64 v[68:69], v1
.LBB31_403:
	v_cmp_ne_u32_e32 vcc, 10, v0
	s_and_saveexec_b64 s[4:5], vcc
	s_cbranch_execz .LBB31_407
; %bb.404:
	s_mov_b32 s6, 0
	v_add_u32_e32 v70, 0x108, v16
	v_add3_u32 v71, v16, s6, 8
	s_mov_b64 s[6:7], 0
	v_mov_b32_e32 v72, v0
.LBB31_405:                             ; =>This Inner Loop Header: Depth=1
	scratch_load_dwordx2 v[74:75], v71, off
	ds_read_b64 v[76:77], v70
	v_add_u32_e32 v72, 1, v72
	v_cmp_lt_u32_e32 vcc, 9, v72
	v_add_u32_e32 v70, 8, v70
	v_add_u32_e32 v71, 8, v71
	s_or_b64 s[6:7], vcc, s[6:7]
	s_waitcnt vmcnt(0) lgkmcnt(0)
	v_fmac_f64_e32 v[68:69], v[74:75], v[76:77]
	s_andn2_b64 exec, exec, s[6:7]
	s_cbranch_execnz .LBB31_405
; %bb.406:
	s_or_b64 exec, exec, s[6:7]
.LBB31_407:
	s_or_b64 exec, exec, s[4:5]
	v_mov_b32_e32 v70, 0
	ds_read_b64 v[70:71], v70 offset:88
	s_waitcnt lgkmcnt(0)
	v_mul_f64 v[68:69], v[68:69], v[70:71]
	scratch_store_dwordx2 off, v[68:69], off offset:88
.LBB31_408:
	s_or_b64 exec, exec, s[2:3]
	scratch_load_dwordx2 v[68:69], off, off offset:96
	v_cmp_gt_u32_e32 vcc, 12, v0
	s_waitcnt vmcnt(0)
	ds_write_b64 v1, v[68:69]
	s_waitcnt lgkmcnt(0)
	; wave barrier
	s_and_saveexec_b64 s[2:3], vcc
	s_cbranch_execz .LBB31_418
; %bb.409:
	s_and_b64 vcc, exec, s[0:1]
	s_cbranch_vccnz .LBB31_411
; %bb.410:
	scratch_load_dwordx2 v[68:69], v17, off
	ds_read_b64 v[70:71], v1
	s_waitcnt vmcnt(0) lgkmcnt(0)
	v_mul_f64 v[68:69], v[68:69], v[70:71]
	s_cbranch_execz .LBB31_412
	s_branch .LBB31_413
.LBB31_411:
                                        ; implicit-def: $vgpr68_vgpr69
.LBB31_412:
	ds_read_b64 v[68:69], v1
.LBB31_413:
	v_cmp_ne_u32_e32 vcc, 11, v0
	s_and_saveexec_b64 s[4:5], vcc
	s_cbranch_execz .LBB31_417
; %bb.414:
	s_mov_b32 s6, 0
	v_add_u32_e32 v70, 0x108, v16
	v_add3_u32 v71, v16, s6, 8
	s_mov_b64 s[6:7], 0
	v_mov_b32_e32 v72, v0
.LBB31_415:                             ; =>This Inner Loop Header: Depth=1
	scratch_load_dwordx2 v[74:75], v71, off
	ds_read_b64 v[76:77], v70
	v_add_u32_e32 v72, 1, v72
	v_cmp_lt_u32_e32 vcc, 10, v72
	v_add_u32_e32 v70, 8, v70
	v_add_u32_e32 v71, 8, v71
	s_or_b64 s[6:7], vcc, s[6:7]
	s_waitcnt vmcnt(0) lgkmcnt(0)
	v_fmac_f64_e32 v[68:69], v[74:75], v[76:77]
	s_andn2_b64 exec, exec, s[6:7]
	s_cbranch_execnz .LBB31_415
; %bb.416:
	s_or_b64 exec, exec, s[6:7]
.LBB31_417:
	s_or_b64 exec, exec, s[4:5]
	v_mov_b32_e32 v70, 0
	ds_read_b64 v[70:71], v70 offset:96
	s_waitcnt lgkmcnt(0)
	v_mul_f64 v[68:69], v[68:69], v[70:71]
	scratch_store_dwordx2 off, v[68:69], off offset:96
.LBB31_418:
	s_or_b64 exec, exec, s[2:3]
	scratch_load_dwordx2 v[68:69], off, off offset:104
	v_cmp_gt_u32_e32 vcc, 13, v0
	s_waitcnt vmcnt(0)
	ds_write_b64 v1, v[68:69]
	s_waitcnt lgkmcnt(0)
	; wave barrier
	s_and_saveexec_b64 s[2:3], vcc
	s_cbranch_execz .LBB31_428
; %bb.419:
	s_and_b64 vcc, exec, s[0:1]
	s_cbranch_vccnz .LBB31_421
; %bb.420:
	scratch_load_dwordx2 v[68:69], v17, off
	ds_read_b64 v[70:71], v1
	s_waitcnt vmcnt(0) lgkmcnt(0)
	v_mul_f64 v[68:69], v[68:69], v[70:71]
	s_cbranch_execz .LBB31_422
	s_branch .LBB31_423
.LBB31_421:
                                        ; implicit-def: $vgpr68_vgpr69
.LBB31_422:
	ds_read_b64 v[68:69], v1
.LBB31_423:
	v_cmp_ne_u32_e32 vcc, 12, v0
	s_and_saveexec_b64 s[4:5], vcc
	s_cbranch_execz .LBB31_427
; %bb.424:
	s_mov_b32 s6, 0
	v_add_u32_e32 v70, 0x108, v16
	v_add3_u32 v71, v16, s6, 8
	s_mov_b64 s[6:7], 0
	v_mov_b32_e32 v72, v0
.LBB31_425:                             ; =>This Inner Loop Header: Depth=1
	scratch_load_dwordx2 v[74:75], v71, off
	ds_read_b64 v[76:77], v70
	v_add_u32_e32 v72, 1, v72
	v_cmp_lt_u32_e32 vcc, 11, v72
	v_add_u32_e32 v70, 8, v70
	v_add_u32_e32 v71, 8, v71
	s_or_b64 s[6:7], vcc, s[6:7]
	s_waitcnt vmcnt(0) lgkmcnt(0)
	v_fmac_f64_e32 v[68:69], v[74:75], v[76:77]
	s_andn2_b64 exec, exec, s[6:7]
	s_cbranch_execnz .LBB31_425
; %bb.426:
	s_or_b64 exec, exec, s[6:7]
.LBB31_427:
	s_or_b64 exec, exec, s[4:5]
	v_mov_b32_e32 v70, 0
	ds_read_b64 v[70:71], v70 offset:104
	s_waitcnt lgkmcnt(0)
	v_mul_f64 v[68:69], v[68:69], v[70:71]
	scratch_store_dwordx2 off, v[68:69], off offset:104
.LBB31_428:
	s_or_b64 exec, exec, s[2:3]
	scratch_load_dwordx2 v[68:69], off, off offset:112
	v_cmp_gt_u32_e32 vcc, 14, v0
	s_waitcnt vmcnt(0)
	ds_write_b64 v1, v[68:69]
	s_waitcnt lgkmcnt(0)
	; wave barrier
	s_and_saveexec_b64 s[2:3], vcc
	s_cbranch_execz .LBB31_438
; %bb.429:
	s_and_b64 vcc, exec, s[0:1]
	s_cbranch_vccnz .LBB31_431
; %bb.430:
	scratch_load_dwordx2 v[68:69], v17, off
	ds_read_b64 v[70:71], v1
	s_waitcnt vmcnt(0) lgkmcnt(0)
	v_mul_f64 v[68:69], v[68:69], v[70:71]
	s_cbranch_execz .LBB31_432
	s_branch .LBB31_433
.LBB31_431:
                                        ; implicit-def: $vgpr68_vgpr69
.LBB31_432:
	ds_read_b64 v[68:69], v1
.LBB31_433:
	v_cmp_ne_u32_e32 vcc, 13, v0
	s_and_saveexec_b64 s[4:5], vcc
	s_cbranch_execz .LBB31_437
; %bb.434:
	s_mov_b32 s6, 0
	v_add_u32_e32 v70, 0x108, v16
	v_add3_u32 v71, v16, s6, 8
	s_mov_b64 s[6:7], 0
	v_mov_b32_e32 v72, v0
.LBB31_435:                             ; =>This Inner Loop Header: Depth=1
	scratch_load_dwordx2 v[74:75], v71, off
	ds_read_b64 v[76:77], v70
	v_add_u32_e32 v72, 1, v72
	v_cmp_lt_u32_e32 vcc, 12, v72
	v_add_u32_e32 v70, 8, v70
	v_add_u32_e32 v71, 8, v71
	s_or_b64 s[6:7], vcc, s[6:7]
	s_waitcnt vmcnt(0) lgkmcnt(0)
	v_fmac_f64_e32 v[68:69], v[74:75], v[76:77]
	s_andn2_b64 exec, exec, s[6:7]
	s_cbranch_execnz .LBB31_435
; %bb.436:
	s_or_b64 exec, exec, s[6:7]
.LBB31_437:
	s_or_b64 exec, exec, s[4:5]
	v_mov_b32_e32 v70, 0
	ds_read_b64 v[70:71], v70 offset:112
	s_waitcnt lgkmcnt(0)
	v_mul_f64 v[68:69], v[68:69], v[70:71]
	scratch_store_dwordx2 off, v[68:69], off offset:112
.LBB31_438:
	s_or_b64 exec, exec, s[2:3]
	scratch_load_dwordx2 v[68:69], off, off offset:120
	v_cmp_gt_u32_e32 vcc, 15, v0
	s_waitcnt vmcnt(0)
	ds_write_b64 v1, v[68:69]
	s_waitcnt lgkmcnt(0)
	; wave barrier
	s_and_saveexec_b64 s[2:3], vcc
	s_cbranch_execz .LBB31_448
; %bb.439:
	s_and_b64 vcc, exec, s[0:1]
	s_cbranch_vccnz .LBB31_441
; %bb.440:
	scratch_load_dwordx2 v[68:69], v17, off
	ds_read_b64 v[70:71], v1
	s_waitcnt vmcnt(0) lgkmcnt(0)
	v_mul_f64 v[68:69], v[68:69], v[70:71]
	s_cbranch_execz .LBB31_442
	s_branch .LBB31_443
.LBB31_441:
                                        ; implicit-def: $vgpr68_vgpr69
.LBB31_442:
	ds_read_b64 v[68:69], v1
.LBB31_443:
	v_cmp_ne_u32_e32 vcc, 14, v0
	s_and_saveexec_b64 s[4:5], vcc
	s_cbranch_execz .LBB31_447
; %bb.444:
	s_mov_b32 s6, 0
	v_add_u32_e32 v70, 0x108, v16
	v_add3_u32 v71, v16, s6, 8
	s_mov_b64 s[6:7], 0
	v_mov_b32_e32 v72, v0
.LBB31_445:                             ; =>This Inner Loop Header: Depth=1
	scratch_load_dwordx2 v[74:75], v71, off
	ds_read_b64 v[76:77], v70
	v_add_u32_e32 v72, 1, v72
	v_cmp_lt_u32_e32 vcc, 13, v72
	v_add_u32_e32 v70, 8, v70
	v_add_u32_e32 v71, 8, v71
	s_or_b64 s[6:7], vcc, s[6:7]
	s_waitcnt vmcnt(0) lgkmcnt(0)
	v_fmac_f64_e32 v[68:69], v[74:75], v[76:77]
	s_andn2_b64 exec, exec, s[6:7]
	s_cbranch_execnz .LBB31_445
; %bb.446:
	s_or_b64 exec, exec, s[6:7]
.LBB31_447:
	s_or_b64 exec, exec, s[4:5]
	v_mov_b32_e32 v70, 0
	ds_read_b64 v[70:71], v70 offset:120
	s_waitcnt lgkmcnt(0)
	v_mul_f64 v[68:69], v[68:69], v[70:71]
	scratch_store_dwordx2 off, v[68:69], off offset:120
.LBB31_448:
	s_or_b64 exec, exec, s[2:3]
	scratch_load_dwordx2 v[68:69], off, off offset:128
	v_cmp_gt_u32_e32 vcc, 16, v0
	s_waitcnt vmcnt(0)
	ds_write_b64 v1, v[68:69]
	s_waitcnt lgkmcnt(0)
	; wave barrier
	s_and_saveexec_b64 s[2:3], vcc
	s_cbranch_execz .LBB31_458
; %bb.449:
	s_and_b64 vcc, exec, s[0:1]
	s_cbranch_vccnz .LBB31_451
; %bb.450:
	scratch_load_dwordx2 v[68:69], v17, off
	ds_read_b64 v[70:71], v1
	s_waitcnt vmcnt(0) lgkmcnt(0)
	v_mul_f64 v[68:69], v[68:69], v[70:71]
	s_cbranch_execz .LBB31_452
	s_branch .LBB31_453
.LBB31_451:
                                        ; implicit-def: $vgpr68_vgpr69
.LBB31_452:
	ds_read_b64 v[68:69], v1
.LBB31_453:
	v_cmp_ne_u32_e32 vcc, 15, v0
	s_and_saveexec_b64 s[4:5], vcc
	s_cbranch_execz .LBB31_457
; %bb.454:
	s_mov_b32 s6, 0
	v_add_u32_e32 v70, 0x108, v16
	v_add3_u32 v71, v16, s6, 8
	s_mov_b64 s[6:7], 0
	v_mov_b32_e32 v72, v0
.LBB31_455:                             ; =>This Inner Loop Header: Depth=1
	scratch_load_dwordx2 v[74:75], v71, off
	ds_read_b64 v[76:77], v70
	v_add_u32_e32 v72, 1, v72
	v_cmp_lt_u32_e32 vcc, 14, v72
	v_add_u32_e32 v70, 8, v70
	v_add_u32_e32 v71, 8, v71
	s_or_b64 s[6:7], vcc, s[6:7]
	s_waitcnt vmcnt(0) lgkmcnt(0)
	v_fmac_f64_e32 v[68:69], v[74:75], v[76:77]
	s_andn2_b64 exec, exec, s[6:7]
	s_cbranch_execnz .LBB31_455
; %bb.456:
	s_or_b64 exec, exec, s[6:7]
.LBB31_457:
	s_or_b64 exec, exec, s[4:5]
	v_mov_b32_e32 v70, 0
	ds_read_b64 v[70:71], v70 offset:128
	s_waitcnt lgkmcnt(0)
	v_mul_f64 v[68:69], v[68:69], v[70:71]
	scratch_store_dwordx2 off, v[68:69], off offset:128
.LBB31_458:
	s_or_b64 exec, exec, s[2:3]
	scratch_load_dwordx2 v[68:69], off, off offset:136
	v_cmp_gt_u32_e32 vcc, 17, v0
	s_waitcnt vmcnt(0)
	ds_write_b64 v1, v[68:69]
	s_waitcnt lgkmcnt(0)
	; wave barrier
	s_and_saveexec_b64 s[2:3], vcc
	s_cbranch_execz .LBB31_468
; %bb.459:
	s_and_b64 vcc, exec, s[0:1]
	s_cbranch_vccnz .LBB31_461
; %bb.460:
	scratch_load_dwordx2 v[68:69], v17, off
	ds_read_b64 v[70:71], v1
	s_waitcnt vmcnt(0) lgkmcnt(0)
	v_mul_f64 v[68:69], v[68:69], v[70:71]
	s_cbranch_execz .LBB31_462
	s_branch .LBB31_463
.LBB31_461:
                                        ; implicit-def: $vgpr68_vgpr69
.LBB31_462:
	ds_read_b64 v[68:69], v1
.LBB31_463:
	v_cmp_ne_u32_e32 vcc, 16, v0
	s_and_saveexec_b64 s[4:5], vcc
	s_cbranch_execz .LBB31_467
; %bb.464:
	s_mov_b32 s6, 0
	v_add_u32_e32 v70, 0x108, v16
	v_add3_u32 v71, v16, s6, 8
	s_mov_b64 s[6:7], 0
	v_mov_b32_e32 v72, v0
.LBB31_465:                             ; =>This Inner Loop Header: Depth=1
	scratch_load_dwordx2 v[74:75], v71, off
	ds_read_b64 v[76:77], v70
	v_add_u32_e32 v72, 1, v72
	v_cmp_lt_u32_e32 vcc, 15, v72
	v_add_u32_e32 v70, 8, v70
	v_add_u32_e32 v71, 8, v71
	s_or_b64 s[6:7], vcc, s[6:7]
	s_waitcnt vmcnt(0) lgkmcnt(0)
	v_fmac_f64_e32 v[68:69], v[74:75], v[76:77]
	s_andn2_b64 exec, exec, s[6:7]
	s_cbranch_execnz .LBB31_465
; %bb.466:
	s_or_b64 exec, exec, s[6:7]
.LBB31_467:
	s_or_b64 exec, exec, s[4:5]
	v_mov_b32_e32 v70, 0
	ds_read_b64 v[70:71], v70 offset:136
	s_waitcnt lgkmcnt(0)
	v_mul_f64 v[68:69], v[68:69], v[70:71]
	scratch_store_dwordx2 off, v[68:69], off offset:136
.LBB31_468:
	s_or_b64 exec, exec, s[2:3]
	scratch_load_dwordx2 v[68:69], off, off offset:144
	v_cmp_gt_u32_e32 vcc, 18, v0
	s_waitcnt vmcnt(0)
	ds_write_b64 v1, v[68:69]
	s_waitcnt lgkmcnt(0)
	; wave barrier
	s_and_saveexec_b64 s[2:3], vcc
	s_cbranch_execz .LBB31_478
; %bb.469:
	s_and_b64 vcc, exec, s[0:1]
	s_cbranch_vccnz .LBB31_471
; %bb.470:
	scratch_load_dwordx2 v[68:69], v17, off
	ds_read_b64 v[70:71], v1
	s_waitcnt vmcnt(0) lgkmcnt(0)
	v_mul_f64 v[68:69], v[68:69], v[70:71]
	s_cbranch_execz .LBB31_472
	s_branch .LBB31_473
.LBB31_471:
                                        ; implicit-def: $vgpr68_vgpr69
.LBB31_472:
	ds_read_b64 v[68:69], v1
.LBB31_473:
	v_cmp_ne_u32_e32 vcc, 17, v0
	s_and_saveexec_b64 s[4:5], vcc
	s_cbranch_execz .LBB31_477
; %bb.474:
	s_mov_b32 s6, 0
	v_add_u32_e32 v70, 0x108, v16
	v_add3_u32 v71, v16, s6, 8
	s_mov_b64 s[6:7], 0
	v_mov_b32_e32 v72, v0
.LBB31_475:                             ; =>This Inner Loop Header: Depth=1
	scratch_load_dwordx2 v[74:75], v71, off
	ds_read_b64 v[76:77], v70
	v_add_u32_e32 v72, 1, v72
	v_cmp_lt_u32_e32 vcc, 16, v72
	v_add_u32_e32 v70, 8, v70
	v_add_u32_e32 v71, 8, v71
	s_or_b64 s[6:7], vcc, s[6:7]
	s_waitcnt vmcnt(0) lgkmcnt(0)
	v_fmac_f64_e32 v[68:69], v[74:75], v[76:77]
	s_andn2_b64 exec, exec, s[6:7]
	s_cbranch_execnz .LBB31_475
; %bb.476:
	s_or_b64 exec, exec, s[6:7]
.LBB31_477:
	s_or_b64 exec, exec, s[4:5]
	v_mov_b32_e32 v70, 0
	ds_read_b64 v[70:71], v70 offset:144
	s_waitcnt lgkmcnt(0)
	v_mul_f64 v[68:69], v[68:69], v[70:71]
	scratch_store_dwordx2 off, v[68:69], off offset:144
.LBB31_478:
	s_or_b64 exec, exec, s[2:3]
	scratch_load_dwordx2 v[68:69], off, off offset:152
	v_cmp_gt_u32_e32 vcc, 19, v0
	s_waitcnt vmcnt(0)
	ds_write_b64 v1, v[68:69]
	s_waitcnt lgkmcnt(0)
	; wave barrier
	s_and_saveexec_b64 s[2:3], vcc
	s_cbranch_execz .LBB31_488
; %bb.479:
	s_and_b64 vcc, exec, s[0:1]
	s_cbranch_vccnz .LBB31_481
; %bb.480:
	scratch_load_dwordx2 v[68:69], v17, off
	ds_read_b64 v[70:71], v1
	s_waitcnt vmcnt(0) lgkmcnt(0)
	v_mul_f64 v[68:69], v[68:69], v[70:71]
	s_cbranch_execz .LBB31_482
	s_branch .LBB31_483
.LBB31_481:
                                        ; implicit-def: $vgpr68_vgpr69
.LBB31_482:
	ds_read_b64 v[68:69], v1
.LBB31_483:
	v_cmp_ne_u32_e32 vcc, 18, v0
	s_and_saveexec_b64 s[4:5], vcc
	s_cbranch_execz .LBB31_487
; %bb.484:
	s_mov_b32 s6, 0
	v_add_u32_e32 v70, 0x108, v16
	v_add3_u32 v71, v16, s6, 8
	s_mov_b64 s[6:7], 0
	v_mov_b32_e32 v72, v0
.LBB31_485:                             ; =>This Inner Loop Header: Depth=1
	scratch_load_dwordx2 v[74:75], v71, off
	ds_read_b64 v[76:77], v70
	v_add_u32_e32 v72, 1, v72
	v_cmp_lt_u32_e32 vcc, 17, v72
	v_add_u32_e32 v70, 8, v70
	v_add_u32_e32 v71, 8, v71
	s_or_b64 s[6:7], vcc, s[6:7]
	s_waitcnt vmcnt(0) lgkmcnt(0)
	v_fmac_f64_e32 v[68:69], v[74:75], v[76:77]
	s_andn2_b64 exec, exec, s[6:7]
	s_cbranch_execnz .LBB31_485
; %bb.486:
	s_or_b64 exec, exec, s[6:7]
.LBB31_487:
	s_or_b64 exec, exec, s[4:5]
	v_mov_b32_e32 v70, 0
	ds_read_b64 v[70:71], v70 offset:152
	s_waitcnt lgkmcnt(0)
	v_mul_f64 v[68:69], v[68:69], v[70:71]
	scratch_store_dwordx2 off, v[68:69], off offset:152
.LBB31_488:
	s_or_b64 exec, exec, s[2:3]
	scratch_load_dwordx2 v[68:69], off, off offset:160
	v_cmp_gt_u32_e32 vcc, 20, v0
	s_waitcnt vmcnt(0)
	ds_write_b64 v1, v[68:69]
	s_waitcnt lgkmcnt(0)
	; wave barrier
	s_and_saveexec_b64 s[2:3], vcc
	s_cbranch_execz .LBB31_498
; %bb.489:
	s_and_b64 vcc, exec, s[0:1]
	s_cbranch_vccnz .LBB31_491
; %bb.490:
	scratch_load_dwordx2 v[68:69], v17, off
	ds_read_b64 v[70:71], v1
	s_waitcnt vmcnt(0) lgkmcnt(0)
	v_mul_f64 v[68:69], v[68:69], v[70:71]
	s_cbranch_execz .LBB31_492
	s_branch .LBB31_493
.LBB31_491:
                                        ; implicit-def: $vgpr68_vgpr69
.LBB31_492:
	ds_read_b64 v[68:69], v1
.LBB31_493:
	v_cmp_ne_u32_e32 vcc, 19, v0
	s_and_saveexec_b64 s[4:5], vcc
	s_cbranch_execz .LBB31_497
; %bb.494:
	s_mov_b32 s6, 0
	v_add_u32_e32 v70, 0x108, v16
	v_add3_u32 v71, v16, s6, 8
	s_mov_b64 s[6:7], 0
	v_mov_b32_e32 v72, v0
.LBB31_495:                             ; =>This Inner Loop Header: Depth=1
	scratch_load_dwordx2 v[74:75], v71, off
	ds_read_b64 v[76:77], v70
	v_add_u32_e32 v72, 1, v72
	v_cmp_lt_u32_e32 vcc, 18, v72
	v_add_u32_e32 v70, 8, v70
	v_add_u32_e32 v71, 8, v71
	s_or_b64 s[6:7], vcc, s[6:7]
	s_waitcnt vmcnt(0) lgkmcnt(0)
	v_fmac_f64_e32 v[68:69], v[74:75], v[76:77]
	s_andn2_b64 exec, exec, s[6:7]
	s_cbranch_execnz .LBB31_495
; %bb.496:
	s_or_b64 exec, exec, s[6:7]
.LBB31_497:
	s_or_b64 exec, exec, s[4:5]
	v_mov_b32_e32 v70, 0
	ds_read_b64 v[70:71], v70 offset:160
	s_waitcnt lgkmcnt(0)
	v_mul_f64 v[68:69], v[68:69], v[70:71]
	scratch_store_dwordx2 off, v[68:69], off offset:160
.LBB31_498:
	s_or_b64 exec, exec, s[2:3]
	scratch_load_dwordx2 v[68:69], off, off offset:168
	v_cmp_gt_u32_e32 vcc, 21, v0
	s_waitcnt vmcnt(0)
	ds_write_b64 v1, v[68:69]
	s_waitcnt lgkmcnt(0)
	; wave barrier
	s_and_saveexec_b64 s[2:3], vcc
	s_cbranch_execz .LBB31_508
; %bb.499:
	s_and_b64 vcc, exec, s[0:1]
	s_cbranch_vccnz .LBB31_501
; %bb.500:
	scratch_load_dwordx2 v[68:69], v17, off
	ds_read_b64 v[70:71], v1
	s_waitcnt vmcnt(0) lgkmcnt(0)
	v_mul_f64 v[68:69], v[68:69], v[70:71]
	s_cbranch_execz .LBB31_502
	s_branch .LBB31_503
.LBB31_501:
                                        ; implicit-def: $vgpr68_vgpr69
.LBB31_502:
	ds_read_b64 v[68:69], v1
.LBB31_503:
	v_cmp_ne_u32_e32 vcc, 20, v0
	s_and_saveexec_b64 s[4:5], vcc
	s_cbranch_execz .LBB31_507
; %bb.504:
	s_mov_b32 s6, 0
	v_add_u32_e32 v70, 0x108, v16
	v_add3_u32 v71, v16, s6, 8
	s_mov_b64 s[6:7], 0
	v_mov_b32_e32 v72, v0
.LBB31_505:                             ; =>This Inner Loop Header: Depth=1
	scratch_load_dwordx2 v[74:75], v71, off
	ds_read_b64 v[76:77], v70
	v_add_u32_e32 v72, 1, v72
	v_cmp_lt_u32_e32 vcc, 19, v72
	v_add_u32_e32 v70, 8, v70
	v_add_u32_e32 v71, 8, v71
	s_or_b64 s[6:7], vcc, s[6:7]
	s_waitcnt vmcnt(0) lgkmcnt(0)
	v_fmac_f64_e32 v[68:69], v[74:75], v[76:77]
	s_andn2_b64 exec, exec, s[6:7]
	s_cbranch_execnz .LBB31_505
; %bb.506:
	s_or_b64 exec, exec, s[6:7]
.LBB31_507:
	s_or_b64 exec, exec, s[4:5]
	v_mov_b32_e32 v70, 0
	ds_read_b64 v[70:71], v70 offset:168
	s_waitcnt lgkmcnt(0)
	v_mul_f64 v[68:69], v[68:69], v[70:71]
	scratch_store_dwordx2 off, v[68:69], off offset:168
.LBB31_508:
	s_or_b64 exec, exec, s[2:3]
	scratch_load_dwordx2 v[68:69], off, off offset:176
	v_cmp_gt_u32_e32 vcc, 22, v0
	s_waitcnt vmcnt(0)
	ds_write_b64 v1, v[68:69]
	s_waitcnt lgkmcnt(0)
	; wave barrier
	s_and_saveexec_b64 s[2:3], vcc
	s_cbranch_execz .LBB31_518
; %bb.509:
	s_and_b64 vcc, exec, s[0:1]
	s_cbranch_vccnz .LBB31_511
; %bb.510:
	scratch_load_dwordx2 v[68:69], v17, off
	ds_read_b64 v[70:71], v1
	s_waitcnt vmcnt(0) lgkmcnt(0)
	v_mul_f64 v[68:69], v[68:69], v[70:71]
	s_cbranch_execz .LBB31_512
	s_branch .LBB31_513
.LBB31_511:
                                        ; implicit-def: $vgpr68_vgpr69
.LBB31_512:
	ds_read_b64 v[68:69], v1
.LBB31_513:
	v_cmp_ne_u32_e32 vcc, 21, v0
	s_and_saveexec_b64 s[4:5], vcc
	s_cbranch_execz .LBB31_517
; %bb.514:
	s_mov_b32 s6, 0
	v_add_u32_e32 v70, 0x108, v16
	v_add3_u32 v71, v16, s6, 8
	s_mov_b64 s[6:7], 0
	v_mov_b32_e32 v72, v0
.LBB31_515:                             ; =>This Inner Loop Header: Depth=1
	scratch_load_dwordx2 v[74:75], v71, off
	ds_read_b64 v[76:77], v70
	v_add_u32_e32 v72, 1, v72
	v_cmp_lt_u32_e32 vcc, 20, v72
	v_add_u32_e32 v70, 8, v70
	v_add_u32_e32 v71, 8, v71
	s_or_b64 s[6:7], vcc, s[6:7]
	s_waitcnt vmcnt(0) lgkmcnt(0)
	v_fmac_f64_e32 v[68:69], v[74:75], v[76:77]
	s_andn2_b64 exec, exec, s[6:7]
	s_cbranch_execnz .LBB31_515
; %bb.516:
	s_or_b64 exec, exec, s[6:7]
.LBB31_517:
	s_or_b64 exec, exec, s[4:5]
	v_mov_b32_e32 v70, 0
	ds_read_b64 v[70:71], v70 offset:176
	s_waitcnt lgkmcnt(0)
	v_mul_f64 v[68:69], v[68:69], v[70:71]
	scratch_store_dwordx2 off, v[68:69], off offset:176
.LBB31_518:
	s_or_b64 exec, exec, s[2:3]
	scratch_load_dwordx2 v[68:69], off, off offset:184
	v_cmp_gt_u32_e32 vcc, 23, v0
	s_waitcnt vmcnt(0)
	ds_write_b64 v1, v[68:69]
	s_waitcnt lgkmcnt(0)
	; wave barrier
	s_and_saveexec_b64 s[2:3], vcc
	s_cbranch_execz .LBB31_528
; %bb.519:
	s_and_b64 vcc, exec, s[0:1]
	s_cbranch_vccnz .LBB31_521
; %bb.520:
	scratch_load_dwordx2 v[68:69], v17, off
	ds_read_b64 v[70:71], v1
	s_waitcnt vmcnt(0) lgkmcnt(0)
	v_mul_f64 v[68:69], v[68:69], v[70:71]
	s_cbranch_execz .LBB31_522
	s_branch .LBB31_523
.LBB31_521:
                                        ; implicit-def: $vgpr68_vgpr69
.LBB31_522:
	ds_read_b64 v[68:69], v1
.LBB31_523:
	v_cmp_ne_u32_e32 vcc, 22, v0
	s_and_saveexec_b64 s[4:5], vcc
	s_cbranch_execz .LBB31_527
; %bb.524:
	s_mov_b32 s6, 0
	v_add_u32_e32 v70, 0x108, v16
	v_add3_u32 v71, v16, s6, 8
	s_mov_b64 s[6:7], 0
	v_mov_b32_e32 v72, v0
.LBB31_525:                             ; =>This Inner Loop Header: Depth=1
	scratch_load_dwordx2 v[74:75], v71, off
	ds_read_b64 v[76:77], v70
	v_add_u32_e32 v72, 1, v72
	v_cmp_lt_u32_e32 vcc, 21, v72
	v_add_u32_e32 v70, 8, v70
	v_add_u32_e32 v71, 8, v71
	s_or_b64 s[6:7], vcc, s[6:7]
	s_waitcnt vmcnt(0) lgkmcnt(0)
	v_fmac_f64_e32 v[68:69], v[74:75], v[76:77]
	s_andn2_b64 exec, exec, s[6:7]
	s_cbranch_execnz .LBB31_525
; %bb.526:
	s_or_b64 exec, exec, s[6:7]
.LBB31_527:
	s_or_b64 exec, exec, s[4:5]
	v_mov_b32_e32 v70, 0
	ds_read_b64 v[70:71], v70 offset:184
	s_waitcnt lgkmcnt(0)
	v_mul_f64 v[68:69], v[68:69], v[70:71]
	scratch_store_dwordx2 off, v[68:69], off offset:184
.LBB31_528:
	s_or_b64 exec, exec, s[2:3]
	scratch_load_dwordx2 v[68:69], off, off offset:192
	v_cmp_gt_u32_e32 vcc, 24, v0
	s_waitcnt vmcnt(0)
	ds_write_b64 v1, v[68:69]
	s_waitcnt lgkmcnt(0)
	; wave barrier
	s_and_saveexec_b64 s[2:3], vcc
	s_cbranch_execz .LBB31_538
; %bb.529:
	s_and_b64 vcc, exec, s[0:1]
	s_cbranch_vccnz .LBB31_531
; %bb.530:
	scratch_load_dwordx2 v[68:69], v17, off
	ds_read_b64 v[70:71], v1
	s_waitcnt vmcnt(0) lgkmcnt(0)
	v_mul_f64 v[68:69], v[68:69], v[70:71]
	s_cbranch_execz .LBB31_532
	s_branch .LBB31_533
.LBB31_531:
                                        ; implicit-def: $vgpr68_vgpr69
.LBB31_532:
	ds_read_b64 v[68:69], v1
.LBB31_533:
	v_cmp_ne_u32_e32 vcc, 23, v0
	s_and_saveexec_b64 s[4:5], vcc
	s_cbranch_execz .LBB31_537
; %bb.534:
	s_mov_b32 s6, 0
	v_add_u32_e32 v70, 0x108, v16
	v_add3_u32 v71, v16, s6, 8
	s_mov_b64 s[6:7], 0
	v_mov_b32_e32 v72, v0
.LBB31_535:                             ; =>This Inner Loop Header: Depth=1
	scratch_load_dwordx2 v[74:75], v71, off
	ds_read_b64 v[76:77], v70
	v_add_u32_e32 v72, 1, v72
	v_cmp_lt_u32_e32 vcc, 22, v72
	v_add_u32_e32 v70, 8, v70
	v_add_u32_e32 v71, 8, v71
	s_or_b64 s[6:7], vcc, s[6:7]
	s_waitcnt vmcnt(0) lgkmcnt(0)
	v_fmac_f64_e32 v[68:69], v[74:75], v[76:77]
	s_andn2_b64 exec, exec, s[6:7]
	s_cbranch_execnz .LBB31_535
; %bb.536:
	s_or_b64 exec, exec, s[6:7]
.LBB31_537:
	s_or_b64 exec, exec, s[4:5]
	v_mov_b32_e32 v70, 0
	ds_read_b64 v[70:71], v70 offset:192
	s_waitcnt lgkmcnt(0)
	v_mul_f64 v[68:69], v[68:69], v[70:71]
	scratch_store_dwordx2 off, v[68:69], off offset:192
.LBB31_538:
	s_or_b64 exec, exec, s[2:3]
	scratch_load_dwordx2 v[68:69], off, off offset:200
	v_cmp_gt_u32_e32 vcc, 25, v0
	s_waitcnt vmcnt(0)
	ds_write_b64 v1, v[68:69]
	s_waitcnt lgkmcnt(0)
	; wave barrier
	s_and_saveexec_b64 s[2:3], vcc
	s_cbranch_execz .LBB31_548
; %bb.539:
	s_and_b64 vcc, exec, s[0:1]
	s_cbranch_vccnz .LBB31_541
; %bb.540:
	scratch_load_dwordx2 v[68:69], v17, off
	ds_read_b64 v[70:71], v1
	s_waitcnt vmcnt(0) lgkmcnt(0)
	v_mul_f64 v[68:69], v[68:69], v[70:71]
	s_cbranch_execz .LBB31_542
	s_branch .LBB31_543
.LBB31_541:
                                        ; implicit-def: $vgpr68_vgpr69
.LBB31_542:
	ds_read_b64 v[68:69], v1
.LBB31_543:
	v_cmp_ne_u32_e32 vcc, 24, v0
	s_and_saveexec_b64 s[4:5], vcc
	s_cbranch_execz .LBB31_547
; %bb.544:
	s_mov_b32 s6, 0
	v_add_u32_e32 v70, 0x108, v16
	v_add3_u32 v71, v16, s6, 8
	s_mov_b64 s[6:7], 0
	v_mov_b32_e32 v72, v0
.LBB31_545:                             ; =>This Inner Loop Header: Depth=1
	scratch_load_dwordx2 v[74:75], v71, off
	ds_read_b64 v[76:77], v70
	v_add_u32_e32 v72, 1, v72
	v_cmp_lt_u32_e32 vcc, 23, v72
	v_add_u32_e32 v70, 8, v70
	v_add_u32_e32 v71, 8, v71
	s_or_b64 s[6:7], vcc, s[6:7]
	s_waitcnt vmcnt(0) lgkmcnt(0)
	v_fmac_f64_e32 v[68:69], v[74:75], v[76:77]
	s_andn2_b64 exec, exec, s[6:7]
	s_cbranch_execnz .LBB31_545
; %bb.546:
	s_or_b64 exec, exec, s[6:7]
.LBB31_547:
	s_or_b64 exec, exec, s[4:5]
	v_mov_b32_e32 v70, 0
	ds_read_b64 v[70:71], v70 offset:200
	s_waitcnt lgkmcnt(0)
	v_mul_f64 v[68:69], v[68:69], v[70:71]
	scratch_store_dwordx2 off, v[68:69], off offset:200
.LBB31_548:
	s_or_b64 exec, exec, s[2:3]
	scratch_load_dwordx2 v[68:69], off, off offset:208
	v_cmp_gt_u32_e32 vcc, 26, v0
	s_waitcnt vmcnt(0)
	ds_write_b64 v1, v[68:69]
	s_waitcnt lgkmcnt(0)
	; wave barrier
	s_and_saveexec_b64 s[2:3], vcc
	s_cbranch_execz .LBB31_558
; %bb.549:
	s_and_b64 vcc, exec, s[0:1]
	s_cbranch_vccnz .LBB31_551
; %bb.550:
	scratch_load_dwordx2 v[68:69], v17, off
	ds_read_b64 v[70:71], v1
	s_waitcnt vmcnt(0) lgkmcnt(0)
	v_mul_f64 v[68:69], v[68:69], v[70:71]
	s_cbranch_execz .LBB31_552
	s_branch .LBB31_553
.LBB31_551:
                                        ; implicit-def: $vgpr68_vgpr69
.LBB31_552:
	ds_read_b64 v[68:69], v1
.LBB31_553:
	v_cmp_ne_u32_e32 vcc, 25, v0
	s_and_saveexec_b64 s[4:5], vcc
	s_cbranch_execz .LBB31_557
; %bb.554:
	s_mov_b32 s6, 0
	v_add_u32_e32 v70, 0x108, v16
	v_add3_u32 v71, v16, s6, 8
	s_mov_b64 s[6:7], 0
	v_mov_b32_e32 v72, v0
.LBB31_555:                             ; =>This Inner Loop Header: Depth=1
	scratch_load_dwordx2 v[74:75], v71, off
	ds_read_b64 v[76:77], v70
	v_add_u32_e32 v72, 1, v72
	v_cmp_lt_u32_e32 vcc, 24, v72
	v_add_u32_e32 v70, 8, v70
	v_add_u32_e32 v71, 8, v71
	s_or_b64 s[6:7], vcc, s[6:7]
	s_waitcnt vmcnt(0) lgkmcnt(0)
	v_fmac_f64_e32 v[68:69], v[74:75], v[76:77]
	s_andn2_b64 exec, exec, s[6:7]
	s_cbranch_execnz .LBB31_555
; %bb.556:
	s_or_b64 exec, exec, s[6:7]
.LBB31_557:
	s_or_b64 exec, exec, s[4:5]
	v_mov_b32_e32 v70, 0
	ds_read_b64 v[70:71], v70 offset:208
	s_waitcnt lgkmcnt(0)
	v_mul_f64 v[68:69], v[68:69], v[70:71]
	scratch_store_dwordx2 off, v[68:69], off offset:208
.LBB31_558:
	s_or_b64 exec, exec, s[2:3]
	scratch_load_dwordx2 v[68:69], off, off offset:216
	v_cmp_gt_u32_e32 vcc, 27, v0
	s_waitcnt vmcnt(0)
	ds_write_b64 v1, v[68:69]
	s_waitcnt lgkmcnt(0)
	; wave barrier
	s_and_saveexec_b64 s[2:3], vcc
	s_cbranch_execz .LBB31_568
; %bb.559:
	s_and_b64 vcc, exec, s[0:1]
	s_cbranch_vccnz .LBB31_561
; %bb.560:
	scratch_load_dwordx2 v[68:69], v17, off
	ds_read_b64 v[70:71], v1
	s_waitcnt vmcnt(0) lgkmcnt(0)
	v_mul_f64 v[68:69], v[68:69], v[70:71]
	s_cbranch_execz .LBB31_562
	s_branch .LBB31_563
.LBB31_561:
                                        ; implicit-def: $vgpr68_vgpr69
.LBB31_562:
	ds_read_b64 v[68:69], v1
.LBB31_563:
	v_cmp_ne_u32_e32 vcc, 26, v0
	s_and_saveexec_b64 s[4:5], vcc
	s_cbranch_execz .LBB31_567
; %bb.564:
	s_mov_b32 s6, 0
	v_add_u32_e32 v70, 0x108, v16
	v_add3_u32 v71, v16, s6, 8
	s_mov_b64 s[6:7], 0
	v_mov_b32_e32 v72, v0
.LBB31_565:                             ; =>This Inner Loop Header: Depth=1
	scratch_load_dwordx2 v[74:75], v71, off
	ds_read_b64 v[76:77], v70
	v_add_u32_e32 v72, 1, v72
	v_cmp_lt_u32_e32 vcc, 25, v72
	v_add_u32_e32 v70, 8, v70
	v_add_u32_e32 v71, 8, v71
	s_or_b64 s[6:7], vcc, s[6:7]
	s_waitcnt vmcnt(0) lgkmcnt(0)
	v_fmac_f64_e32 v[68:69], v[74:75], v[76:77]
	s_andn2_b64 exec, exec, s[6:7]
	s_cbranch_execnz .LBB31_565
; %bb.566:
	s_or_b64 exec, exec, s[6:7]
.LBB31_567:
	s_or_b64 exec, exec, s[4:5]
	v_mov_b32_e32 v70, 0
	ds_read_b64 v[70:71], v70 offset:216
	s_waitcnt lgkmcnt(0)
	v_mul_f64 v[68:69], v[68:69], v[70:71]
	scratch_store_dwordx2 off, v[68:69], off offset:216
.LBB31_568:
	s_or_b64 exec, exec, s[2:3]
	scratch_load_dwordx2 v[68:69], off, off offset:224
	v_cmp_gt_u32_e32 vcc, 28, v0
	s_waitcnt vmcnt(0)
	ds_write_b64 v1, v[68:69]
	s_waitcnt lgkmcnt(0)
	; wave barrier
	s_and_saveexec_b64 s[2:3], vcc
	s_cbranch_execz .LBB31_578
; %bb.569:
	s_and_b64 vcc, exec, s[0:1]
	s_cbranch_vccnz .LBB31_571
; %bb.570:
	scratch_load_dwordx2 v[68:69], v17, off
	ds_read_b64 v[70:71], v1
	s_waitcnt vmcnt(0) lgkmcnt(0)
	v_mul_f64 v[68:69], v[68:69], v[70:71]
	s_cbranch_execz .LBB31_572
	s_branch .LBB31_573
.LBB31_571:
                                        ; implicit-def: $vgpr68_vgpr69
.LBB31_572:
	ds_read_b64 v[68:69], v1
.LBB31_573:
	v_cmp_ne_u32_e32 vcc, 27, v0
	s_and_saveexec_b64 s[4:5], vcc
	s_cbranch_execz .LBB31_577
; %bb.574:
	s_mov_b32 s6, 0
	v_add_u32_e32 v70, 0x108, v16
	v_add3_u32 v71, v16, s6, 8
	s_mov_b64 s[6:7], 0
	v_mov_b32_e32 v72, v0
.LBB31_575:                             ; =>This Inner Loop Header: Depth=1
	scratch_load_dwordx2 v[74:75], v71, off
	ds_read_b64 v[76:77], v70
	v_add_u32_e32 v72, 1, v72
	v_cmp_lt_u32_e32 vcc, 26, v72
	v_add_u32_e32 v70, 8, v70
	v_add_u32_e32 v71, 8, v71
	s_or_b64 s[6:7], vcc, s[6:7]
	s_waitcnt vmcnt(0) lgkmcnt(0)
	v_fmac_f64_e32 v[68:69], v[74:75], v[76:77]
	s_andn2_b64 exec, exec, s[6:7]
	s_cbranch_execnz .LBB31_575
; %bb.576:
	s_or_b64 exec, exec, s[6:7]
.LBB31_577:
	s_or_b64 exec, exec, s[4:5]
	v_mov_b32_e32 v70, 0
	ds_read_b64 v[70:71], v70 offset:224
	s_waitcnt lgkmcnt(0)
	v_mul_f64 v[68:69], v[68:69], v[70:71]
	scratch_store_dwordx2 off, v[68:69], off offset:224
.LBB31_578:
	s_or_b64 exec, exec, s[2:3]
	scratch_load_dwordx2 v[68:69], off, off offset:232
	v_cmp_gt_u32_e32 vcc, 29, v0
	s_waitcnt vmcnt(0)
	ds_write_b64 v1, v[68:69]
	s_waitcnt lgkmcnt(0)
	; wave barrier
	s_and_saveexec_b64 s[2:3], vcc
	s_cbranch_execz .LBB31_588
; %bb.579:
	s_and_b64 vcc, exec, s[0:1]
	s_cbranch_vccnz .LBB31_581
; %bb.580:
	scratch_load_dwordx2 v[68:69], v17, off
	ds_read_b64 v[70:71], v1
	s_waitcnt vmcnt(0) lgkmcnt(0)
	v_mul_f64 v[68:69], v[68:69], v[70:71]
	s_cbranch_execz .LBB31_582
	s_branch .LBB31_583
.LBB31_581:
                                        ; implicit-def: $vgpr68_vgpr69
.LBB31_582:
	ds_read_b64 v[68:69], v1
.LBB31_583:
	v_cmp_ne_u32_e32 vcc, 28, v0
	s_and_saveexec_b64 s[4:5], vcc
	s_cbranch_execz .LBB31_587
; %bb.584:
	s_mov_b32 s6, 0
	v_add_u32_e32 v70, 0x108, v16
	v_add3_u32 v71, v16, s6, 8
	s_mov_b64 s[6:7], 0
	v_mov_b32_e32 v72, v0
.LBB31_585:                             ; =>This Inner Loop Header: Depth=1
	scratch_load_dwordx2 v[74:75], v71, off
	ds_read_b64 v[76:77], v70
	v_add_u32_e32 v72, 1, v72
	v_cmp_lt_u32_e32 vcc, 27, v72
	v_add_u32_e32 v70, 8, v70
	v_add_u32_e32 v71, 8, v71
	s_or_b64 s[6:7], vcc, s[6:7]
	s_waitcnt vmcnt(0) lgkmcnt(0)
	v_fmac_f64_e32 v[68:69], v[74:75], v[76:77]
	s_andn2_b64 exec, exec, s[6:7]
	s_cbranch_execnz .LBB31_585
; %bb.586:
	s_or_b64 exec, exec, s[6:7]
.LBB31_587:
	s_or_b64 exec, exec, s[4:5]
	v_mov_b32_e32 v70, 0
	ds_read_b64 v[70:71], v70 offset:232
	s_waitcnt lgkmcnt(0)
	v_mul_f64 v[68:69], v[68:69], v[70:71]
	scratch_store_dwordx2 off, v[68:69], off offset:232
.LBB31_588:
	s_or_b64 exec, exec, s[2:3]
	scratch_load_dwordx2 v[68:69], off, off offset:240
	v_cmp_gt_u32_e64 s[2:3], 30, v0
	s_waitcnt vmcnt(0)
	ds_write_b64 v1, v[68:69]
	s_waitcnt lgkmcnt(0)
	; wave barrier
	s_and_saveexec_b64 s[4:5], s[2:3]
	s_cbranch_execz .LBB31_598
; %bb.589:
	s_and_b64 vcc, exec, s[0:1]
	s_cbranch_vccnz .LBB31_591
; %bb.590:
	scratch_load_dwordx2 v[68:69], v17, off
	ds_read_b64 v[70:71], v1
	s_waitcnt vmcnt(0) lgkmcnt(0)
	v_mul_f64 v[68:69], v[68:69], v[70:71]
	s_cbranch_execz .LBB31_592
	s_branch .LBB31_593
.LBB31_591:
                                        ; implicit-def: $vgpr68_vgpr69
.LBB31_592:
	ds_read_b64 v[68:69], v1
.LBB31_593:
	v_cmp_ne_u32_e32 vcc, 29, v0
	s_and_saveexec_b64 s[6:7], vcc
	s_cbranch_execz .LBB31_597
; %bb.594:
	s_mov_b32 s8, 0
	v_add_u32_e32 v70, 0x108, v16
	v_add3_u32 v71, v16, s8, 8
	s_mov_b64 s[8:9], 0
	v_mov_b32_e32 v72, v0
.LBB31_595:                             ; =>This Inner Loop Header: Depth=1
	scratch_load_dwordx2 v[74:75], v71, off
	ds_read_b64 v[76:77], v70
	v_add_u32_e32 v72, 1, v72
	v_cmp_lt_u32_e32 vcc, 28, v72
	v_add_u32_e32 v70, 8, v70
	v_add_u32_e32 v71, 8, v71
	s_or_b64 s[8:9], vcc, s[8:9]
	s_waitcnt vmcnt(0) lgkmcnt(0)
	v_fmac_f64_e32 v[68:69], v[74:75], v[76:77]
	s_andn2_b64 exec, exec, s[8:9]
	s_cbranch_execnz .LBB31_595
; %bb.596:
	s_or_b64 exec, exec, s[8:9]
.LBB31_597:
	s_or_b64 exec, exec, s[6:7]
	v_mov_b32_e32 v70, 0
	ds_read_b64 v[70:71], v70 offset:240
	s_waitcnt lgkmcnt(0)
	v_mul_f64 v[68:69], v[68:69], v[70:71]
	scratch_store_dwordx2 off, v[68:69], off offset:240
.LBB31_598:
	s_or_b64 exec, exec, s[4:5]
	scratch_load_dwordx2 v[68:69], off, off offset:248
	v_cmp_ne_u32_e32 vcc, 31, v0
	s_waitcnt vmcnt(0)
	ds_write_b64 v1, v[68:69]
	s_waitcnt lgkmcnt(0)
	; wave barrier
	s_and_saveexec_b64 s[4:5], vcc
	s_cbranch_execz .LBB31_608
; %bb.599:
	s_and_b64 vcc, exec, s[0:1]
	s_cbranch_vccnz .LBB31_601
; %bb.600:
	scratch_load_dwordx2 v[68:69], v17, off
	ds_read_b64 v[70:71], v1
	s_waitcnt vmcnt(0) lgkmcnt(0)
	v_mul_f64 v[68:69], v[68:69], v[70:71]
	s_cbranch_execz .LBB31_602
	s_branch .LBB31_603
.LBB31_601:
                                        ; implicit-def: $vgpr68_vgpr69
.LBB31_602:
	ds_read_b64 v[68:69], v1
.LBB31_603:
	s_and_saveexec_b64 s[0:1], s[2:3]
	s_cbranch_execz .LBB31_607
; %bb.604:
	s_mov_b32 s2, 0
	v_add_u32_e32 v1, 0x108, v16
	v_add3_u32 v16, v16, s2, 8
	s_mov_b64 s[2:3], 0
.LBB31_605:                             ; =>This Inner Loop Header: Depth=1
	scratch_load_dwordx2 v[70:71], v16, off
	ds_read_b64 v[72:73], v1
	v_add_u32_e32 v0, 1, v0
	v_cmp_lt_u32_e32 vcc, 29, v0
	v_add_u32_e32 v1, 8, v1
	v_add_u32_e32 v16, 8, v16
	s_or_b64 s[2:3], vcc, s[2:3]
	s_waitcnt vmcnt(0) lgkmcnt(0)
	v_fmac_f64_e32 v[68:69], v[70:71], v[72:73]
	s_andn2_b64 exec, exec, s[2:3]
	s_cbranch_execnz .LBB31_605
; %bb.606:
	s_or_b64 exec, exec, s[2:3]
.LBB31_607:
	s_or_b64 exec, exec, s[0:1]
	v_mov_b32_e32 v0, 0
	ds_read_b64 v[0:1], v0 offset:248
	s_waitcnt lgkmcnt(0)
	v_mul_f64 v[0:1], v[68:69], v[0:1]
	scratch_store_dwordx2 off, v[0:1], off offset:248
.LBB31_608:
	s_or_b64 exec, exec, s[4:5]
.LBB31_609:
	scratch_load_dwordx4 v[68:71], off, off
	s_waitcnt vmcnt(0)
	global_store_dwordx2 v[2:3], v[68:69], off
	global_store_dwordx2 v[4:5], v[70:71], off
	scratch_load_dwordx4 v[0:3], off, off offset:16
	s_waitcnt vmcnt(0)
	global_store_dwordx2 v[6:7], v[0:1], off
	global_store_dwordx2 v[8:9], v[2:3], off
	scratch_load_dwordx4 v[0:3], off, off offset:32
	s_waitcnt vmcnt(0)
	global_store_dwordx2 v[10:11], v[0:1], off
	global_store_dwordx2 v[12:13], v[2:3], off
	scratch_load_dwordx4 v[0:3], off, off offset:48
	s_waitcnt vmcnt(0)
	global_store_dwordx2 v[14:15], v[0:1], off
	global_store_dwordx2 v[18:19], v[2:3], off
	scratch_load_dwordx4 v[0:3], off, off offset:64
	s_waitcnt vmcnt(0)
	global_store_dwordx2 v[20:21], v[0:1], off
	global_store_dwordx2 v[22:23], v[2:3], off
	scratch_load_dwordx4 v[0:3], off, off offset:80
	s_waitcnt vmcnt(0)
	global_store_dwordx2 v[24:25], v[0:1], off
	global_store_dwordx2 v[26:27], v[2:3], off
	scratch_load_dwordx4 v[0:3], off, off offset:96
	s_waitcnt vmcnt(0)
	global_store_dwordx2 v[28:29], v[0:1], off
	global_store_dwordx2 v[30:31], v[2:3], off
	scratch_load_dwordx4 v[0:3], off, off offset:112
	s_waitcnt vmcnt(0)
	global_store_dwordx2 v[32:33], v[0:1], off
	global_store_dwordx2 v[34:35], v[2:3], off
	scratch_load_dwordx4 v[0:3], off, off offset:128
	s_waitcnt vmcnt(0)
	global_store_dwordx2 v[36:37], v[0:1], off
	global_store_dwordx2 v[38:39], v[2:3], off
	scratch_load_dwordx4 v[0:3], off, off offset:144
	s_waitcnt vmcnt(0)
	global_store_dwordx2 v[40:41], v[0:1], off
	global_store_dwordx2 v[42:43], v[2:3], off
	scratch_load_dwordx4 v[0:3], off, off offset:160
	s_waitcnt vmcnt(0)
	global_store_dwordx2 v[44:45], v[0:1], off
	global_store_dwordx2 v[46:47], v[2:3], off
	scratch_load_dwordx4 v[0:3], off, off offset:176
	s_waitcnt vmcnt(0)
	global_store_dwordx2 v[48:49], v[0:1], off
	global_store_dwordx2 v[50:51], v[2:3], off
	scratch_load_dwordx4 v[0:3], off, off offset:192
	s_waitcnt vmcnt(0)
	global_store_dwordx2 v[52:53], v[0:1], off
	global_store_dwordx2 v[54:55], v[2:3], off
	scratch_load_dwordx4 v[0:3], off, off offset:208
	s_waitcnt vmcnt(0)
	global_store_dwordx2 v[58:59], v[0:1], off
	global_store_dwordx2 v[62:63], v[2:3], off
	scratch_load_dwordx4 v[0:3], off, off offset:224
	s_waitcnt vmcnt(0)
	global_store_dwordx2 v[64:65], v[0:1], off
	global_store_dwordx2 v[66:67], v[2:3], off
	scratch_load_dwordx4 v[0:3], off, off offset:240
	s_waitcnt vmcnt(0)
	global_store_dwordx2 v[56:57], v[0:1], off
	global_store_dwordx2 v[60:61], v[2:3], off
.LBB31_610:
	s_endpgm
	.section	.rodata,"a",@progbits
	.p2align	6, 0x0
	.amdhsa_kernel _ZN9rocsolver6v33100L18trti2_kernel_smallILi32EdPdEEv13rocblas_fill_17rocblas_diagonal_T1_iil
		.amdhsa_group_segment_fixed_size 512
		.amdhsa_private_segment_fixed_size 272
		.amdhsa_kernarg_size 32
		.amdhsa_user_sgpr_count 2
		.amdhsa_user_sgpr_dispatch_ptr 0
		.amdhsa_user_sgpr_queue_ptr 0
		.amdhsa_user_sgpr_kernarg_segment_ptr 1
		.amdhsa_user_sgpr_dispatch_id 0
		.amdhsa_user_sgpr_kernarg_preload_length 0
		.amdhsa_user_sgpr_kernarg_preload_offset 0
		.amdhsa_user_sgpr_private_segment_size 0
		.amdhsa_uses_dynamic_stack 0
		.amdhsa_enable_private_segment 1
		.amdhsa_system_sgpr_workgroup_id_x 1
		.amdhsa_system_sgpr_workgroup_id_y 0
		.amdhsa_system_sgpr_workgroup_id_z 0
		.amdhsa_system_sgpr_workgroup_info 0
		.amdhsa_system_vgpr_workitem_id 0
		.amdhsa_next_free_vgpr 78
		.amdhsa_next_free_sgpr 26
		.amdhsa_accum_offset 80
		.amdhsa_reserve_vcc 1
		.amdhsa_float_round_mode_32 0
		.amdhsa_float_round_mode_16_64 0
		.amdhsa_float_denorm_mode_32 3
		.amdhsa_float_denorm_mode_16_64 3
		.amdhsa_dx10_clamp 1
		.amdhsa_ieee_mode 1
		.amdhsa_fp16_overflow 0
		.amdhsa_tg_split 0
		.amdhsa_exception_fp_ieee_invalid_op 0
		.amdhsa_exception_fp_denorm_src 0
		.amdhsa_exception_fp_ieee_div_zero 0
		.amdhsa_exception_fp_ieee_overflow 0
		.amdhsa_exception_fp_ieee_underflow 0
		.amdhsa_exception_fp_ieee_inexact 0
		.amdhsa_exception_int_div_zero 0
	.end_amdhsa_kernel
	.section	.text._ZN9rocsolver6v33100L18trti2_kernel_smallILi32EdPdEEv13rocblas_fill_17rocblas_diagonal_T1_iil,"axG",@progbits,_ZN9rocsolver6v33100L18trti2_kernel_smallILi32EdPdEEv13rocblas_fill_17rocblas_diagonal_T1_iil,comdat
.Lfunc_end31:
	.size	_ZN9rocsolver6v33100L18trti2_kernel_smallILi32EdPdEEv13rocblas_fill_17rocblas_diagonal_T1_iil, .Lfunc_end31-_ZN9rocsolver6v33100L18trti2_kernel_smallILi32EdPdEEv13rocblas_fill_17rocblas_diagonal_T1_iil
                                        ; -- End function
	.set _ZN9rocsolver6v33100L18trti2_kernel_smallILi32EdPdEEv13rocblas_fill_17rocblas_diagonal_T1_iil.num_vgpr, 78
	.set _ZN9rocsolver6v33100L18trti2_kernel_smallILi32EdPdEEv13rocblas_fill_17rocblas_diagonal_T1_iil.num_agpr, 0
	.set _ZN9rocsolver6v33100L18trti2_kernel_smallILi32EdPdEEv13rocblas_fill_17rocblas_diagonal_T1_iil.numbered_sgpr, 26
	.set _ZN9rocsolver6v33100L18trti2_kernel_smallILi32EdPdEEv13rocblas_fill_17rocblas_diagonal_T1_iil.num_named_barrier, 0
	.set _ZN9rocsolver6v33100L18trti2_kernel_smallILi32EdPdEEv13rocblas_fill_17rocblas_diagonal_T1_iil.private_seg_size, 272
	.set _ZN9rocsolver6v33100L18trti2_kernel_smallILi32EdPdEEv13rocblas_fill_17rocblas_diagonal_T1_iil.uses_vcc, 1
	.set _ZN9rocsolver6v33100L18trti2_kernel_smallILi32EdPdEEv13rocblas_fill_17rocblas_diagonal_T1_iil.uses_flat_scratch, 0
	.set _ZN9rocsolver6v33100L18trti2_kernel_smallILi32EdPdEEv13rocblas_fill_17rocblas_diagonal_T1_iil.has_dyn_sized_stack, 0
	.set _ZN9rocsolver6v33100L18trti2_kernel_smallILi32EdPdEEv13rocblas_fill_17rocblas_diagonal_T1_iil.has_recursion, 0
	.set _ZN9rocsolver6v33100L18trti2_kernel_smallILi32EdPdEEv13rocblas_fill_17rocblas_diagonal_T1_iil.has_indirect_call, 0
	.section	.AMDGPU.csdata,"",@progbits
; Kernel info:
; codeLenInByte = 15068
; TotalNumSgprs: 32
; NumVgprs: 78
; NumAgprs: 0
; TotalNumVgprs: 78
; ScratchSize: 272
; MemoryBound: 0
; FloatMode: 240
; IeeeMode: 1
; LDSByteSize: 512 bytes/workgroup (compile time only)
; SGPRBlocks: 3
; VGPRBlocks: 9
; NumSGPRsForWavesPerEU: 32
; NumVGPRsForWavesPerEU: 78
; AccumOffset: 80
; Occupancy: 6
; WaveLimiterHint : 0
; COMPUTE_PGM_RSRC2:SCRATCH_EN: 1
; COMPUTE_PGM_RSRC2:USER_SGPR: 2
; COMPUTE_PGM_RSRC2:TRAP_HANDLER: 0
; COMPUTE_PGM_RSRC2:TGID_X_EN: 1
; COMPUTE_PGM_RSRC2:TGID_Y_EN: 0
; COMPUTE_PGM_RSRC2:TGID_Z_EN: 0
; COMPUTE_PGM_RSRC2:TIDIG_COMP_CNT: 0
; COMPUTE_PGM_RSRC3_GFX90A:ACCUM_OFFSET: 19
; COMPUTE_PGM_RSRC3_GFX90A:TG_SPLIT: 0
	.section	.text._ZN9rocsolver6v33100L18trti2_kernel_smallILi33EdPdEEv13rocblas_fill_17rocblas_diagonal_T1_iil,"axG",@progbits,_ZN9rocsolver6v33100L18trti2_kernel_smallILi33EdPdEEv13rocblas_fill_17rocblas_diagonal_T1_iil,comdat
	.globl	_ZN9rocsolver6v33100L18trti2_kernel_smallILi33EdPdEEv13rocblas_fill_17rocblas_diagonal_T1_iil ; -- Begin function _ZN9rocsolver6v33100L18trti2_kernel_smallILi33EdPdEEv13rocblas_fill_17rocblas_diagonal_T1_iil
	.p2align	8
	.type	_ZN9rocsolver6v33100L18trti2_kernel_smallILi33EdPdEEv13rocblas_fill_17rocblas_diagonal_T1_iil,@function
_ZN9rocsolver6v33100L18trti2_kernel_smallILi33EdPdEEv13rocblas_fill_17rocblas_diagonal_T1_iil: ; @_ZN9rocsolver6v33100L18trti2_kernel_smallILi33EdPdEEv13rocblas_fill_17rocblas_diagonal_T1_iil
; %bb.0:
	v_cmp_gt_u32_e32 vcc, 33, v0
	s_and_saveexec_b64 s[4:5], vcc
	s_cbranch_execz .LBB32_630
; %bb.1:
	s_load_dwordx8 s[4:11], s[0:1], 0x0
	s_ashr_i32 s3, s2, 31
	v_lshlrev_b32_e32 v10, 3, v0
	v_mov_b32_e32 v11, 0
	s_waitcnt lgkmcnt(0)
	s_ashr_i32 s1, s8, 31
	s_mov_b32 s0, s8
	s_mul_hi_u32 s8, s10, s2
	s_mul_i32 s3, s10, s3
	s_add_i32 s3, s8, s3
	s_mul_i32 s8, s11, s2
	s_add_i32 s3, s3, s8
	s_mul_i32 s2, s10, s2
	s_lshl_b64 s[2:3], s[2:3], 3
	s_add_u32 s2, s6, s2
	s_addc_u32 s3, s7, s3
	s_lshl_b64 s[0:1], s[0:1], 3
	s_add_u32 s0, s2, s0
	s_addc_u32 s1, s3, s1
	v_lshl_add_u64 v[2:3], s[0:1], 0, v[10:11]
	s_ashr_i32 s3, s9, 31
	s_mov_b32 s2, s9
	v_lshl_add_u64 v[4:5], s[2:3], 3, v[2:3]
	global_load_dwordx2 v[6:7], v10, s[0:1]
	global_load_dwordx2 v[8:9], v[4:5], off
	s_add_i32 s2, s9, s9
	s_cmpk_lg_i32 s5, 0x84
	s_cselect_b64 s[6:7], -1, 0
	s_cmpk_eq_i32 s5, 0x84
	s_waitcnt vmcnt(0)
	scratch_store_dwordx4 off, v[6:9], off
	s_nop 1
	v_add_u32_e32 v8, s2, v0
	v_add_u32_e32 v12, s9, v8
	v_ashrrev_i32_e32 v9, 31, v8
	v_ashrrev_i32_e32 v13, 31, v12
	v_lshl_add_u64 v[6:7], v[8:9], 3, s[0:1]
	v_lshl_add_u64 v[8:9], v[12:13], 3, s[0:1]
	global_load_dwordx2 v[14:15], v[6:7], off
	global_load_dwordx2 v[16:17], v[8:9], off
	s_waitcnt vmcnt(0)
	scratch_store_dwordx4 off, v[14:17], off offset:16
	s_nop 1
	v_add_u32_e32 v14, s9, v12
	v_add_u32_e32 v16, s9, v14
	v_ashrrev_i32_e32 v15, 31, v14
	v_ashrrev_i32_e32 v17, 31, v16
	v_lshl_add_u64 v[12:13], v[14:15], 3, s[0:1]
	v_lshl_add_u64 v[14:15], v[16:17], 3, s[0:1]
	global_load_dwordx2 v[18:19], v[12:13], off
	global_load_dwordx2 v[20:21], v[14:15], off
	s_waitcnt vmcnt(0)
	scratch_store_dwordx4 off, v[18:21], off offset:32
	;; [unrolled: 11-line block ×13, first 2 shown]
	s_nop 1
	v_add_u32_e32 v62, s9, v60
	v_add_u32_e32 v64, s9, v62
	v_ashrrev_i32_e32 v63, 31, v62
	v_ashrrev_i32_e32 v65, 31, v64
	v_lshl_add_u64 v[60:61], v[62:63], 3, s[0:1]
	v_lshl_add_u64 v[62:63], v[64:65], 3, s[0:1]
	global_load_dwordx2 v[66:67], v[60:61], off
	global_load_dwordx2 v[68:69], v[62:63], off
	v_add_u32_e32 v64, s9, v64
	v_ashrrev_i32_e32 v65, 31, v64
	s_waitcnt vmcnt(0)
	scratch_store_dwordx4 off, v[66:69], off offset:224
	s_nop 1
	v_lshl_add_u64 v[66:67], v[64:65], 3, s[0:1]
	v_add_u32_e32 v64, s9, v64
	v_ashrrev_i32_e32 v65, 31, v64
	v_lshl_add_u64 v[68:69], v[64:65], 3, s[0:1]
	global_load_dwordx2 v[70:71], v[66:67], off
	global_load_dwordx2 v[72:73], v[68:69], off
	v_add_u32_e32 v64, s9, v64
	v_ashrrev_i32_e32 v65, 31, v64
	v_lshl_add_u64 v[64:65], v[64:65], 3, s[0:1]
	s_waitcnt vmcnt(0)
	scratch_store_dwordx4 off, v[70:73], off offset:240
	global_load_dwordx2 v[70:71], v[64:65], off
	s_waitcnt vmcnt(0)
	scratch_store_dwordx2 off, v[70:71], off offset:256
	v_mov_b64_e32 v[70:71], -1.0
	s_cbranch_scc1 .LBB32_3
; %bb.2:
	scratch_load_dwordx2 v[70:71], v10, off
	s_waitcnt vmcnt(0)
	v_div_scale_f64 v[72:73], s[0:1], v[70:71], v[70:71], 1.0
	v_rcp_f64_e32 v[74:75], v[72:73]
	v_div_scale_f64 v[76:77], vcc, 1.0, v[70:71], 1.0
	v_fma_f64 v[78:79], -v[72:73], v[74:75], 1.0
	v_fmac_f64_e32 v[74:75], v[74:75], v[78:79]
	v_fma_f64 v[78:79], -v[72:73], v[74:75], 1.0
	v_fmac_f64_e32 v[74:75], v[74:75], v[78:79]
	v_mul_f64 v[78:79], v[76:77], v[74:75]
	v_fma_f64 v[72:73], -v[72:73], v[78:79], v[76:77]
	v_div_fmas_f64 v[72:73], v[72:73], v[74:75], v[78:79]
	v_div_fixup_f64 v[70:71], v[72:73], v[70:71], 1.0
	scratch_store_dwordx2 v10, v[70:71], off
	v_xor_b32_e32 v71, 0x80000000, v71
.LBB32_3:
	s_cmpk_eq_i32 s4, 0x79
	v_add_u32_e32 v1, 0x110, v10
	v_mov_b32_e32 v11, v10
	s_mov_b64 s[0:1], -1
	ds_write_b64 v10, v[70:71]
	s_cbranch_scc1 .LBB32_317
; %bb.4:
	scratch_load_dwordx2 v[70:71], off, off offset:248
	s_movk_i32 s8, 0x50
	s_movk_i32 s9, 0x60
	;; [unrolled: 1-line block ×11, first 2 shown]
	v_cmp_eq_u32_e64 s[0:1], 32, v0
	s_waitcnt vmcnt(0)
	ds_write_b64 v1, v[70:71]
	s_waitcnt lgkmcnt(0)
	; wave barrier
	s_and_saveexec_b64 s[2:3], s[0:1]
	s_cbranch_execz .LBB32_10
; %bb.5:
	s_and_b64 vcc, exec, s[6:7]
	s_cbranch_vccz .LBB32_7
; %bb.6:
	scratch_load_dwordx2 v[70:71], v11, off
	ds_read_b64 v[72:73], v1
	s_waitcnt vmcnt(0) lgkmcnt(0)
	v_mul_f64 v[70:71], v[70:71], v[72:73]
	s_cbranch_execz .LBB32_8
	s_branch .LBB32_9
.LBB32_7:
                                        ; implicit-def: $vgpr70_vgpr71
.LBB32_8:
	ds_read_b64 v[70:71], v1
.LBB32_9:
	v_mov_b32_e32 v72, 0
	ds_read_b64 v[72:73], v72 offset:248
	s_waitcnt lgkmcnt(0)
	v_mul_f64 v[70:71], v[70:71], v[72:73]
	scratch_store_dwordx2 off, v[70:71], off offset:248
.LBB32_10:
	s_or_b64 exec, exec, s[2:3]
	scratch_load_dwordx2 v[70:71], off, off offset:240
	s_mov_b32 s10, 16
	s_mov_b32 s11, 32
	;; [unrolled: 1-line block ×6, first 2 shown]
	v_cmp_lt_u32_e64 s[4:5], 30, v0
	s_waitcnt vmcnt(0)
	ds_write_b64 v1, v[70:71]
	s_waitcnt lgkmcnt(0)
	; wave barrier
	s_and_saveexec_b64 s[2:3], s[4:5]
	s_cbranch_execz .LBB32_16
; %bb.11:
	s_andn2_b64 vcc, exec, s[6:7]
	s_cbranch_vccnz .LBB32_13
; %bb.12:
	scratch_load_dwordx2 v[70:71], v11, off
	ds_read_b64 v[72:73], v1
	s_waitcnt vmcnt(0) lgkmcnt(0)
	v_mul_f64 v[70:71], v[70:71], v[72:73]
	s_cbranch_execz .LBB32_14
	s_branch .LBB32_15
.LBB32_13:
                                        ; implicit-def: $vgpr70_vgpr71
.LBB32_14:
	ds_read_b64 v[70:71], v1
.LBB32_15:
	scratch_load_dwordx2 v[76:77], off, off offset:248
	v_mov_b32_e32 v72, 0
	ds_read2_b64 v[72:75], v72 offset0:30 offset1:65
	s_waitcnt vmcnt(0) lgkmcnt(0)
	v_fma_f64 v[74:75], v[76:77], v[74:75], v[70:71]
	v_cndmask_b32_e64 v71, v71, v75, s[0:1]
	v_cndmask_b32_e64 v70, v70, v74, s[0:1]
	v_mul_f64 v[70:71], v[70:71], v[72:73]
	scratch_store_dwordx2 off, v[70:71], off offset:240
.LBB32_16:
	s_or_b64 exec, exec, s[2:3]
	scratch_load_dwordx2 v[70:71], off, off offset:232
	v_cmp_lt_u32_e64 s[2:3], 29, v0
	s_waitcnt vmcnt(0)
	ds_write_b64 v1, v[70:71]
	s_waitcnt lgkmcnt(0)
	; wave barrier
	s_and_saveexec_b64 s[0:1], s[2:3]
	s_cbranch_execz .LBB32_26
; %bb.17:
	s_andn2_b64 vcc, exec, s[6:7]
	s_cbranch_vccnz .LBB32_19
; %bb.18:
	scratch_load_dwordx2 v[70:71], v11, off
	ds_read_b64 v[72:73], v1
	s_waitcnt vmcnt(0) lgkmcnt(0)
	v_mul_f64 v[70:71], v[70:71], v[72:73]
	s_cbranch_execz .LBB32_20
	s_branch .LBB32_21
.LBB32_19:
                                        ; implicit-def: $vgpr70_vgpr71
.LBB32_20:
	ds_read_b64 v[70:71], v1
.LBB32_21:
	s_and_saveexec_b64 s[8:9], s[4:5]
	s_cbranch_execz .LBB32_25
; %bb.22:
	v_subrev_u32_e32 v72, 30, v0
	s_movk_i32 s25, 0x200
	s_mov_b64 s[4:5], 0
.LBB32_23:                              ; =>This Inner Loop Header: Depth=1
	scratch_load_dwordx2 v[74:75], off, s24
	v_mov_b32_e32 v73, s25
	ds_read_b64 v[76:77], v73
	v_add_u32_e32 v72, -1, v72
	s_add_i32 s25, s25, 8
	s_add_i32 s24, s24, 8
	v_cmp_eq_u32_e32 vcc, 0, v72
	s_or_b64 s[4:5], vcc, s[4:5]
	s_waitcnt vmcnt(0) lgkmcnt(0)
	v_fmac_f64_e32 v[70:71], v[74:75], v[76:77]
	s_andn2_b64 exec, exec, s[4:5]
	s_cbranch_execnz .LBB32_23
; %bb.24:
	s_or_b64 exec, exec, s[4:5]
.LBB32_25:
	s_or_b64 exec, exec, s[8:9]
	v_mov_b32_e32 v72, 0
	ds_read_b64 v[72:73], v72 offset:232
	s_waitcnt lgkmcnt(0)
	v_mul_f64 v[70:71], v[70:71], v[72:73]
	scratch_store_dwordx2 off, v[70:71], off offset:232
.LBB32_26:
	s_or_b64 exec, exec, s[0:1]
	scratch_load_dwordx2 v[70:71], off, off offset:224
	v_cmp_lt_u32_e64 s[0:1], 28, v0
	s_waitcnt vmcnt(0)
	ds_write_b64 v1, v[70:71]
	s_waitcnt lgkmcnt(0)
	; wave barrier
	s_and_saveexec_b64 s[4:5], s[0:1]
	s_cbranch_execz .LBB32_36
; %bb.27:
	s_andn2_b64 vcc, exec, s[6:7]
	s_cbranch_vccnz .LBB32_29
; %bb.28:
	scratch_load_dwordx2 v[70:71], v11, off
	ds_read_b64 v[72:73], v1
	s_waitcnt vmcnt(0) lgkmcnt(0)
	v_mul_f64 v[70:71], v[70:71], v[72:73]
	s_cbranch_execz .LBB32_30
	s_branch .LBB32_31
.LBB32_29:
                                        ; implicit-def: $vgpr70_vgpr71
.LBB32_30:
	ds_read_b64 v[70:71], v1
.LBB32_31:
	s_and_saveexec_b64 s[8:9], s[2:3]
	s_cbranch_execz .LBB32_35
; %bb.32:
	s_movk_i32 s24, 0xe8
	v_subrev_u32_e32 v72, 29, v0
	s_movk_i32 s25, 0x1f8
	s_mov_b64 s[2:3], 0
.LBB32_33:                              ; =>This Inner Loop Header: Depth=1
	scratch_load_dwordx2 v[74:75], off, s24
	v_mov_b32_e32 v73, s25
	ds_read_b64 v[76:77], v73
	v_add_u32_e32 v72, -1, v72
	s_add_i32 s25, s25, 8
	s_add_i32 s24, s24, 8
	v_cmp_eq_u32_e32 vcc, 0, v72
	s_or_b64 s[2:3], vcc, s[2:3]
	s_waitcnt vmcnt(0) lgkmcnt(0)
	v_fmac_f64_e32 v[70:71], v[74:75], v[76:77]
	s_andn2_b64 exec, exec, s[2:3]
	s_cbranch_execnz .LBB32_33
; %bb.34:
	s_or_b64 exec, exec, s[2:3]
.LBB32_35:
	s_or_b64 exec, exec, s[8:9]
	v_mov_b32_e32 v72, 0
	ds_read_b64 v[72:73], v72 offset:224
	s_waitcnt lgkmcnt(0)
	v_mul_f64 v[70:71], v[70:71], v[72:73]
	scratch_store_dwordx2 off, v[70:71], off offset:224
.LBB32_36:
	s_or_b64 exec, exec, s[4:5]
	scratch_load_dwordx2 v[70:71], off, off offset:216
	v_cmp_lt_u32_e64 s[2:3], 27, v0
	s_waitcnt vmcnt(0)
	ds_write_b64 v1, v[70:71]
	s_waitcnt lgkmcnt(0)
	; wave barrier
	s_and_saveexec_b64 s[4:5], s[2:3]
	s_cbranch_execz .LBB32_46
; %bb.37:
	s_andn2_b64 vcc, exec, s[6:7]
	s_cbranch_vccnz .LBB32_39
; %bb.38:
	scratch_load_dwordx2 v[70:71], v11, off
	ds_read_b64 v[72:73], v1
	s_waitcnt vmcnt(0) lgkmcnt(0)
	v_mul_f64 v[70:71], v[70:71], v[72:73]
	s_cbranch_execz .LBB32_40
	s_branch .LBB32_41
.LBB32_39:
                                        ; implicit-def: $vgpr70_vgpr71
.LBB32_40:
	ds_read_b64 v[70:71], v1
.LBB32_41:
	s_and_saveexec_b64 s[8:9], s[0:1]
	s_cbranch_execz .LBB32_45
; %bb.42:
	v_subrev_u32_e32 v72, 28, v0
	s_movk_i32 s24, 0x1f0
	s_mov_b64 s[0:1], 0
.LBB32_43:                              ; =>This Inner Loop Header: Depth=1
	scratch_load_dwordx2 v[74:75], off, s23
	v_mov_b32_e32 v73, s24
	ds_read_b64 v[76:77], v73
	v_add_u32_e32 v72, -1, v72
	s_add_i32 s24, s24, 8
	s_add_i32 s23, s23, 8
	v_cmp_eq_u32_e32 vcc, 0, v72
	s_or_b64 s[0:1], vcc, s[0:1]
	s_waitcnt vmcnt(0) lgkmcnt(0)
	v_fmac_f64_e32 v[70:71], v[74:75], v[76:77]
	s_andn2_b64 exec, exec, s[0:1]
	s_cbranch_execnz .LBB32_43
; %bb.44:
	s_or_b64 exec, exec, s[0:1]
.LBB32_45:
	s_or_b64 exec, exec, s[8:9]
	v_mov_b32_e32 v72, 0
	ds_read_b64 v[72:73], v72 offset:216
	s_waitcnt lgkmcnt(0)
	v_mul_f64 v[70:71], v[70:71], v[72:73]
	scratch_store_dwordx2 off, v[70:71], off offset:216
.LBB32_46:
	s_or_b64 exec, exec, s[4:5]
	scratch_load_dwordx2 v[70:71], off, off offset:208
	v_cmp_lt_u32_e64 s[0:1], 26, v0
	s_waitcnt vmcnt(0)
	ds_write_b64 v1, v[70:71]
	s_waitcnt lgkmcnt(0)
	; wave barrier
	s_and_saveexec_b64 s[4:5], s[0:1]
	s_cbranch_execz .LBB32_56
; %bb.47:
	s_andn2_b64 vcc, exec, s[6:7]
	s_cbranch_vccnz .LBB32_49
; %bb.48:
	scratch_load_dwordx2 v[70:71], v11, off
	ds_read_b64 v[72:73], v1
	s_waitcnt vmcnt(0) lgkmcnt(0)
	v_mul_f64 v[70:71], v[70:71], v[72:73]
	s_cbranch_execz .LBB32_50
	s_branch .LBB32_51
.LBB32_49:
                                        ; implicit-def: $vgpr70_vgpr71
.LBB32_50:
	ds_read_b64 v[70:71], v1
.LBB32_51:
	s_and_saveexec_b64 s[8:9], s[2:3]
	s_cbranch_execz .LBB32_55
; %bb.52:
	s_movk_i32 s23, 0xd8
	v_subrev_u32_e32 v72, 27, v0
	s_movk_i32 s24, 0x1e8
	s_mov_b64 s[2:3], 0
.LBB32_53:                              ; =>This Inner Loop Header: Depth=1
	scratch_load_dwordx2 v[74:75], off, s23
	v_mov_b32_e32 v73, s24
	ds_read_b64 v[76:77], v73
	v_add_u32_e32 v72, -1, v72
	s_add_i32 s24, s24, 8
	s_add_i32 s23, s23, 8
	v_cmp_eq_u32_e32 vcc, 0, v72
	s_or_b64 s[2:3], vcc, s[2:3]
	s_waitcnt vmcnt(0) lgkmcnt(0)
	v_fmac_f64_e32 v[70:71], v[74:75], v[76:77]
	s_andn2_b64 exec, exec, s[2:3]
	s_cbranch_execnz .LBB32_53
; %bb.54:
	s_or_b64 exec, exec, s[2:3]
.LBB32_55:
	s_or_b64 exec, exec, s[8:9]
	v_mov_b32_e32 v72, 0
	ds_read_b64 v[72:73], v72 offset:208
	s_waitcnt lgkmcnt(0)
	v_mul_f64 v[70:71], v[70:71], v[72:73]
	scratch_store_dwordx2 off, v[70:71], off offset:208
.LBB32_56:
	s_or_b64 exec, exec, s[4:5]
	scratch_load_dwordx2 v[70:71], off, off offset:200
	v_cmp_lt_u32_e64 s[2:3], 25, v0
	s_waitcnt vmcnt(0)
	ds_write_b64 v1, v[70:71]
	s_waitcnt lgkmcnt(0)
	; wave barrier
	s_and_saveexec_b64 s[4:5], s[2:3]
	s_cbranch_execz .LBB32_66
; %bb.57:
	s_andn2_b64 vcc, exec, s[6:7]
	s_cbranch_vccnz .LBB32_59
; %bb.58:
	scratch_load_dwordx2 v[70:71], v11, off
	ds_read_b64 v[72:73], v1
	s_waitcnt vmcnt(0) lgkmcnt(0)
	v_mul_f64 v[70:71], v[70:71], v[72:73]
	s_cbranch_execz .LBB32_60
	s_branch .LBB32_61
.LBB32_59:
                                        ; implicit-def: $vgpr70_vgpr71
.LBB32_60:
	ds_read_b64 v[70:71], v1
.LBB32_61:
	s_and_saveexec_b64 s[8:9], s[0:1]
	s_cbranch_execz .LBB32_65
; %bb.62:
	v_subrev_u32_e32 v72, 26, v0
	s_movk_i32 s23, 0x1e0
	s_mov_b64 s[0:1], 0
.LBB32_63:                              ; =>This Inner Loop Header: Depth=1
	scratch_load_dwordx2 v[74:75], off, s22
	v_mov_b32_e32 v73, s23
	ds_read_b64 v[76:77], v73
	v_add_u32_e32 v72, -1, v72
	s_add_i32 s23, s23, 8
	s_add_i32 s22, s22, 8
	v_cmp_eq_u32_e32 vcc, 0, v72
	s_or_b64 s[0:1], vcc, s[0:1]
	s_waitcnt vmcnt(0) lgkmcnt(0)
	v_fmac_f64_e32 v[70:71], v[74:75], v[76:77]
	s_andn2_b64 exec, exec, s[0:1]
	s_cbranch_execnz .LBB32_63
; %bb.64:
	s_or_b64 exec, exec, s[0:1]
.LBB32_65:
	s_or_b64 exec, exec, s[8:9]
	v_mov_b32_e32 v72, 0
	ds_read_b64 v[72:73], v72 offset:200
	s_waitcnt lgkmcnt(0)
	v_mul_f64 v[70:71], v[70:71], v[72:73]
	scratch_store_dwordx2 off, v[70:71], off offset:200
.LBB32_66:
	s_or_b64 exec, exec, s[4:5]
	scratch_load_dwordx2 v[70:71], off, off offset:192
	v_cmp_lt_u32_e64 s[0:1], 24, v0
	s_waitcnt vmcnt(0)
	ds_write_b64 v1, v[70:71]
	s_waitcnt lgkmcnt(0)
	; wave barrier
	s_and_saveexec_b64 s[4:5], s[0:1]
	s_cbranch_execz .LBB32_76
; %bb.67:
	s_andn2_b64 vcc, exec, s[6:7]
	s_cbranch_vccnz .LBB32_69
; %bb.68:
	scratch_load_dwordx2 v[70:71], v11, off
	ds_read_b64 v[72:73], v1
	s_waitcnt vmcnt(0) lgkmcnt(0)
	v_mul_f64 v[70:71], v[70:71], v[72:73]
	s_cbranch_execz .LBB32_70
	s_branch .LBB32_71
.LBB32_69:
                                        ; implicit-def: $vgpr70_vgpr71
.LBB32_70:
	ds_read_b64 v[70:71], v1
.LBB32_71:
	s_and_saveexec_b64 s[8:9], s[2:3]
	s_cbranch_execz .LBB32_75
; %bb.72:
	s_movk_i32 s22, 0xc8
	v_subrev_u32_e32 v72, 25, v0
	s_movk_i32 s23, 0x1d8
	s_mov_b64 s[2:3], 0
.LBB32_73:                              ; =>This Inner Loop Header: Depth=1
	scratch_load_dwordx2 v[74:75], off, s22
	v_mov_b32_e32 v73, s23
	ds_read_b64 v[76:77], v73
	v_add_u32_e32 v72, -1, v72
	s_add_i32 s23, s23, 8
	s_add_i32 s22, s22, 8
	v_cmp_eq_u32_e32 vcc, 0, v72
	s_or_b64 s[2:3], vcc, s[2:3]
	s_waitcnt vmcnt(0) lgkmcnt(0)
	v_fmac_f64_e32 v[70:71], v[74:75], v[76:77]
	s_andn2_b64 exec, exec, s[2:3]
	s_cbranch_execnz .LBB32_73
; %bb.74:
	s_or_b64 exec, exec, s[2:3]
.LBB32_75:
	s_or_b64 exec, exec, s[8:9]
	v_mov_b32_e32 v72, 0
	ds_read_b64 v[72:73], v72 offset:192
	s_waitcnt lgkmcnt(0)
	v_mul_f64 v[70:71], v[70:71], v[72:73]
	scratch_store_dwordx2 off, v[70:71], off offset:192
.LBB32_76:
	s_or_b64 exec, exec, s[4:5]
	scratch_load_dwordx2 v[70:71], off, off offset:184
	v_cmp_lt_u32_e64 s[2:3], 23, v0
	s_waitcnt vmcnt(0)
	ds_write_b64 v1, v[70:71]
	s_waitcnt lgkmcnt(0)
	; wave barrier
	s_and_saveexec_b64 s[4:5], s[2:3]
	s_cbranch_execz .LBB32_86
; %bb.77:
	s_andn2_b64 vcc, exec, s[6:7]
	s_cbranch_vccnz .LBB32_79
; %bb.78:
	scratch_load_dwordx2 v[70:71], v11, off
	ds_read_b64 v[72:73], v1
	s_waitcnt vmcnt(0) lgkmcnt(0)
	v_mul_f64 v[70:71], v[70:71], v[72:73]
	s_cbranch_execz .LBB32_80
	s_branch .LBB32_81
.LBB32_79:
                                        ; implicit-def: $vgpr70_vgpr71
.LBB32_80:
	ds_read_b64 v[70:71], v1
.LBB32_81:
	s_and_saveexec_b64 s[8:9], s[0:1]
	s_cbranch_execz .LBB32_85
; %bb.82:
	v_subrev_u32_e32 v72, 24, v0
	s_movk_i32 s22, 0x1d0
	s_mov_b64 s[0:1], 0
.LBB32_83:                              ; =>This Inner Loop Header: Depth=1
	scratch_load_dwordx2 v[74:75], off, s21
	v_mov_b32_e32 v73, s22
	ds_read_b64 v[76:77], v73
	v_add_u32_e32 v72, -1, v72
	s_add_i32 s22, s22, 8
	s_add_i32 s21, s21, 8
	v_cmp_eq_u32_e32 vcc, 0, v72
	s_or_b64 s[0:1], vcc, s[0:1]
	s_waitcnt vmcnt(0) lgkmcnt(0)
	v_fmac_f64_e32 v[70:71], v[74:75], v[76:77]
	s_andn2_b64 exec, exec, s[0:1]
	s_cbranch_execnz .LBB32_83
; %bb.84:
	s_or_b64 exec, exec, s[0:1]
.LBB32_85:
	s_or_b64 exec, exec, s[8:9]
	v_mov_b32_e32 v72, 0
	ds_read_b64 v[72:73], v72 offset:184
	s_waitcnt lgkmcnt(0)
	v_mul_f64 v[70:71], v[70:71], v[72:73]
	scratch_store_dwordx2 off, v[70:71], off offset:184
.LBB32_86:
	s_or_b64 exec, exec, s[4:5]
	scratch_load_dwordx2 v[70:71], off, off offset:176
	v_cmp_lt_u32_e64 s[0:1], 22, v0
	s_waitcnt vmcnt(0)
	ds_write_b64 v1, v[70:71]
	s_waitcnt lgkmcnt(0)
	; wave barrier
	s_and_saveexec_b64 s[4:5], s[0:1]
	s_cbranch_execz .LBB32_96
; %bb.87:
	s_andn2_b64 vcc, exec, s[6:7]
	s_cbranch_vccnz .LBB32_89
; %bb.88:
	scratch_load_dwordx2 v[70:71], v11, off
	ds_read_b64 v[72:73], v1
	s_waitcnt vmcnt(0) lgkmcnt(0)
	v_mul_f64 v[70:71], v[70:71], v[72:73]
	s_cbranch_execz .LBB32_90
	s_branch .LBB32_91
.LBB32_89:
                                        ; implicit-def: $vgpr70_vgpr71
.LBB32_90:
	ds_read_b64 v[70:71], v1
.LBB32_91:
	s_and_saveexec_b64 s[8:9], s[2:3]
	s_cbranch_execz .LBB32_95
; %bb.92:
	s_movk_i32 s21, 0xb8
	v_subrev_u32_e32 v72, 23, v0
	s_movk_i32 s22, 0x1c8
	s_mov_b64 s[2:3], 0
.LBB32_93:                              ; =>This Inner Loop Header: Depth=1
	scratch_load_dwordx2 v[74:75], off, s21
	v_mov_b32_e32 v73, s22
	ds_read_b64 v[76:77], v73
	v_add_u32_e32 v72, -1, v72
	s_add_i32 s22, s22, 8
	s_add_i32 s21, s21, 8
	v_cmp_eq_u32_e32 vcc, 0, v72
	s_or_b64 s[2:3], vcc, s[2:3]
	s_waitcnt vmcnt(0) lgkmcnt(0)
	v_fmac_f64_e32 v[70:71], v[74:75], v[76:77]
	s_andn2_b64 exec, exec, s[2:3]
	s_cbranch_execnz .LBB32_93
; %bb.94:
	s_or_b64 exec, exec, s[2:3]
.LBB32_95:
	s_or_b64 exec, exec, s[8:9]
	v_mov_b32_e32 v72, 0
	ds_read_b64 v[72:73], v72 offset:176
	s_waitcnt lgkmcnt(0)
	v_mul_f64 v[70:71], v[70:71], v[72:73]
	scratch_store_dwordx2 off, v[70:71], off offset:176
.LBB32_96:
	s_or_b64 exec, exec, s[4:5]
	scratch_load_dwordx2 v[70:71], off, off offset:168
	v_cmp_lt_u32_e64 s[2:3], 21, v0
	s_waitcnt vmcnt(0)
	ds_write_b64 v1, v[70:71]
	s_waitcnt lgkmcnt(0)
	; wave barrier
	s_and_saveexec_b64 s[4:5], s[2:3]
	s_cbranch_execz .LBB32_106
; %bb.97:
	s_andn2_b64 vcc, exec, s[6:7]
	s_cbranch_vccnz .LBB32_99
; %bb.98:
	scratch_load_dwordx2 v[70:71], v11, off
	ds_read_b64 v[72:73], v1
	s_waitcnt vmcnt(0) lgkmcnt(0)
	v_mul_f64 v[70:71], v[70:71], v[72:73]
	s_cbranch_execz .LBB32_100
	s_branch .LBB32_101
.LBB32_99:
                                        ; implicit-def: $vgpr70_vgpr71
.LBB32_100:
	ds_read_b64 v[70:71], v1
.LBB32_101:
	s_and_saveexec_b64 s[8:9], s[0:1]
	s_cbranch_execz .LBB32_105
; %bb.102:
	v_subrev_u32_e32 v72, 22, v0
	s_movk_i32 s21, 0x1c0
	s_mov_b64 s[0:1], 0
.LBB32_103:                             ; =>This Inner Loop Header: Depth=1
	scratch_load_dwordx2 v[74:75], off, s20
	v_mov_b32_e32 v73, s21
	ds_read_b64 v[76:77], v73
	v_add_u32_e32 v72, -1, v72
	s_add_i32 s21, s21, 8
	s_add_i32 s20, s20, 8
	v_cmp_eq_u32_e32 vcc, 0, v72
	s_or_b64 s[0:1], vcc, s[0:1]
	s_waitcnt vmcnt(0) lgkmcnt(0)
	v_fmac_f64_e32 v[70:71], v[74:75], v[76:77]
	s_andn2_b64 exec, exec, s[0:1]
	s_cbranch_execnz .LBB32_103
; %bb.104:
	s_or_b64 exec, exec, s[0:1]
.LBB32_105:
	s_or_b64 exec, exec, s[8:9]
	v_mov_b32_e32 v72, 0
	ds_read_b64 v[72:73], v72 offset:168
	s_waitcnt lgkmcnt(0)
	v_mul_f64 v[70:71], v[70:71], v[72:73]
	scratch_store_dwordx2 off, v[70:71], off offset:168
.LBB32_106:
	s_or_b64 exec, exec, s[4:5]
	scratch_load_dwordx2 v[70:71], off, off offset:160
	v_cmp_lt_u32_e64 s[0:1], 20, v0
	s_waitcnt vmcnt(0)
	ds_write_b64 v1, v[70:71]
	s_waitcnt lgkmcnt(0)
	; wave barrier
	s_and_saveexec_b64 s[4:5], s[0:1]
	s_cbranch_execz .LBB32_116
; %bb.107:
	s_andn2_b64 vcc, exec, s[6:7]
	s_cbranch_vccnz .LBB32_109
; %bb.108:
	scratch_load_dwordx2 v[70:71], v11, off
	ds_read_b64 v[72:73], v1
	s_waitcnt vmcnt(0) lgkmcnt(0)
	v_mul_f64 v[70:71], v[70:71], v[72:73]
	s_cbranch_execz .LBB32_110
	s_branch .LBB32_111
.LBB32_109:
                                        ; implicit-def: $vgpr70_vgpr71
.LBB32_110:
	ds_read_b64 v[70:71], v1
.LBB32_111:
	s_and_saveexec_b64 s[8:9], s[2:3]
	s_cbranch_execz .LBB32_115
; %bb.112:
	s_movk_i32 s20, 0xa8
	v_subrev_u32_e32 v72, 21, v0
	s_movk_i32 s21, 0x1b8
	s_mov_b64 s[2:3], 0
.LBB32_113:                             ; =>This Inner Loop Header: Depth=1
	scratch_load_dwordx2 v[74:75], off, s20
	v_mov_b32_e32 v73, s21
	ds_read_b64 v[76:77], v73
	v_add_u32_e32 v72, -1, v72
	s_add_i32 s21, s21, 8
	s_add_i32 s20, s20, 8
	v_cmp_eq_u32_e32 vcc, 0, v72
	s_or_b64 s[2:3], vcc, s[2:3]
	s_waitcnt vmcnt(0) lgkmcnt(0)
	v_fmac_f64_e32 v[70:71], v[74:75], v[76:77]
	s_andn2_b64 exec, exec, s[2:3]
	s_cbranch_execnz .LBB32_113
; %bb.114:
	s_or_b64 exec, exec, s[2:3]
.LBB32_115:
	s_or_b64 exec, exec, s[8:9]
	v_mov_b32_e32 v72, 0
	ds_read_b64 v[72:73], v72 offset:160
	s_waitcnt lgkmcnt(0)
	v_mul_f64 v[70:71], v[70:71], v[72:73]
	scratch_store_dwordx2 off, v[70:71], off offset:160
.LBB32_116:
	s_or_b64 exec, exec, s[4:5]
	scratch_load_dwordx2 v[70:71], off, off offset:152
	v_cmp_lt_u32_e64 s[2:3], 19, v0
	s_waitcnt vmcnt(0)
	ds_write_b64 v1, v[70:71]
	s_waitcnt lgkmcnt(0)
	; wave barrier
	s_and_saveexec_b64 s[4:5], s[2:3]
	s_cbranch_execz .LBB32_126
; %bb.117:
	s_andn2_b64 vcc, exec, s[6:7]
	s_cbranch_vccnz .LBB32_119
; %bb.118:
	scratch_load_dwordx2 v[70:71], v11, off
	ds_read_b64 v[72:73], v1
	s_waitcnt vmcnt(0) lgkmcnt(0)
	v_mul_f64 v[70:71], v[70:71], v[72:73]
	s_cbranch_execz .LBB32_120
	s_branch .LBB32_121
.LBB32_119:
                                        ; implicit-def: $vgpr70_vgpr71
.LBB32_120:
	ds_read_b64 v[70:71], v1
.LBB32_121:
	s_and_saveexec_b64 s[8:9], s[0:1]
	s_cbranch_execz .LBB32_125
; %bb.122:
	v_subrev_u32_e32 v72, 20, v0
	s_movk_i32 s20, 0x1b0
	s_mov_b64 s[0:1], 0
.LBB32_123:                             ; =>This Inner Loop Header: Depth=1
	scratch_load_dwordx2 v[74:75], off, s19
	v_mov_b32_e32 v73, s20
	ds_read_b64 v[76:77], v73
	v_add_u32_e32 v72, -1, v72
	s_add_i32 s20, s20, 8
	s_add_i32 s19, s19, 8
	v_cmp_eq_u32_e32 vcc, 0, v72
	s_or_b64 s[0:1], vcc, s[0:1]
	s_waitcnt vmcnt(0) lgkmcnt(0)
	v_fmac_f64_e32 v[70:71], v[74:75], v[76:77]
	s_andn2_b64 exec, exec, s[0:1]
	s_cbranch_execnz .LBB32_123
; %bb.124:
	s_or_b64 exec, exec, s[0:1]
.LBB32_125:
	s_or_b64 exec, exec, s[8:9]
	v_mov_b32_e32 v72, 0
	ds_read_b64 v[72:73], v72 offset:152
	s_waitcnt lgkmcnt(0)
	v_mul_f64 v[70:71], v[70:71], v[72:73]
	scratch_store_dwordx2 off, v[70:71], off offset:152
.LBB32_126:
	s_or_b64 exec, exec, s[4:5]
	scratch_load_dwordx2 v[70:71], off, off offset:144
	v_cmp_lt_u32_e64 s[0:1], 18, v0
	s_waitcnt vmcnt(0)
	ds_write_b64 v1, v[70:71]
	s_waitcnt lgkmcnt(0)
	; wave barrier
	s_and_saveexec_b64 s[4:5], s[0:1]
	s_cbranch_execz .LBB32_136
; %bb.127:
	s_andn2_b64 vcc, exec, s[6:7]
	s_cbranch_vccnz .LBB32_129
; %bb.128:
	scratch_load_dwordx2 v[70:71], v11, off
	ds_read_b64 v[72:73], v1
	s_waitcnt vmcnt(0) lgkmcnt(0)
	v_mul_f64 v[70:71], v[70:71], v[72:73]
	s_cbranch_execz .LBB32_130
	s_branch .LBB32_131
.LBB32_129:
                                        ; implicit-def: $vgpr70_vgpr71
.LBB32_130:
	ds_read_b64 v[70:71], v1
.LBB32_131:
	s_and_saveexec_b64 s[8:9], s[2:3]
	s_cbranch_execz .LBB32_135
; %bb.132:
	s_movk_i32 s19, 0x98
	v_subrev_u32_e32 v72, 19, v0
	s_movk_i32 s20, 0x1a8
	s_mov_b64 s[2:3], 0
.LBB32_133:                             ; =>This Inner Loop Header: Depth=1
	scratch_load_dwordx2 v[74:75], off, s19
	v_mov_b32_e32 v73, s20
	ds_read_b64 v[76:77], v73
	v_add_u32_e32 v72, -1, v72
	s_add_i32 s20, s20, 8
	s_add_i32 s19, s19, 8
	v_cmp_eq_u32_e32 vcc, 0, v72
	s_or_b64 s[2:3], vcc, s[2:3]
	s_waitcnt vmcnt(0) lgkmcnt(0)
	v_fmac_f64_e32 v[70:71], v[74:75], v[76:77]
	s_andn2_b64 exec, exec, s[2:3]
	s_cbranch_execnz .LBB32_133
; %bb.134:
	s_or_b64 exec, exec, s[2:3]
.LBB32_135:
	s_or_b64 exec, exec, s[8:9]
	v_mov_b32_e32 v72, 0
	ds_read_b64 v[72:73], v72 offset:144
	s_waitcnt lgkmcnt(0)
	v_mul_f64 v[70:71], v[70:71], v[72:73]
	scratch_store_dwordx2 off, v[70:71], off offset:144
.LBB32_136:
	s_or_b64 exec, exec, s[4:5]
	scratch_load_dwordx2 v[70:71], off, off offset:136
	v_cmp_lt_u32_e64 s[2:3], 17, v0
	s_waitcnt vmcnt(0)
	ds_write_b64 v1, v[70:71]
	s_waitcnt lgkmcnt(0)
	; wave barrier
	s_and_saveexec_b64 s[4:5], s[2:3]
	s_cbranch_execz .LBB32_146
; %bb.137:
	s_andn2_b64 vcc, exec, s[6:7]
	s_cbranch_vccnz .LBB32_139
; %bb.138:
	scratch_load_dwordx2 v[70:71], v11, off
	ds_read_b64 v[72:73], v1
	s_waitcnt vmcnt(0) lgkmcnt(0)
	v_mul_f64 v[70:71], v[70:71], v[72:73]
	s_cbranch_execz .LBB32_140
	s_branch .LBB32_141
.LBB32_139:
                                        ; implicit-def: $vgpr70_vgpr71
.LBB32_140:
	ds_read_b64 v[70:71], v1
.LBB32_141:
	s_and_saveexec_b64 s[8:9], s[0:1]
	s_cbranch_execz .LBB32_145
; %bb.142:
	v_subrev_u32_e32 v72, 18, v0
	s_movk_i32 s19, 0x1a0
	s_mov_b64 s[0:1], 0
.LBB32_143:                             ; =>This Inner Loop Header: Depth=1
	scratch_load_dwordx2 v[74:75], off, s18
	v_mov_b32_e32 v73, s19
	ds_read_b64 v[76:77], v73
	v_add_u32_e32 v72, -1, v72
	s_add_i32 s19, s19, 8
	s_add_i32 s18, s18, 8
	v_cmp_eq_u32_e32 vcc, 0, v72
	s_or_b64 s[0:1], vcc, s[0:1]
	s_waitcnt vmcnt(0) lgkmcnt(0)
	v_fmac_f64_e32 v[70:71], v[74:75], v[76:77]
	s_andn2_b64 exec, exec, s[0:1]
	s_cbranch_execnz .LBB32_143
; %bb.144:
	s_or_b64 exec, exec, s[0:1]
.LBB32_145:
	s_or_b64 exec, exec, s[8:9]
	v_mov_b32_e32 v72, 0
	ds_read_b64 v[72:73], v72 offset:136
	s_waitcnt lgkmcnt(0)
	v_mul_f64 v[70:71], v[70:71], v[72:73]
	scratch_store_dwordx2 off, v[70:71], off offset:136
.LBB32_146:
	s_or_b64 exec, exec, s[4:5]
	scratch_load_dwordx2 v[70:71], off, off offset:128
	v_cmp_lt_u32_e64 s[0:1], 16, v0
	s_waitcnt vmcnt(0)
	ds_write_b64 v1, v[70:71]
	s_waitcnt lgkmcnt(0)
	; wave barrier
	s_and_saveexec_b64 s[4:5], s[0:1]
	s_cbranch_execz .LBB32_156
; %bb.147:
	s_andn2_b64 vcc, exec, s[6:7]
	s_cbranch_vccnz .LBB32_149
; %bb.148:
	scratch_load_dwordx2 v[70:71], v11, off
	ds_read_b64 v[72:73], v1
	s_waitcnt vmcnt(0) lgkmcnt(0)
	v_mul_f64 v[70:71], v[70:71], v[72:73]
	s_cbranch_execz .LBB32_150
	s_branch .LBB32_151
.LBB32_149:
                                        ; implicit-def: $vgpr70_vgpr71
.LBB32_150:
	ds_read_b64 v[70:71], v1
.LBB32_151:
	s_and_saveexec_b64 s[8:9], s[2:3]
	s_cbranch_execz .LBB32_155
; %bb.152:
	s_movk_i32 s18, 0x88
	v_subrev_u32_e32 v72, 17, v0
	s_movk_i32 s19, 0x198
	s_mov_b64 s[2:3], 0
.LBB32_153:                             ; =>This Inner Loop Header: Depth=1
	scratch_load_dwordx2 v[74:75], off, s18
	v_mov_b32_e32 v73, s19
	ds_read_b64 v[76:77], v73
	v_add_u32_e32 v72, -1, v72
	s_add_i32 s19, s19, 8
	s_add_i32 s18, s18, 8
	v_cmp_eq_u32_e32 vcc, 0, v72
	s_or_b64 s[2:3], vcc, s[2:3]
	s_waitcnt vmcnt(0) lgkmcnt(0)
	v_fmac_f64_e32 v[70:71], v[74:75], v[76:77]
	s_andn2_b64 exec, exec, s[2:3]
	s_cbranch_execnz .LBB32_153
; %bb.154:
	s_or_b64 exec, exec, s[2:3]
.LBB32_155:
	s_or_b64 exec, exec, s[8:9]
	v_mov_b32_e32 v72, 0
	ds_read_b64 v[72:73], v72 offset:128
	s_waitcnt lgkmcnt(0)
	v_mul_f64 v[70:71], v[70:71], v[72:73]
	scratch_store_dwordx2 off, v[70:71], off offset:128
.LBB32_156:
	s_or_b64 exec, exec, s[4:5]
	scratch_load_dwordx2 v[70:71], off, off offset:120
	v_cmp_lt_u32_e64 s[2:3], 15, v0
	s_waitcnt vmcnt(0)
	ds_write_b64 v1, v[70:71]
	s_waitcnt lgkmcnt(0)
	; wave barrier
	s_and_saveexec_b64 s[4:5], s[2:3]
	s_cbranch_execz .LBB32_166
; %bb.157:
	s_andn2_b64 vcc, exec, s[6:7]
	s_cbranch_vccnz .LBB32_159
; %bb.158:
	scratch_load_dwordx2 v[70:71], v11, off
	ds_read_b64 v[72:73], v1
	s_waitcnt vmcnt(0) lgkmcnt(0)
	v_mul_f64 v[70:71], v[70:71], v[72:73]
	s_cbranch_execz .LBB32_160
	s_branch .LBB32_161
.LBB32_159:
                                        ; implicit-def: $vgpr70_vgpr71
.LBB32_160:
	ds_read_b64 v[70:71], v1
.LBB32_161:
	s_and_saveexec_b64 s[8:9], s[0:1]
	s_cbranch_execz .LBB32_165
; %bb.162:
	v_add_u32_e32 v72, -16, v0
	s_movk_i32 s18, 0x190
	s_mov_b64 s[0:1], 0
.LBB32_163:                             ; =>This Inner Loop Header: Depth=1
	scratch_load_dwordx2 v[74:75], off, s17
	v_mov_b32_e32 v73, s18
	ds_read_b64 v[76:77], v73
	v_add_u32_e32 v72, -1, v72
	s_add_i32 s18, s18, 8
	s_add_i32 s17, s17, 8
	v_cmp_eq_u32_e32 vcc, 0, v72
	s_or_b64 s[0:1], vcc, s[0:1]
	s_waitcnt vmcnt(0) lgkmcnt(0)
	v_fmac_f64_e32 v[70:71], v[74:75], v[76:77]
	s_andn2_b64 exec, exec, s[0:1]
	s_cbranch_execnz .LBB32_163
; %bb.164:
	s_or_b64 exec, exec, s[0:1]
.LBB32_165:
	s_or_b64 exec, exec, s[8:9]
	v_mov_b32_e32 v72, 0
	ds_read_b64 v[72:73], v72 offset:120
	s_waitcnt lgkmcnt(0)
	v_mul_f64 v[70:71], v[70:71], v[72:73]
	scratch_store_dwordx2 off, v[70:71], off offset:120
.LBB32_166:
	s_or_b64 exec, exec, s[4:5]
	scratch_load_dwordx2 v[70:71], off, off offset:112
	v_cmp_lt_u32_e64 s[0:1], 14, v0
	s_waitcnt vmcnt(0)
	ds_write_b64 v1, v[70:71]
	s_waitcnt lgkmcnt(0)
	; wave barrier
	s_and_saveexec_b64 s[4:5], s[0:1]
	s_cbranch_execz .LBB32_176
; %bb.167:
	s_andn2_b64 vcc, exec, s[6:7]
	s_cbranch_vccnz .LBB32_169
; %bb.168:
	scratch_load_dwordx2 v[70:71], v11, off
	ds_read_b64 v[72:73], v1
	s_waitcnt vmcnt(0) lgkmcnt(0)
	v_mul_f64 v[70:71], v[70:71], v[72:73]
	s_cbranch_execz .LBB32_170
	s_branch .LBB32_171
.LBB32_169:
                                        ; implicit-def: $vgpr70_vgpr71
.LBB32_170:
	ds_read_b64 v[70:71], v1
.LBB32_171:
	s_and_saveexec_b64 s[8:9], s[2:3]
	s_cbranch_execz .LBB32_175
; %bb.172:
	s_movk_i32 s17, 0x78
	v_add_u32_e32 v72, -15, v0
	s_movk_i32 s18, 0x188
	s_mov_b64 s[2:3], 0
.LBB32_173:                             ; =>This Inner Loop Header: Depth=1
	scratch_load_dwordx2 v[74:75], off, s17
	v_mov_b32_e32 v73, s18
	ds_read_b64 v[76:77], v73
	v_add_u32_e32 v72, -1, v72
	s_add_i32 s18, s18, 8
	s_add_i32 s17, s17, 8
	v_cmp_eq_u32_e32 vcc, 0, v72
	s_or_b64 s[2:3], vcc, s[2:3]
	s_waitcnt vmcnt(0) lgkmcnt(0)
	v_fmac_f64_e32 v[70:71], v[74:75], v[76:77]
	s_andn2_b64 exec, exec, s[2:3]
	s_cbranch_execnz .LBB32_173
; %bb.174:
	s_or_b64 exec, exec, s[2:3]
.LBB32_175:
	s_or_b64 exec, exec, s[8:9]
	v_mov_b32_e32 v72, 0
	ds_read_b64 v[72:73], v72 offset:112
	s_waitcnt lgkmcnt(0)
	v_mul_f64 v[70:71], v[70:71], v[72:73]
	scratch_store_dwordx2 off, v[70:71], off offset:112
.LBB32_176:
	s_or_b64 exec, exec, s[4:5]
	scratch_load_dwordx2 v[70:71], off, off offset:104
	v_cmp_lt_u32_e64 s[2:3], 13, v0
	s_waitcnt vmcnt(0)
	ds_write_b64 v1, v[70:71]
	s_waitcnt lgkmcnt(0)
	; wave barrier
	s_and_saveexec_b64 s[4:5], s[2:3]
	s_cbranch_execz .LBB32_186
; %bb.177:
	s_andn2_b64 vcc, exec, s[6:7]
	s_cbranch_vccnz .LBB32_179
; %bb.178:
	scratch_load_dwordx2 v[70:71], v11, off
	ds_read_b64 v[72:73], v1
	s_waitcnt vmcnt(0) lgkmcnt(0)
	v_mul_f64 v[70:71], v[70:71], v[72:73]
	s_cbranch_execz .LBB32_180
	s_branch .LBB32_181
.LBB32_179:
                                        ; implicit-def: $vgpr70_vgpr71
.LBB32_180:
	ds_read_b64 v[70:71], v1
.LBB32_181:
	s_and_saveexec_b64 s[8:9], s[0:1]
	s_cbranch_execz .LBB32_185
; %bb.182:
	v_add_u32_e32 v72, -14, v0
	s_movk_i32 s17, 0x180
	s_mov_b64 s[0:1], 0
.LBB32_183:                             ; =>This Inner Loop Header: Depth=1
	scratch_load_dwordx2 v[74:75], off, s16
	v_mov_b32_e32 v73, s17
	ds_read_b64 v[76:77], v73
	v_add_u32_e32 v72, -1, v72
	s_add_i32 s17, s17, 8
	s_add_i32 s16, s16, 8
	v_cmp_eq_u32_e32 vcc, 0, v72
	s_or_b64 s[0:1], vcc, s[0:1]
	s_waitcnt vmcnt(0) lgkmcnt(0)
	v_fmac_f64_e32 v[70:71], v[74:75], v[76:77]
	s_andn2_b64 exec, exec, s[0:1]
	s_cbranch_execnz .LBB32_183
; %bb.184:
	s_or_b64 exec, exec, s[0:1]
.LBB32_185:
	s_or_b64 exec, exec, s[8:9]
	v_mov_b32_e32 v72, 0
	ds_read_b64 v[72:73], v72 offset:104
	s_waitcnt lgkmcnt(0)
	v_mul_f64 v[70:71], v[70:71], v[72:73]
	scratch_store_dwordx2 off, v[70:71], off offset:104
.LBB32_186:
	s_or_b64 exec, exec, s[4:5]
	scratch_load_dwordx2 v[70:71], off, off offset:96
	v_cmp_lt_u32_e64 s[0:1], 12, v0
	s_waitcnt vmcnt(0)
	ds_write_b64 v1, v[70:71]
	s_waitcnt lgkmcnt(0)
	; wave barrier
	s_and_saveexec_b64 s[4:5], s[0:1]
	s_cbranch_execz .LBB32_196
; %bb.187:
	s_andn2_b64 vcc, exec, s[6:7]
	s_cbranch_vccnz .LBB32_189
; %bb.188:
	scratch_load_dwordx2 v[70:71], v11, off
	ds_read_b64 v[72:73], v1
	s_waitcnt vmcnt(0) lgkmcnt(0)
	v_mul_f64 v[70:71], v[70:71], v[72:73]
	s_cbranch_execz .LBB32_190
	s_branch .LBB32_191
.LBB32_189:
                                        ; implicit-def: $vgpr70_vgpr71
.LBB32_190:
	ds_read_b64 v[70:71], v1
.LBB32_191:
	s_and_saveexec_b64 s[8:9], s[2:3]
	s_cbranch_execz .LBB32_195
; %bb.192:
	s_movk_i32 s16, 0x68
	v_add_u32_e32 v72, -13, v0
	s_movk_i32 s17, 0x178
	s_mov_b64 s[2:3], 0
.LBB32_193:                             ; =>This Inner Loop Header: Depth=1
	scratch_load_dwordx2 v[74:75], off, s16
	v_mov_b32_e32 v73, s17
	ds_read_b64 v[76:77], v73
	v_add_u32_e32 v72, -1, v72
	s_add_i32 s17, s17, 8
	s_add_i32 s16, s16, 8
	v_cmp_eq_u32_e32 vcc, 0, v72
	s_or_b64 s[2:3], vcc, s[2:3]
	s_waitcnt vmcnt(0) lgkmcnt(0)
	v_fmac_f64_e32 v[70:71], v[74:75], v[76:77]
	s_andn2_b64 exec, exec, s[2:3]
	s_cbranch_execnz .LBB32_193
; %bb.194:
	s_or_b64 exec, exec, s[2:3]
.LBB32_195:
	s_or_b64 exec, exec, s[8:9]
	v_mov_b32_e32 v72, 0
	ds_read_b64 v[72:73], v72 offset:96
	s_waitcnt lgkmcnt(0)
	v_mul_f64 v[70:71], v[70:71], v[72:73]
	scratch_store_dwordx2 off, v[70:71], off offset:96
.LBB32_196:
	s_or_b64 exec, exec, s[4:5]
	scratch_load_dwordx2 v[70:71], off, off offset:88
	v_cmp_lt_u32_e64 s[2:3], 11, v0
	s_waitcnt vmcnt(0)
	ds_write_b64 v1, v[70:71]
	s_waitcnt lgkmcnt(0)
	; wave barrier
	s_and_saveexec_b64 s[4:5], s[2:3]
	s_cbranch_execz .LBB32_206
; %bb.197:
	s_andn2_b64 vcc, exec, s[6:7]
	s_cbranch_vccnz .LBB32_199
; %bb.198:
	scratch_load_dwordx2 v[70:71], v11, off
	ds_read_b64 v[72:73], v1
	s_waitcnt vmcnt(0) lgkmcnt(0)
	v_mul_f64 v[70:71], v[70:71], v[72:73]
	s_cbranch_execz .LBB32_200
	s_branch .LBB32_201
.LBB32_199:
                                        ; implicit-def: $vgpr70_vgpr71
.LBB32_200:
	ds_read_b64 v[70:71], v1
.LBB32_201:
	s_and_saveexec_b64 s[8:9], s[0:1]
	s_cbranch_execz .LBB32_205
; %bb.202:
	v_add_u32_e32 v72, -12, v0
	s_movk_i32 s16, 0x170
	s_mov_b64 s[0:1], 0
.LBB32_203:                             ; =>This Inner Loop Header: Depth=1
	scratch_load_dwordx2 v[74:75], off, s15
	v_mov_b32_e32 v73, s16
	ds_read_b64 v[76:77], v73
	v_add_u32_e32 v72, -1, v72
	s_add_i32 s16, s16, 8
	s_add_i32 s15, s15, 8
	v_cmp_eq_u32_e32 vcc, 0, v72
	s_or_b64 s[0:1], vcc, s[0:1]
	s_waitcnt vmcnt(0) lgkmcnt(0)
	v_fmac_f64_e32 v[70:71], v[74:75], v[76:77]
	s_andn2_b64 exec, exec, s[0:1]
	s_cbranch_execnz .LBB32_203
; %bb.204:
	s_or_b64 exec, exec, s[0:1]
.LBB32_205:
	s_or_b64 exec, exec, s[8:9]
	v_mov_b32_e32 v72, 0
	ds_read_b64 v[72:73], v72 offset:88
	s_waitcnt lgkmcnt(0)
	v_mul_f64 v[70:71], v[70:71], v[72:73]
	scratch_store_dwordx2 off, v[70:71], off offset:88
.LBB32_206:
	s_or_b64 exec, exec, s[4:5]
	scratch_load_dwordx2 v[70:71], off, off offset:80
	v_cmp_lt_u32_e64 s[0:1], 10, v0
	s_waitcnt vmcnt(0)
	ds_write_b64 v1, v[70:71]
	s_waitcnt lgkmcnt(0)
	; wave barrier
	s_and_saveexec_b64 s[4:5], s[0:1]
	s_cbranch_execz .LBB32_216
; %bb.207:
	s_andn2_b64 vcc, exec, s[6:7]
	s_cbranch_vccnz .LBB32_209
; %bb.208:
	scratch_load_dwordx2 v[70:71], v11, off
	ds_read_b64 v[72:73], v1
	s_waitcnt vmcnt(0) lgkmcnt(0)
	v_mul_f64 v[70:71], v[70:71], v[72:73]
	s_cbranch_execz .LBB32_210
	s_branch .LBB32_211
.LBB32_209:
                                        ; implicit-def: $vgpr70_vgpr71
.LBB32_210:
	ds_read_b64 v[70:71], v1
.LBB32_211:
	s_and_saveexec_b64 s[8:9], s[2:3]
	s_cbranch_execz .LBB32_215
; %bb.212:
	s_movk_i32 s15, 0x58
	v_add_u32_e32 v72, -11, v0
	s_movk_i32 s16, 0x168
	s_mov_b64 s[2:3], 0
.LBB32_213:                             ; =>This Inner Loop Header: Depth=1
	scratch_load_dwordx2 v[74:75], off, s15
	v_mov_b32_e32 v73, s16
	ds_read_b64 v[76:77], v73
	v_add_u32_e32 v72, -1, v72
	s_add_i32 s16, s16, 8
	s_add_i32 s15, s15, 8
	v_cmp_eq_u32_e32 vcc, 0, v72
	s_or_b64 s[2:3], vcc, s[2:3]
	s_waitcnt vmcnt(0) lgkmcnt(0)
	v_fmac_f64_e32 v[70:71], v[74:75], v[76:77]
	s_andn2_b64 exec, exec, s[2:3]
	s_cbranch_execnz .LBB32_213
; %bb.214:
	s_or_b64 exec, exec, s[2:3]
.LBB32_215:
	s_or_b64 exec, exec, s[8:9]
	v_mov_b32_e32 v72, 0
	ds_read_b64 v[72:73], v72 offset:80
	s_waitcnt lgkmcnt(0)
	v_mul_f64 v[70:71], v[70:71], v[72:73]
	scratch_store_dwordx2 off, v[70:71], off offset:80
.LBB32_216:
	s_or_b64 exec, exec, s[4:5]
	scratch_load_dwordx2 v[70:71], off, off offset:72
	v_cmp_lt_u32_e64 s[2:3], 9, v0
	s_waitcnt vmcnt(0)
	ds_write_b64 v1, v[70:71]
	s_waitcnt lgkmcnt(0)
	; wave barrier
	s_and_saveexec_b64 s[4:5], s[2:3]
	s_cbranch_execz .LBB32_226
; %bb.217:
	s_andn2_b64 vcc, exec, s[6:7]
	s_cbranch_vccnz .LBB32_219
; %bb.218:
	scratch_load_dwordx2 v[70:71], v11, off
	ds_read_b64 v[72:73], v1
	s_waitcnt vmcnt(0) lgkmcnt(0)
	v_mul_f64 v[70:71], v[70:71], v[72:73]
	s_cbranch_execz .LBB32_220
	s_branch .LBB32_221
.LBB32_219:
                                        ; implicit-def: $vgpr70_vgpr71
.LBB32_220:
	ds_read_b64 v[70:71], v1
.LBB32_221:
	s_and_saveexec_b64 s[8:9], s[0:1]
	s_cbranch_execz .LBB32_225
; %bb.222:
	v_add_u32_e32 v72, -10, v0
	s_movk_i32 s15, 0x160
	s_mov_b64 s[0:1], 0
.LBB32_223:                             ; =>This Inner Loop Header: Depth=1
	scratch_load_dwordx2 v[74:75], off, s14
	v_mov_b32_e32 v73, s15
	ds_read_b64 v[76:77], v73
	v_add_u32_e32 v72, -1, v72
	s_add_i32 s15, s15, 8
	s_add_i32 s14, s14, 8
	v_cmp_eq_u32_e32 vcc, 0, v72
	s_or_b64 s[0:1], vcc, s[0:1]
	s_waitcnt vmcnt(0) lgkmcnt(0)
	v_fmac_f64_e32 v[70:71], v[74:75], v[76:77]
	s_andn2_b64 exec, exec, s[0:1]
	s_cbranch_execnz .LBB32_223
; %bb.224:
	s_or_b64 exec, exec, s[0:1]
.LBB32_225:
	s_or_b64 exec, exec, s[8:9]
	v_mov_b32_e32 v72, 0
	ds_read_b64 v[72:73], v72 offset:72
	s_waitcnt lgkmcnt(0)
	v_mul_f64 v[70:71], v[70:71], v[72:73]
	scratch_store_dwordx2 off, v[70:71], off offset:72
.LBB32_226:
	s_or_b64 exec, exec, s[4:5]
	scratch_load_dwordx2 v[70:71], off, off offset:64
	v_cmp_lt_u32_e64 s[0:1], 8, v0
	s_waitcnt vmcnt(0)
	ds_write_b64 v1, v[70:71]
	s_waitcnt lgkmcnt(0)
	; wave barrier
	s_and_saveexec_b64 s[4:5], s[0:1]
	s_cbranch_execz .LBB32_236
; %bb.227:
	s_andn2_b64 vcc, exec, s[6:7]
	s_cbranch_vccnz .LBB32_229
; %bb.228:
	scratch_load_dwordx2 v[70:71], v11, off
	ds_read_b64 v[72:73], v1
	s_waitcnt vmcnt(0) lgkmcnt(0)
	v_mul_f64 v[70:71], v[70:71], v[72:73]
	s_cbranch_execz .LBB32_230
	s_branch .LBB32_231
.LBB32_229:
                                        ; implicit-def: $vgpr70_vgpr71
.LBB32_230:
	ds_read_b64 v[70:71], v1
.LBB32_231:
	s_and_saveexec_b64 s[8:9], s[2:3]
	s_cbranch_execz .LBB32_235
; %bb.232:
	s_movk_i32 s14, 0x48
	v_add_u32_e32 v72, -9, v0
	s_movk_i32 s15, 0x158
	s_mov_b64 s[2:3], 0
.LBB32_233:                             ; =>This Inner Loop Header: Depth=1
	scratch_load_dwordx2 v[74:75], off, s14
	v_mov_b32_e32 v73, s15
	ds_read_b64 v[76:77], v73
	v_add_u32_e32 v72, -1, v72
	s_add_i32 s15, s15, 8
	s_add_i32 s14, s14, 8
	v_cmp_eq_u32_e32 vcc, 0, v72
	s_or_b64 s[2:3], vcc, s[2:3]
	s_waitcnt vmcnt(0) lgkmcnt(0)
	v_fmac_f64_e32 v[70:71], v[74:75], v[76:77]
	s_andn2_b64 exec, exec, s[2:3]
	s_cbranch_execnz .LBB32_233
; %bb.234:
	s_or_b64 exec, exec, s[2:3]
.LBB32_235:
	s_or_b64 exec, exec, s[8:9]
	v_mov_b32_e32 v72, 0
	ds_read_b64 v[72:73], v72 offset:64
	s_waitcnt lgkmcnt(0)
	v_mul_f64 v[70:71], v[70:71], v[72:73]
	scratch_store_dwordx2 off, v[70:71], off offset:64
.LBB32_236:
	s_or_b64 exec, exec, s[4:5]
	scratch_load_dwordx2 v[70:71], off, off offset:56
	v_cmp_lt_u32_e64 s[2:3], 7, v0
	s_waitcnt vmcnt(0)
	ds_write_b64 v1, v[70:71]
	s_waitcnt lgkmcnt(0)
	; wave barrier
	s_and_saveexec_b64 s[4:5], s[2:3]
	s_cbranch_execz .LBB32_246
; %bb.237:
	s_andn2_b64 vcc, exec, s[6:7]
	s_cbranch_vccnz .LBB32_239
; %bb.238:
	scratch_load_dwordx2 v[70:71], v11, off
	ds_read_b64 v[72:73], v1
	s_waitcnt vmcnt(0) lgkmcnt(0)
	v_mul_f64 v[70:71], v[70:71], v[72:73]
	s_cbranch_execz .LBB32_240
	s_branch .LBB32_241
.LBB32_239:
                                        ; implicit-def: $vgpr70_vgpr71
.LBB32_240:
	ds_read_b64 v[70:71], v1
.LBB32_241:
	s_and_saveexec_b64 s[8:9], s[0:1]
	s_cbranch_execz .LBB32_245
; %bb.242:
	v_add_u32_e32 v72, -8, v0
	s_movk_i32 s14, 0x150
	s_mov_b64 s[0:1], 0
.LBB32_243:                             ; =>This Inner Loop Header: Depth=1
	scratch_load_dwordx2 v[74:75], off, s13
	v_mov_b32_e32 v73, s14
	ds_read_b64 v[76:77], v73
	v_add_u32_e32 v72, -1, v72
	s_add_i32 s14, s14, 8
	s_add_i32 s13, s13, 8
	v_cmp_eq_u32_e32 vcc, 0, v72
	s_or_b64 s[0:1], vcc, s[0:1]
	s_waitcnt vmcnt(0) lgkmcnt(0)
	v_fmac_f64_e32 v[70:71], v[74:75], v[76:77]
	s_andn2_b64 exec, exec, s[0:1]
	s_cbranch_execnz .LBB32_243
; %bb.244:
	s_or_b64 exec, exec, s[0:1]
.LBB32_245:
	s_or_b64 exec, exec, s[8:9]
	v_mov_b32_e32 v72, 0
	ds_read_b64 v[72:73], v72 offset:56
	s_waitcnt lgkmcnt(0)
	v_mul_f64 v[70:71], v[70:71], v[72:73]
	scratch_store_dwordx2 off, v[70:71], off offset:56
.LBB32_246:
	s_or_b64 exec, exec, s[4:5]
	scratch_load_dwordx2 v[70:71], off, off offset:48
	v_cmp_lt_u32_e64 s[0:1], 6, v0
	s_waitcnt vmcnt(0)
	ds_write_b64 v1, v[70:71]
	s_waitcnt lgkmcnt(0)
	; wave barrier
	s_and_saveexec_b64 s[4:5], s[0:1]
	s_cbranch_execz .LBB32_256
; %bb.247:
	s_andn2_b64 vcc, exec, s[6:7]
	s_cbranch_vccnz .LBB32_249
; %bb.248:
	scratch_load_dwordx2 v[70:71], v11, off
	ds_read_b64 v[72:73], v1
	s_waitcnt vmcnt(0) lgkmcnt(0)
	v_mul_f64 v[70:71], v[70:71], v[72:73]
	s_cbranch_execz .LBB32_250
	s_branch .LBB32_251
.LBB32_249:
                                        ; implicit-def: $vgpr70_vgpr71
.LBB32_250:
	ds_read_b64 v[70:71], v1
.LBB32_251:
	s_and_saveexec_b64 s[8:9], s[2:3]
	s_cbranch_execz .LBB32_255
; %bb.252:
	s_mov_b32 s13, 56
	v_add_u32_e32 v72, -7, v0
	s_movk_i32 s14, 0x148
	s_mov_b64 s[2:3], 0
.LBB32_253:                             ; =>This Inner Loop Header: Depth=1
	scratch_load_dwordx2 v[74:75], off, s13
	v_mov_b32_e32 v73, s14
	ds_read_b64 v[76:77], v73
	v_add_u32_e32 v72, -1, v72
	s_add_i32 s14, s14, 8
	s_add_i32 s13, s13, 8
	v_cmp_eq_u32_e32 vcc, 0, v72
	s_or_b64 s[2:3], vcc, s[2:3]
	s_waitcnt vmcnt(0) lgkmcnt(0)
	v_fmac_f64_e32 v[70:71], v[74:75], v[76:77]
	s_andn2_b64 exec, exec, s[2:3]
	s_cbranch_execnz .LBB32_253
; %bb.254:
	s_or_b64 exec, exec, s[2:3]
.LBB32_255:
	s_or_b64 exec, exec, s[8:9]
	v_mov_b32_e32 v72, 0
	ds_read_b64 v[72:73], v72 offset:48
	s_waitcnt lgkmcnt(0)
	v_mul_f64 v[70:71], v[70:71], v[72:73]
	scratch_store_dwordx2 off, v[70:71], off offset:48
.LBB32_256:
	s_or_b64 exec, exec, s[4:5]
	scratch_load_dwordx2 v[70:71], off, off offset:40
	v_cmp_lt_u32_e64 s[2:3], 5, v0
	s_waitcnt vmcnt(0)
	ds_write_b64 v1, v[70:71]
	s_waitcnt lgkmcnt(0)
	; wave barrier
	s_and_saveexec_b64 s[4:5], s[2:3]
	s_cbranch_execz .LBB32_266
; %bb.257:
	s_andn2_b64 vcc, exec, s[6:7]
	s_cbranch_vccnz .LBB32_259
; %bb.258:
	scratch_load_dwordx2 v[70:71], v11, off
	ds_read_b64 v[72:73], v1
	s_waitcnt vmcnt(0) lgkmcnt(0)
	v_mul_f64 v[70:71], v[70:71], v[72:73]
	s_cbranch_execz .LBB32_260
	s_branch .LBB32_261
.LBB32_259:
                                        ; implicit-def: $vgpr70_vgpr71
.LBB32_260:
	ds_read_b64 v[70:71], v1
.LBB32_261:
	s_and_saveexec_b64 s[8:9], s[0:1]
	s_cbranch_execz .LBB32_265
; %bb.262:
	v_add_u32_e32 v72, -6, v0
	s_movk_i32 s13, 0x140
	s_mov_b64 s[0:1], 0
.LBB32_263:                             ; =>This Inner Loop Header: Depth=1
	scratch_load_dwordx2 v[74:75], off, s12
	v_mov_b32_e32 v73, s13
	ds_read_b64 v[76:77], v73
	v_add_u32_e32 v72, -1, v72
	s_add_i32 s13, s13, 8
	s_add_i32 s12, s12, 8
	v_cmp_eq_u32_e32 vcc, 0, v72
	s_or_b64 s[0:1], vcc, s[0:1]
	s_waitcnt vmcnt(0) lgkmcnt(0)
	v_fmac_f64_e32 v[70:71], v[74:75], v[76:77]
	s_andn2_b64 exec, exec, s[0:1]
	s_cbranch_execnz .LBB32_263
; %bb.264:
	s_or_b64 exec, exec, s[0:1]
.LBB32_265:
	s_or_b64 exec, exec, s[8:9]
	v_mov_b32_e32 v72, 0
	ds_read_b64 v[72:73], v72 offset:40
	s_waitcnt lgkmcnt(0)
	v_mul_f64 v[70:71], v[70:71], v[72:73]
	scratch_store_dwordx2 off, v[70:71], off offset:40
.LBB32_266:
	s_or_b64 exec, exec, s[4:5]
	scratch_load_dwordx2 v[70:71], off, off offset:32
	v_cmp_lt_u32_e64 s[0:1], 4, v0
	s_waitcnt vmcnt(0)
	ds_write_b64 v1, v[70:71]
	s_waitcnt lgkmcnt(0)
	; wave barrier
	s_and_saveexec_b64 s[4:5], s[0:1]
	s_cbranch_execz .LBB32_276
; %bb.267:
	s_andn2_b64 vcc, exec, s[6:7]
	s_cbranch_vccnz .LBB32_269
; %bb.268:
	scratch_load_dwordx2 v[70:71], v11, off
	ds_read_b64 v[72:73], v1
	s_waitcnt vmcnt(0) lgkmcnt(0)
	v_mul_f64 v[70:71], v[70:71], v[72:73]
	s_cbranch_execz .LBB32_270
	s_branch .LBB32_271
.LBB32_269:
                                        ; implicit-def: $vgpr70_vgpr71
.LBB32_270:
	ds_read_b64 v[70:71], v1
.LBB32_271:
	s_and_saveexec_b64 s[8:9], s[2:3]
	s_cbranch_execz .LBB32_275
; %bb.272:
	s_mov_b32 s12, 40
	v_add_u32_e32 v72, -5, v0
	s_movk_i32 s13, 0x138
	s_mov_b64 s[2:3], 0
.LBB32_273:                             ; =>This Inner Loop Header: Depth=1
	scratch_load_dwordx2 v[74:75], off, s12
	v_mov_b32_e32 v73, s13
	ds_read_b64 v[76:77], v73
	v_add_u32_e32 v72, -1, v72
	s_add_i32 s13, s13, 8
	s_add_i32 s12, s12, 8
	v_cmp_eq_u32_e32 vcc, 0, v72
	s_or_b64 s[2:3], vcc, s[2:3]
	s_waitcnt vmcnt(0) lgkmcnt(0)
	v_fmac_f64_e32 v[70:71], v[74:75], v[76:77]
	s_andn2_b64 exec, exec, s[2:3]
	s_cbranch_execnz .LBB32_273
; %bb.274:
	s_or_b64 exec, exec, s[2:3]
.LBB32_275:
	s_or_b64 exec, exec, s[8:9]
	v_mov_b32_e32 v72, 0
	ds_read_b64 v[72:73], v72 offset:32
	s_waitcnt lgkmcnt(0)
	v_mul_f64 v[70:71], v[70:71], v[72:73]
	scratch_store_dwordx2 off, v[70:71], off offset:32
.LBB32_276:
	s_or_b64 exec, exec, s[4:5]
	scratch_load_dwordx2 v[70:71], off, off offset:24
	v_cmp_lt_u32_e64 s[2:3], 3, v0
	s_waitcnt vmcnt(0)
	ds_write_b64 v1, v[70:71]
	s_waitcnt lgkmcnt(0)
	; wave barrier
	s_and_saveexec_b64 s[4:5], s[2:3]
	s_cbranch_execz .LBB32_286
; %bb.277:
	s_andn2_b64 vcc, exec, s[6:7]
	s_cbranch_vccnz .LBB32_279
; %bb.278:
	scratch_load_dwordx2 v[70:71], v11, off
	ds_read_b64 v[72:73], v1
	s_waitcnt vmcnt(0) lgkmcnt(0)
	v_mul_f64 v[70:71], v[70:71], v[72:73]
	s_cbranch_execz .LBB32_280
	s_branch .LBB32_281
.LBB32_279:
                                        ; implicit-def: $vgpr70_vgpr71
.LBB32_280:
	ds_read_b64 v[70:71], v1
.LBB32_281:
	s_and_saveexec_b64 s[8:9], s[0:1]
	s_cbranch_execz .LBB32_285
; %bb.282:
	v_add_u32_e32 v72, -4, v0
	s_movk_i32 s12, 0x130
	s_mov_b64 s[0:1], 0
.LBB32_283:                             ; =>This Inner Loop Header: Depth=1
	scratch_load_dwordx2 v[74:75], off, s11
	v_mov_b32_e32 v73, s12
	ds_read_b64 v[76:77], v73
	v_add_u32_e32 v72, -1, v72
	s_add_i32 s12, s12, 8
	s_add_i32 s11, s11, 8
	v_cmp_eq_u32_e32 vcc, 0, v72
	s_or_b64 s[0:1], vcc, s[0:1]
	s_waitcnt vmcnt(0) lgkmcnt(0)
	v_fmac_f64_e32 v[70:71], v[74:75], v[76:77]
	s_andn2_b64 exec, exec, s[0:1]
	s_cbranch_execnz .LBB32_283
; %bb.284:
	s_or_b64 exec, exec, s[0:1]
.LBB32_285:
	s_or_b64 exec, exec, s[8:9]
	v_mov_b32_e32 v72, 0
	ds_read_b64 v[72:73], v72 offset:24
	s_waitcnt lgkmcnt(0)
	v_mul_f64 v[70:71], v[70:71], v[72:73]
	scratch_store_dwordx2 off, v[70:71], off offset:24
.LBB32_286:
	s_or_b64 exec, exec, s[4:5]
	scratch_load_dwordx2 v[70:71], off, off offset:16
	v_cmp_lt_u32_e64 s[0:1], 2, v0
	s_waitcnt vmcnt(0)
	ds_write_b64 v1, v[70:71]
	s_waitcnt lgkmcnt(0)
	; wave barrier
	s_and_saveexec_b64 s[4:5], s[0:1]
	s_cbranch_execz .LBB32_296
; %bb.287:
	s_andn2_b64 vcc, exec, s[6:7]
	s_cbranch_vccnz .LBB32_289
; %bb.288:
	scratch_load_dwordx2 v[70:71], v11, off
	ds_read_b64 v[72:73], v1
	s_waitcnt vmcnt(0) lgkmcnt(0)
	v_mul_f64 v[70:71], v[70:71], v[72:73]
	s_cbranch_execz .LBB32_290
	s_branch .LBB32_291
.LBB32_289:
                                        ; implicit-def: $vgpr70_vgpr71
.LBB32_290:
	ds_read_b64 v[70:71], v1
.LBB32_291:
	s_and_saveexec_b64 s[8:9], s[2:3]
	s_cbranch_execz .LBB32_295
; %bb.292:
	s_mov_b32 s11, 24
	v_add_u32_e32 v72, -3, v0
	s_movk_i32 s12, 0x128
	s_mov_b64 s[2:3], 0
.LBB32_293:                             ; =>This Inner Loop Header: Depth=1
	scratch_load_dwordx2 v[74:75], off, s11
	v_mov_b32_e32 v73, s12
	ds_read_b64 v[76:77], v73
	v_add_u32_e32 v72, -1, v72
	s_add_i32 s12, s12, 8
	s_add_i32 s11, s11, 8
	v_cmp_eq_u32_e32 vcc, 0, v72
	s_or_b64 s[2:3], vcc, s[2:3]
	s_waitcnt vmcnt(0) lgkmcnt(0)
	v_fmac_f64_e32 v[70:71], v[74:75], v[76:77]
	s_andn2_b64 exec, exec, s[2:3]
	s_cbranch_execnz .LBB32_293
; %bb.294:
	s_or_b64 exec, exec, s[2:3]
.LBB32_295:
	s_or_b64 exec, exec, s[8:9]
	v_mov_b32_e32 v72, 0
	ds_read_b64 v[72:73], v72 offset:16
	s_waitcnt lgkmcnt(0)
	v_mul_f64 v[70:71], v[70:71], v[72:73]
	scratch_store_dwordx2 off, v[70:71], off offset:16
.LBB32_296:
	s_or_b64 exec, exec, s[4:5]
	scratch_load_dwordx2 v[70:71], off, off offset:8
	v_cmp_lt_u32_e64 s[2:3], 1, v0
	s_waitcnt vmcnt(0)
	ds_write_b64 v1, v[70:71]
	s_waitcnt lgkmcnt(0)
	; wave barrier
	s_and_saveexec_b64 s[4:5], s[2:3]
	s_cbranch_execz .LBB32_306
; %bb.297:
	s_andn2_b64 vcc, exec, s[6:7]
	s_cbranch_vccnz .LBB32_299
; %bb.298:
	scratch_load_dwordx2 v[70:71], v11, off
	ds_read_b64 v[72:73], v1
	s_waitcnt vmcnt(0) lgkmcnt(0)
	v_mul_f64 v[70:71], v[70:71], v[72:73]
	s_cbranch_execz .LBB32_300
	s_branch .LBB32_301
.LBB32_299:
                                        ; implicit-def: $vgpr70_vgpr71
.LBB32_300:
	ds_read_b64 v[70:71], v1
.LBB32_301:
	s_and_saveexec_b64 s[8:9], s[0:1]
	s_cbranch_execz .LBB32_305
; %bb.302:
	v_add_u32_e32 v72, -2, v0
	s_movk_i32 s11, 0x120
	s_mov_b64 s[0:1], 0
.LBB32_303:                             ; =>This Inner Loop Header: Depth=1
	scratch_load_dwordx2 v[74:75], off, s10
	v_mov_b32_e32 v73, s11
	ds_read_b64 v[76:77], v73
	v_add_u32_e32 v72, -1, v72
	s_add_i32 s11, s11, 8
	s_add_i32 s10, s10, 8
	v_cmp_eq_u32_e32 vcc, 0, v72
	s_or_b64 s[0:1], vcc, s[0:1]
	s_waitcnt vmcnt(0) lgkmcnt(0)
	v_fmac_f64_e32 v[70:71], v[74:75], v[76:77]
	s_andn2_b64 exec, exec, s[0:1]
	s_cbranch_execnz .LBB32_303
; %bb.304:
	s_or_b64 exec, exec, s[0:1]
.LBB32_305:
	s_or_b64 exec, exec, s[8:9]
	v_mov_b32_e32 v72, 0
	ds_read_b64 v[72:73], v72 offset:8
	s_waitcnt lgkmcnt(0)
	v_mul_f64 v[70:71], v[70:71], v[72:73]
	scratch_store_dwordx2 off, v[70:71], off offset:8
.LBB32_306:
	s_or_b64 exec, exec, s[4:5]
	scratch_load_dwordx2 v[70:71], off, off
	v_cmp_ne_u32_e32 vcc, 0, v0
	s_waitcnt vmcnt(0)
	ds_write_b64 v1, v[70:71]
	s_waitcnt lgkmcnt(0)
	; wave barrier
	s_and_saveexec_b64 s[0:1], vcc
	s_cbranch_execz .LBB32_316
; %bb.307:
	s_andn2_b64 vcc, exec, s[6:7]
	s_cbranch_vccnz .LBB32_309
; %bb.308:
	scratch_load_dwordx2 v[70:71], v11, off
	ds_read_b64 v[72:73], v1
	s_waitcnt vmcnt(0) lgkmcnt(0)
	v_mul_f64 v[70:71], v[70:71], v[72:73]
	s_cbranch_execz .LBB32_310
	s_branch .LBB32_311
.LBB32_309:
                                        ; implicit-def: $vgpr70_vgpr71
.LBB32_310:
	ds_read_b64 v[70:71], v1
.LBB32_311:
	s_and_saveexec_b64 s[4:5], s[2:3]
	s_cbranch_execz .LBB32_315
; %bb.312:
	s_or_b32 s8, 0, 8
	v_add_u32_e32 v72, -1, v0
	s_movk_i32 s9, 0x118
	s_mov_b64 s[2:3], 0
.LBB32_313:                             ; =>This Inner Loop Header: Depth=1
	scratch_load_dwordx2 v[74:75], off, s8
	v_mov_b32_e32 v73, s9
	ds_read_b64 v[76:77], v73
	v_add_u32_e32 v72, -1, v72
	s_add_i32 s9, s9, 8
	s_add_i32 s8, s8, 8
	v_cmp_eq_u32_e32 vcc, 0, v72
	s_or_b64 s[2:3], vcc, s[2:3]
	s_waitcnt vmcnt(0) lgkmcnt(0)
	v_fmac_f64_e32 v[70:71], v[74:75], v[76:77]
	s_andn2_b64 exec, exec, s[2:3]
	s_cbranch_execnz .LBB32_313
; %bb.314:
	s_or_b64 exec, exec, s[2:3]
.LBB32_315:
	s_or_b64 exec, exec, s[4:5]
	v_mov_b32_e32 v72, 0
	ds_read_b64 v[72:73], v72
	s_waitcnt lgkmcnt(0)
	v_mul_f64 v[70:71], v[70:71], v[72:73]
	scratch_store_dwordx2 off, v[70:71], off
.LBB32_316:
	s_or_b64 exec, exec, s[0:1]
	s_mov_b64 s[0:1], 0
.LBB32_317:
	s_and_b64 vcc, exec, s[0:1]
	s_cbranch_vccz .LBB32_629
; %bb.318:
	scratch_load_dwordx2 v[70:71], off, off offset:8
	v_cmp_eq_u32_e64 s[2:3], 0, v0
	s_waitcnt vmcnt(0)
	ds_write_b64 v1, v[70:71]
	s_waitcnt lgkmcnt(0)
	; wave barrier
	s_and_saveexec_b64 s[0:1], s[2:3]
	s_cbranch_execz .LBB32_324
; %bb.319:
	s_and_b64 vcc, exec, s[6:7]
	s_cbranch_vccz .LBB32_321
; %bb.320:
	scratch_load_dwordx2 v[70:71], v11, off
	ds_read_b64 v[72:73], v1
	s_waitcnt vmcnt(0) lgkmcnt(0)
	v_mul_f64 v[70:71], v[70:71], v[72:73]
	s_cbranch_execz .LBB32_322
	s_branch .LBB32_323
.LBB32_321:
                                        ; implicit-def: $vgpr70_vgpr71
.LBB32_322:
	ds_read_b64 v[70:71], v1
.LBB32_323:
	v_mov_b32_e32 v72, 0
	ds_read_b64 v[72:73], v72 offset:8
	s_waitcnt lgkmcnt(0)
	v_mul_f64 v[70:71], v[70:71], v[72:73]
	scratch_store_dwordx2 off, v[70:71], off offset:8
.LBB32_324:
	s_or_b64 exec, exec, s[0:1]
	scratch_load_dwordx2 v[70:71], off, off offset:16
	v_cndmask_b32_e64 v72, 0, 1, s[6:7]
	v_cmp_gt_u32_e32 vcc, 2, v0
	v_cmp_ne_u32_e64 s[0:1], 1, v72
	s_waitcnt vmcnt(0)
	ds_write_b64 v1, v[70:71]
	s_waitcnt lgkmcnt(0)
	; wave barrier
	s_and_saveexec_b64 s[4:5], vcc
	s_cbranch_execz .LBB32_330
; %bb.325:
	s_and_b64 vcc, exec, s[0:1]
	s_cbranch_vccnz .LBB32_327
; %bb.326:
	scratch_load_dwordx2 v[70:71], v11, off
	ds_read_b64 v[72:73], v1
	s_waitcnt vmcnt(0) lgkmcnt(0)
	v_mul_f64 v[70:71], v[70:71], v[72:73]
	s_cbranch_execz .LBB32_328
	s_branch .LBB32_329
.LBB32_327:
                                        ; implicit-def: $vgpr70_vgpr71
.LBB32_328:
	ds_read_b64 v[70:71], v1
.LBB32_329:
	scratch_load_dwordx2 v[76:77], off, off offset:8
	v_mov_b32_e32 v72, 0
	ds_read2_b64 v[72:75], v72 offset0:2 offset1:35
	s_waitcnt vmcnt(0) lgkmcnt(0)
	v_fma_f64 v[74:75], v[76:77], v[74:75], v[70:71]
	v_cndmask_b32_e64 v71, v71, v75, s[2:3]
	v_cndmask_b32_e64 v70, v70, v74, s[2:3]
	v_mul_f64 v[70:71], v[70:71], v[72:73]
	scratch_store_dwordx2 off, v[70:71], off offset:16
.LBB32_330:
	s_or_b64 exec, exec, s[4:5]
	scratch_load_dwordx2 v[70:71], off, off offset:24
	v_cmp_gt_u32_e32 vcc, 3, v0
	s_waitcnt vmcnt(0)
	ds_write_b64 v1, v[70:71]
	s_waitcnt lgkmcnt(0)
	; wave barrier
	s_and_saveexec_b64 s[4:5], vcc
	s_cbranch_execz .LBB32_338
; %bb.331:
	s_and_b64 vcc, exec, s[0:1]
	s_cbranch_vccnz .LBB32_333
; %bb.332:
	scratch_load_dwordx2 v[70:71], v11, off
	ds_read_b64 v[72:73], v1
	s_waitcnt vmcnt(0) lgkmcnt(0)
	v_mul_f64 v[70:71], v[70:71], v[72:73]
	s_cbranch_execz .LBB32_334
	s_branch .LBB32_335
.LBB32_333:
                                        ; implicit-def: $vgpr70_vgpr71
.LBB32_334:
	ds_read_b64 v[70:71], v1
.LBB32_335:
	v_cmp_ne_u32_e32 vcc, 2, v0
	s_and_saveexec_b64 s[6:7], vcc
	s_cbranch_execz .LBB32_337
; %bb.336:
	scratch_load_dwordx2 v[72:73], v11, off offset:8
	ds_read_b64 v[74:75], v1 offset:8
	s_waitcnt vmcnt(0) lgkmcnt(0)
	v_fmac_f64_e32 v[70:71], v[72:73], v[74:75]
	scratch_load_dwordx2 v[72:73], off, off offset:16
	v_mov_b32_e32 v74, 0
	ds_read_b64 v[74:75], v74 offset:288
	s_waitcnt vmcnt(0) lgkmcnt(0)
	v_fma_f64 v[72:73], v[72:73], v[74:75], v[70:71]
	v_cndmask_b32_e64 v71, v71, v73, s[2:3]
	v_cndmask_b32_e64 v70, v70, v72, s[2:3]
.LBB32_337:
	s_or_b64 exec, exec, s[6:7]
	v_mov_b32_e32 v72, 0
	ds_read_b64 v[72:73], v72 offset:24
	s_waitcnt lgkmcnt(0)
	v_mul_f64 v[70:71], v[70:71], v[72:73]
	scratch_store_dwordx2 off, v[70:71], off offset:24
.LBB32_338:
	s_or_b64 exec, exec, s[4:5]
	scratch_load_dwordx2 v[70:71], off, off offset:32
	v_cmp_gt_u32_e32 vcc, 4, v0
	s_waitcnt vmcnt(0)
	ds_write_b64 v1, v[70:71]
	s_waitcnt lgkmcnt(0)
	; wave barrier
	s_and_saveexec_b64 s[2:3], vcc
	s_cbranch_execz .LBB32_348
; %bb.339:
	s_and_b64 vcc, exec, s[0:1]
	s_cbranch_vccnz .LBB32_341
; %bb.340:
	scratch_load_dwordx2 v[70:71], v11, off
	ds_read_b64 v[72:73], v1
	s_waitcnt vmcnt(0) lgkmcnt(0)
	v_mul_f64 v[70:71], v[70:71], v[72:73]
	s_cbranch_execz .LBB32_342
	s_branch .LBB32_343
.LBB32_341:
                                        ; implicit-def: $vgpr70_vgpr71
.LBB32_342:
	ds_read_b64 v[70:71], v1
.LBB32_343:
	v_cmp_ne_u32_e32 vcc, 3, v0
	s_and_saveexec_b64 s[4:5], vcc
	s_cbranch_execz .LBB32_347
; %bb.344:
	s_mov_b32 s6, 0
	v_add_u32_e32 v72, 0x118, v10
	v_add3_u32 v73, v10, s6, 8
	s_mov_b64 s[6:7], 0
	v_mov_b32_e32 v74, v0
.LBB32_345:                             ; =>This Inner Loop Header: Depth=1
	scratch_load_dwordx2 v[76:77], v73, off
	ds_read_b64 v[78:79], v72
	v_add_u32_e32 v74, 1, v74
	v_cmp_lt_u32_e32 vcc, 2, v74
	v_add_u32_e32 v72, 8, v72
	v_add_u32_e32 v73, 8, v73
	s_or_b64 s[6:7], vcc, s[6:7]
	s_waitcnt vmcnt(0) lgkmcnt(0)
	v_fmac_f64_e32 v[70:71], v[76:77], v[78:79]
	s_andn2_b64 exec, exec, s[6:7]
	s_cbranch_execnz .LBB32_345
; %bb.346:
	s_or_b64 exec, exec, s[6:7]
.LBB32_347:
	s_or_b64 exec, exec, s[4:5]
	v_mov_b32_e32 v72, 0
	ds_read_b64 v[72:73], v72 offset:32
	s_waitcnt lgkmcnt(0)
	v_mul_f64 v[70:71], v[70:71], v[72:73]
	scratch_store_dwordx2 off, v[70:71], off offset:32
.LBB32_348:
	s_or_b64 exec, exec, s[2:3]
	scratch_load_dwordx2 v[70:71], off, off offset:40
	v_cmp_gt_u32_e32 vcc, 5, v0
	s_waitcnt vmcnt(0)
	ds_write_b64 v1, v[70:71]
	s_waitcnt lgkmcnt(0)
	; wave barrier
	s_and_saveexec_b64 s[2:3], vcc
	s_cbranch_execz .LBB32_358
; %bb.349:
	s_and_b64 vcc, exec, s[0:1]
	s_cbranch_vccnz .LBB32_351
; %bb.350:
	scratch_load_dwordx2 v[70:71], v11, off
	ds_read_b64 v[72:73], v1
	s_waitcnt vmcnt(0) lgkmcnt(0)
	v_mul_f64 v[70:71], v[70:71], v[72:73]
	s_cbranch_execz .LBB32_352
	s_branch .LBB32_353
.LBB32_351:
                                        ; implicit-def: $vgpr70_vgpr71
.LBB32_352:
	ds_read_b64 v[70:71], v1
.LBB32_353:
	v_cmp_ne_u32_e32 vcc, 4, v0
	s_and_saveexec_b64 s[4:5], vcc
	s_cbranch_execz .LBB32_357
; %bb.354:
	s_mov_b32 s6, 0
	v_add_u32_e32 v72, 0x118, v10
	v_add3_u32 v73, v10, s6, 8
	s_mov_b64 s[6:7], 0
	v_mov_b32_e32 v74, v0
.LBB32_355:                             ; =>This Inner Loop Header: Depth=1
	scratch_load_dwordx2 v[76:77], v73, off
	ds_read_b64 v[78:79], v72
	v_add_u32_e32 v74, 1, v74
	v_cmp_lt_u32_e32 vcc, 3, v74
	v_add_u32_e32 v72, 8, v72
	v_add_u32_e32 v73, 8, v73
	s_or_b64 s[6:7], vcc, s[6:7]
	s_waitcnt vmcnt(0) lgkmcnt(0)
	v_fmac_f64_e32 v[70:71], v[76:77], v[78:79]
	s_andn2_b64 exec, exec, s[6:7]
	s_cbranch_execnz .LBB32_355
; %bb.356:
	s_or_b64 exec, exec, s[6:7]
.LBB32_357:
	s_or_b64 exec, exec, s[4:5]
	v_mov_b32_e32 v72, 0
	ds_read_b64 v[72:73], v72 offset:40
	s_waitcnt lgkmcnt(0)
	v_mul_f64 v[70:71], v[70:71], v[72:73]
	scratch_store_dwordx2 off, v[70:71], off offset:40
.LBB32_358:
	;; [unrolled: 55-line block ×27, first 2 shown]
	s_or_b64 exec, exec, s[2:3]
	scratch_load_dwordx2 v[70:71], off, off offset:248
	v_cmp_gt_u32_e64 s[2:3], 31, v0
	s_waitcnt vmcnt(0)
	ds_write_b64 v1, v[70:71]
	s_waitcnt lgkmcnt(0)
	; wave barrier
	s_and_saveexec_b64 s[4:5], s[2:3]
	s_cbranch_execz .LBB32_618
; %bb.609:
	s_and_b64 vcc, exec, s[0:1]
	s_cbranch_vccnz .LBB32_611
; %bb.610:
	scratch_load_dwordx2 v[70:71], v11, off
	ds_read_b64 v[72:73], v1
	s_waitcnt vmcnt(0) lgkmcnt(0)
	v_mul_f64 v[70:71], v[70:71], v[72:73]
	s_cbranch_execz .LBB32_612
	s_branch .LBB32_613
.LBB32_611:
                                        ; implicit-def: $vgpr70_vgpr71
.LBB32_612:
	ds_read_b64 v[70:71], v1
.LBB32_613:
	v_cmp_ne_u32_e32 vcc, 30, v0
	s_and_saveexec_b64 s[6:7], vcc
	s_cbranch_execz .LBB32_617
; %bb.614:
	s_mov_b32 s8, 0
	v_add_u32_e32 v72, 0x118, v10
	v_add3_u32 v73, v10, s8, 8
	s_mov_b64 s[8:9], 0
	v_mov_b32_e32 v74, v0
.LBB32_615:                             ; =>This Inner Loop Header: Depth=1
	scratch_load_dwordx2 v[76:77], v73, off
	ds_read_b64 v[78:79], v72
	v_add_u32_e32 v74, 1, v74
	v_cmp_lt_u32_e32 vcc, 29, v74
	v_add_u32_e32 v72, 8, v72
	v_add_u32_e32 v73, 8, v73
	s_or_b64 s[8:9], vcc, s[8:9]
	s_waitcnt vmcnt(0) lgkmcnt(0)
	v_fmac_f64_e32 v[70:71], v[76:77], v[78:79]
	s_andn2_b64 exec, exec, s[8:9]
	s_cbranch_execnz .LBB32_615
; %bb.616:
	s_or_b64 exec, exec, s[8:9]
.LBB32_617:
	s_or_b64 exec, exec, s[6:7]
	v_mov_b32_e32 v72, 0
	ds_read_b64 v[72:73], v72 offset:248
	s_waitcnt lgkmcnt(0)
	v_mul_f64 v[70:71], v[70:71], v[72:73]
	scratch_store_dwordx2 off, v[70:71], off offset:248
.LBB32_618:
	s_or_b64 exec, exec, s[4:5]
	scratch_load_dwordx2 v[70:71], off, off offset:256
	v_cmp_ne_u32_e32 vcc, 32, v0
	s_waitcnt vmcnt(0)
	ds_write_b64 v1, v[70:71]
	s_waitcnt lgkmcnt(0)
	; wave barrier
	s_and_saveexec_b64 s[4:5], vcc
	s_cbranch_execz .LBB32_628
; %bb.619:
	s_and_b64 vcc, exec, s[0:1]
	s_cbranch_vccnz .LBB32_621
; %bb.620:
	scratch_load_dwordx2 v[70:71], v11, off
	ds_read_b64 v[72:73], v1
	s_waitcnt vmcnt(0) lgkmcnt(0)
	v_mul_f64 v[70:71], v[70:71], v[72:73]
	s_cbranch_execz .LBB32_622
	s_branch .LBB32_623
.LBB32_621:
                                        ; implicit-def: $vgpr70_vgpr71
.LBB32_622:
	ds_read_b64 v[70:71], v1
.LBB32_623:
	s_and_saveexec_b64 s[0:1], s[2:3]
	s_cbranch_execz .LBB32_627
; %bb.624:
	s_mov_b32 s2, 0
	v_add_u32_e32 v1, 0x118, v10
	v_add3_u32 v10, v10, s2, 8
	s_mov_b64 s[2:3], 0
.LBB32_625:                             ; =>This Inner Loop Header: Depth=1
	scratch_load_dwordx2 v[72:73], v10, off
	ds_read_b64 v[74:75], v1
	v_add_u32_e32 v0, 1, v0
	v_cmp_lt_u32_e32 vcc, 30, v0
	v_add_u32_e32 v1, 8, v1
	v_add_u32_e32 v10, 8, v10
	s_or_b64 s[2:3], vcc, s[2:3]
	s_waitcnt vmcnt(0) lgkmcnt(0)
	v_fmac_f64_e32 v[70:71], v[72:73], v[74:75]
	s_andn2_b64 exec, exec, s[2:3]
	s_cbranch_execnz .LBB32_625
; %bb.626:
	s_or_b64 exec, exec, s[2:3]
.LBB32_627:
	s_or_b64 exec, exec, s[0:1]
	v_mov_b32_e32 v0, 0
	ds_read_b64 v[0:1], v0 offset:256
	s_waitcnt lgkmcnt(0)
	v_mul_f64 v[0:1], v[70:71], v[0:1]
	scratch_store_dwordx2 off, v[0:1], off offset:256
.LBB32_628:
	s_or_b64 exec, exec, s[4:5]
.LBB32_629:
	scratch_load_dwordx4 v[70:73], off, off
	s_waitcnt vmcnt(0)
	global_store_dwordx2 v[2:3], v[70:71], off
	global_store_dwordx2 v[4:5], v[72:73], off
	scratch_load_dwordx4 v[0:3], off, off offset:16
	s_waitcnt vmcnt(0)
	global_store_dwordx2 v[6:7], v[0:1], off
	global_store_dwordx2 v[8:9], v[2:3], off
	scratch_load_dwordx4 v[0:3], off, off offset:32
	s_waitcnt vmcnt(0)
	global_store_dwordx2 v[12:13], v[0:1], off
	global_store_dwordx2 v[14:15], v[2:3], off
	scratch_load_dwordx4 v[0:3], off, off offset:48
	s_waitcnt vmcnt(0)
	global_store_dwordx2 v[16:17], v[0:1], off
	global_store_dwordx2 v[18:19], v[2:3], off
	scratch_load_dwordx4 v[0:3], off, off offset:64
	s_waitcnt vmcnt(0)
	global_store_dwordx2 v[20:21], v[0:1], off
	global_store_dwordx2 v[22:23], v[2:3], off
	scratch_load_dwordx4 v[0:3], off, off offset:80
	s_waitcnt vmcnt(0)
	global_store_dwordx2 v[24:25], v[0:1], off
	global_store_dwordx2 v[26:27], v[2:3], off
	scratch_load_dwordx4 v[0:3], off, off offset:96
	s_waitcnt vmcnt(0)
	global_store_dwordx2 v[28:29], v[0:1], off
	global_store_dwordx2 v[30:31], v[2:3], off
	scratch_load_dwordx4 v[0:3], off, off offset:112
	s_waitcnt vmcnt(0)
	global_store_dwordx2 v[32:33], v[0:1], off
	global_store_dwordx2 v[34:35], v[2:3], off
	scratch_load_dwordx4 v[0:3], off, off offset:128
	s_waitcnt vmcnt(0)
	global_store_dwordx2 v[36:37], v[0:1], off
	global_store_dwordx2 v[38:39], v[2:3], off
	scratch_load_dwordx4 v[0:3], off, off offset:144
	s_waitcnt vmcnt(0)
	global_store_dwordx2 v[40:41], v[0:1], off
	global_store_dwordx2 v[42:43], v[2:3], off
	scratch_load_dwordx4 v[0:3], off, off offset:160
	s_waitcnt vmcnt(0)
	global_store_dwordx2 v[44:45], v[0:1], off
	global_store_dwordx2 v[46:47], v[2:3], off
	scratch_load_dwordx4 v[0:3], off, off offset:176
	s_waitcnt vmcnt(0)
	global_store_dwordx2 v[48:49], v[0:1], off
	global_store_dwordx2 v[50:51], v[2:3], off
	scratch_load_dwordx4 v[0:3], off, off offset:192
	s_waitcnt vmcnt(0)
	global_store_dwordx2 v[52:53], v[0:1], off
	global_store_dwordx2 v[54:55], v[2:3], off
	scratch_load_dwordx4 v[0:3], off, off offset:208
	s_waitcnt vmcnt(0)
	global_store_dwordx2 v[56:57], v[0:1], off
	global_store_dwordx2 v[58:59], v[2:3], off
	scratch_load_dwordx4 v[0:3], off, off offset:224
	s_waitcnt vmcnt(0)
	global_store_dwordx2 v[60:61], v[0:1], off
	global_store_dwordx2 v[62:63], v[2:3], off
	scratch_load_dwordx4 v[0:3], off, off offset:240
	s_waitcnt vmcnt(0)
	global_store_dwordx2 v[66:67], v[0:1], off
	global_store_dwordx2 v[68:69], v[2:3], off
	scratch_load_dwordx2 v[0:1], off, off offset:256
	s_waitcnt vmcnt(0)
	global_store_dwordx2 v[64:65], v[0:1], off
.LBB32_630:
	s_endpgm
	.section	.rodata,"a",@progbits
	.p2align	6, 0x0
	.amdhsa_kernel _ZN9rocsolver6v33100L18trti2_kernel_smallILi33EdPdEEv13rocblas_fill_17rocblas_diagonal_T1_iil
		.amdhsa_group_segment_fixed_size 536
		.amdhsa_private_segment_fixed_size 272
		.amdhsa_kernarg_size 32
		.amdhsa_user_sgpr_count 2
		.amdhsa_user_sgpr_dispatch_ptr 0
		.amdhsa_user_sgpr_queue_ptr 0
		.amdhsa_user_sgpr_kernarg_segment_ptr 1
		.amdhsa_user_sgpr_dispatch_id 0
		.amdhsa_user_sgpr_kernarg_preload_length 0
		.amdhsa_user_sgpr_kernarg_preload_offset 0
		.amdhsa_user_sgpr_private_segment_size 0
		.amdhsa_uses_dynamic_stack 0
		.amdhsa_enable_private_segment 1
		.amdhsa_system_sgpr_workgroup_id_x 1
		.amdhsa_system_sgpr_workgroup_id_y 0
		.amdhsa_system_sgpr_workgroup_id_z 0
		.amdhsa_system_sgpr_workgroup_info 0
		.amdhsa_system_vgpr_workitem_id 0
		.amdhsa_next_free_vgpr 80
		.amdhsa_next_free_sgpr 26
		.amdhsa_accum_offset 80
		.amdhsa_reserve_vcc 1
		.amdhsa_float_round_mode_32 0
		.amdhsa_float_round_mode_16_64 0
		.amdhsa_float_denorm_mode_32 3
		.amdhsa_float_denorm_mode_16_64 3
		.amdhsa_dx10_clamp 1
		.amdhsa_ieee_mode 1
		.amdhsa_fp16_overflow 0
		.amdhsa_tg_split 0
		.amdhsa_exception_fp_ieee_invalid_op 0
		.amdhsa_exception_fp_denorm_src 0
		.amdhsa_exception_fp_ieee_div_zero 0
		.amdhsa_exception_fp_ieee_overflow 0
		.amdhsa_exception_fp_ieee_underflow 0
		.amdhsa_exception_fp_ieee_inexact 0
		.amdhsa_exception_int_div_zero 0
	.end_amdhsa_kernel
	.section	.text._ZN9rocsolver6v33100L18trti2_kernel_smallILi33EdPdEEv13rocblas_fill_17rocblas_diagonal_T1_iil,"axG",@progbits,_ZN9rocsolver6v33100L18trti2_kernel_smallILi33EdPdEEv13rocblas_fill_17rocblas_diagonal_T1_iil,comdat
.Lfunc_end32:
	.size	_ZN9rocsolver6v33100L18trti2_kernel_smallILi33EdPdEEv13rocblas_fill_17rocblas_diagonal_T1_iil, .Lfunc_end32-_ZN9rocsolver6v33100L18trti2_kernel_smallILi33EdPdEEv13rocblas_fill_17rocblas_diagonal_T1_iil
                                        ; -- End function
	.set _ZN9rocsolver6v33100L18trti2_kernel_smallILi33EdPdEEv13rocblas_fill_17rocblas_diagonal_T1_iil.num_vgpr, 80
	.set _ZN9rocsolver6v33100L18trti2_kernel_smallILi33EdPdEEv13rocblas_fill_17rocblas_diagonal_T1_iil.num_agpr, 0
	.set _ZN9rocsolver6v33100L18trti2_kernel_smallILi33EdPdEEv13rocblas_fill_17rocblas_diagonal_T1_iil.numbered_sgpr, 26
	.set _ZN9rocsolver6v33100L18trti2_kernel_smallILi33EdPdEEv13rocblas_fill_17rocblas_diagonal_T1_iil.num_named_barrier, 0
	.set _ZN9rocsolver6v33100L18trti2_kernel_smallILi33EdPdEEv13rocblas_fill_17rocblas_diagonal_T1_iil.private_seg_size, 272
	.set _ZN9rocsolver6v33100L18trti2_kernel_smallILi33EdPdEEv13rocblas_fill_17rocblas_diagonal_T1_iil.uses_vcc, 1
	.set _ZN9rocsolver6v33100L18trti2_kernel_smallILi33EdPdEEv13rocblas_fill_17rocblas_diagonal_T1_iil.uses_flat_scratch, 0
	.set _ZN9rocsolver6v33100L18trti2_kernel_smallILi33EdPdEEv13rocblas_fill_17rocblas_diagonal_T1_iil.has_dyn_sized_stack, 0
	.set _ZN9rocsolver6v33100L18trti2_kernel_smallILi33EdPdEEv13rocblas_fill_17rocblas_diagonal_T1_iil.has_recursion, 0
	.set _ZN9rocsolver6v33100L18trti2_kernel_smallILi33EdPdEEv13rocblas_fill_17rocblas_diagonal_T1_iil.has_indirect_call, 0
	.section	.AMDGPU.csdata,"",@progbits
; Kernel info:
; codeLenInByte = 15560
; TotalNumSgprs: 32
; NumVgprs: 80
; NumAgprs: 0
; TotalNumVgprs: 80
; ScratchSize: 272
; MemoryBound: 0
; FloatMode: 240
; IeeeMode: 1
; LDSByteSize: 536 bytes/workgroup (compile time only)
; SGPRBlocks: 3
; VGPRBlocks: 9
; NumSGPRsForWavesPerEU: 32
; NumVGPRsForWavesPerEU: 80
; AccumOffset: 80
; Occupancy: 6
; WaveLimiterHint : 0
; COMPUTE_PGM_RSRC2:SCRATCH_EN: 1
; COMPUTE_PGM_RSRC2:USER_SGPR: 2
; COMPUTE_PGM_RSRC2:TRAP_HANDLER: 0
; COMPUTE_PGM_RSRC2:TGID_X_EN: 1
; COMPUTE_PGM_RSRC2:TGID_Y_EN: 0
; COMPUTE_PGM_RSRC2:TGID_Z_EN: 0
; COMPUTE_PGM_RSRC2:TIDIG_COMP_CNT: 0
; COMPUTE_PGM_RSRC3_GFX90A:ACCUM_OFFSET: 19
; COMPUTE_PGM_RSRC3_GFX90A:TG_SPLIT: 0
	.section	.text._ZN9rocsolver6v33100L18trti2_kernel_smallILi34EdPdEEv13rocblas_fill_17rocblas_diagonal_T1_iil,"axG",@progbits,_ZN9rocsolver6v33100L18trti2_kernel_smallILi34EdPdEEv13rocblas_fill_17rocblas_diagonal_T1_iil,comdat
	.globl	_ZN9rocsolver6v33100L18trti2_kernel_smallILi34EdPdEEv13rocblas_fill_17rocblas_diagonal_T1_iil ; -- Begin function _ZN9rocsolver6v33100L18trti2_kernel_smallILi34EdPdEEv13rocblas_fill_17rocblas_diagonal_T1_iil
	.p2align	8
	.type	_ZN9rocsolver6v33100L18trti2_kernel_smallILi34EdPdEEv13rocblas_fill_17rocblas_diagonal_T1_iil,@function
_ZN9rocsolver6v33100L18trti2_kernel_smallILi34EdPdEEv13rocblas_fill_17rocblas_diagonal_T1_iil: ; @_ZN9rocsolver6v33100L18trti2_kernel_smallILi34EdPdEEv13rocblas_fill_17rocblas_diagonal_T1_iil
; %bb.0:
	v_cmp_gt_u32_e32 vcc, 34, v0
	s_and_saveexec_b64 s[4:5], vcc
	s_cbranch_execz .LBB33_650
; %bb.1:
	s_load_dwordx8 s[4:11], s[0:1], 0x0
	s_ashr_i32 s3, s2, 31
	v_lshlrev_b32_e32 v16, 3, v0
	v_mov_b32_e32 v17, 0
	s_waitcnt lgkmcnt(0)
	s_ashr_i32 s1, s8, 31
	s_mov_b32 s0, s8
	s_mul_hi_u32 s8, s10, s2
	s_mul_i32 s3, s10, s3
	s_add_i32 s3, s8, s3
	s_mul_i32 s8, s11, s2
	s_add_i32 s3, s3, s8
	s_mul_i32 s2, s10, s2
	s_lshl_b64 s[2:3], s[2:3], 3
	s_add_u32 s2, s6, s2
	s_addc_u32 s3, s7, s3
	s_lshl_b64 s[0:1], s[0:1], 3
	s_add_u32 s0, s2, s0
	s_addc_u32 s1, s3, s1
	v_lshl_add_u64 v[2:3], s[0:1], 0, v[16:17]
	s_ashr_i32 s3, s9, 31
	s_mov_b32 s2, s9
	v_lshl_add_u64 v[4:5], s[2:3], 3, v[2:3]
	global_load_dwordx2 v[6:7], v16, s[0:1]
	global_load_dwordx2 v[8:9], v[4:5], off
	s_add_i32 s2, s9, s9
	s_cmpk_lg_i32 s5, 0x84
	s_cselect_b64 s[6:7], -1, 0
	s_cmpk_eq_i32 s5, 0x84
	s_waitcnt vmcnt(0)
	scratch_store_dwordx4 off, v[6:9], off
	s_nop 1
	v_add_u32_e32 v8, s2, v0
	v_add_u32_e32 v10, s9, v8
	v_ashrrev_i32_e32 v9, 31, v8
	v_ashrrev_i32_e32 v11, 31, v10
	v_lshl_add_u64 v[6:7], v[8:9], 3, s[0:1]
	v_lshl_add_u64 v[8:9], v[10:11], 3, s[0:1]
	global_load_dwordx2 v[12:13], v[6:7], off
	global_load_dwordx2 v[14:15], v[8:9], off
	s_waitcnt vmcnt(0)
	scratch_store_dwordx4 off, v[12:15], off offset:16
	s_nop 1
	v_add_u32_e32 v12, s9, v10
	v_add_u32_e32 v14, s9, v12
	v_ashrrev_i32_e32 v13, 31, v12
	v_ashrrev_i32_e32 v15, 31, v14
	v_lshl_add_u64 v[10:11], v[12:13], 3, s[0:1]
	v_lshl_add_u64 v[12:13], v[14:15], 3, s[0:1]
	global_load_dwordx2 v[18:19], v[10:11], off
	global_load_dwordx2 v[20:21], v[12:13], off
	s_waitcnt vmcnt(0)
	scratch_store_dwordx4 off, v[18:21], off offset:32
	;; [unrolled: 11-line block ×12, first 2 shown]
	s_nop 1
	v_add_u32_e32 v58, s9, v56
	v_ashrrev_i32_e32 v59, 31, v58
	v_lshl_add_u64 v[56:57], v[58:59], 3, s[0:1]
	v_add_u32_e32 v58, s9, v58
	v_ashrrev_i32_e32 v59, 31, v58
	v_lshl_add_u64 v[60:61], v[58:59], 3, s[0:1]
	global_load_dwordx2 v[62:63], v[56:57], off
	global_load_dwordx2 v[64:65], v[60:61], off
	v_add_u32_e32 v58, s9, v58
	v_ashrrev_i32_e32 v59, 31, v58
	s_waitcnt vmcnt(0)
	scratch_store_dwordx4 off, v[62:65], off offset:208
	s_nop 1
	v_lshl_add_u64 v[64:65], v[58:59], 3, s[0:1]
	v_add_u32_e32 v58, s9, v58
	v_ashrrev_i32_e32 v59, 31, v58
	v_lshl_add_u64 v[66:67], v[58:59], 3, s[0:1]
	global_load_dwordx2 v[68:69], v[64:65], off
	global_load_dwordx2 v[70:71], v[66:67], off
	v_add_u32_e32 v58, s9, v58
	v_ashrrev_i32_e32 v59, 31, v58
	s_waitcnt vmcnt(0)
	scratch_store_dwordx4 off, v[68:71], off offset:224
	s_nop 1
	v_lshl_add_u64 v[68:69], v[58:59], 3, s[0:1]
	v_add_u32_e32 v58, s9, v58
	v_ashrrev_i32_e32 v59, 31, v58
	v_lshl_add_u64 v[70:71], v[58:59], 3, s[0:1]
	global_load_dwordx2 v[72:73], v[68:69], off
	global_load_dwordx2 v[74:75], v[70:71], off
	v_add_u32_e32 v62, s9, v58
	v_ashrrev_i32_e32 v63, 31, v62
	v_lshl_add_u64 v[58:59], v[62:63], 3, s[0:1]
	v_add_u32_e32 v62, s9, v62
	v_ashrrev_i32_e32 v63, 31, v62
	v_lshl_add_u64 v[62:63], v[62:63], 3, s[0:1]
	s_waitcnt vmcnt(0)
	scratch_store_dwordx4 off, v[72:75], off offset:240
	global_load_dwordx2 v[72:73], v[58:59], off
	s_nop 0
	global_load_dwordx2 v[74:75], v[62:63], off
	s_waitcnt vmcnt(0)
	scratch_store_dwordx4 off, v[72:75], off offset:256
	s_nop 1
	v_mov_b64_e32 v[72:73], -1.0
	s_cbranch_scc1 .LBB33_3
; %bb.2:
	scratch_load_dwordx2 v[72:73], v16, off
	s_waitcnt vmcnt(0)
	v_div_scale_f64 v[74:75], s[0:1], v[72:73], v[72:73], 1.0
	v_rcp_f64_e32 v[76:77], v[74:75]
	v_div_scale_f64 v[78:79], vcc, 1.0, v[72:73], 1.0
	v_fma_f64 v[80:81], -v[74:75], v[76:77], 1.0
	v_fmac_f64_e32 v[76:77], v[76:77], v[80:81]
	v_fma_f64 v[80:81], -v[74:75], v[76:77], 1.0
	v_fmac_f64_e32 v[76:77], v[76:77], v[80:81]
	v_mul_f64 v[80:81], v[78:79], v[76:77]
	v_fma_f64 v[74:75], -v[74:75], v[80:81], v[78:79]
	v_div_fmas_f64 v[74:75], v[74:75], v[76:77], v[80:81]
	v_div_fixup_f64 v[72:73], v[74:75], v[72:73], 1.0
	scratch_store_dwordx2 v16, v[72:73], off
	v_xor_b32_e32 v73, 0x80000000, v73
.LBB33_3:
	s_cmpk_eq_i32 s4, 0x79
	v_add_u32_e32 v1, 0x110, v16
	v_mov_b32_e32 v17, v16
	s_mov_b64 s[0:1], -1
	ds_write_b64 v16, v[72:73]
	s_cbranch_scc1 .LBB33_327
; %bb.4:
	scratch_load_dwordx2 v[72:73], off, off offset:256
	s_movk_i32 s8, 0x50
	s_movk_i32 s9, 0x60
	;; [unrolled: 1-line block ×11, first 2 shown]
	v_cmp_eq_u32_e64 s[0:1], 33, v0
	s_waitcnt vmcnt(0)
	ds_write_b64 v1, v[72:73]
	s_waitcnt lgkmcnt(0)
	; wave barrier
	s_and_saveexec_b64 s[2:3], s[0:1]
	s_cbranch_execz .LBB33_10
; %bb.5:
	s_and_b64 vcc, exec, s[6:7]
	s_cbranch_vccz .LBB33_7
; %bb.6:
	scratch_load_dwordx2 v[72:73], v17, off
	ds_read_b64 v[74:75], v1
	s_waitcnt vmcnt(0) lgkmcnt(0)
	v_mul_f64 v[72:73], v[72:73], v[74:75]
	s_cbranch_execz .LBB33_8
	s_branch .LBB33_9
.LBB33_7:
                                        ; implicit-def: $vgpr72_vgpr73
.LBB33_8:
	ds_read_b64 v[72:73], v1
.LBB33_9:
	v_mov_b32_e32 v74, 0
	ds_read_b64 v[74:75], v74 offset:256
	s_waitcnt lgkmcnt(0)
	v_mul_f64 v[72:73], v[72:73], v[74:75]
	scratch_store_dwordx2 off, v[72:73], off offset:256
.LBB33_10:
	s_or_b64 exec, exec, s[2:3]
	scratch_load_dwordx2 v[72:73], off, off offset:248
	s_mov_b32 s10, 16
	s_mov_b32 s11, 32
	;; [unrolled: 1-line block ×6, first 2 shown]
	v_cmp_lt_u32_e64 s[2:3], 31, v0
	s_waitcnt vmcnt(0)
	ds_write_b64 v1, v[72:73]
	s_waitcnt lgkmcnt(0)
	; wave barrier
	s_and_saveexec_b64 s[4:5], s[2:3]
	s_cbranch_execz .LBB33_16
; %bb.11:
	s_andn2_b64 vcc, exec, s[6:7]
	s_cbranch_vccnz .LBB33_13
; %bb.12:
	scratch_load_dwordx2 v[72:73], v17, off
	ds_read_b64 v[74:75], v1
	s_waitcnt vmcnt(0) lgkmcnt(0)
	v_mul_f64 v[72:73], v[72:73], v[74:75]
	s_cbranch_execz .LBB33_14
	s_branch .LBB33_15
.LBB33_13:
                                        ; implicit-def: $vgpr72_vgpr73
.LBB33_14:
	ds_read_b64 v[72:73], v1
.LBB33_15:
	scratch_load_dwordx2 v[78:79], off, off offset:256
	v_mov_b32_e32 v74, 0
	ds_read2_b64 v[74:77], v74 offset0:31 offset1:66
	s_waitcnt vmcnt(0) lgkmcnt(0)
	v_fma_f64 v[76:77], v[78:79], v[76:77], v[72:73]
	v_cndmask_b32_e64 v73, v73, v77, s[0:1]
	v_cndmask_b32_e64 v72, v72, v76, s[0:1]
	v_mul_f64 v[72:73], v[72:73], v[74:75]
	scratch_store_dwordx2 off, v[72:73], off offset:248
.LBB33_16:
	s_or_b64 exec, exec, s[4:5]
	scratch_load_dwordx2 v[72:73], off, off offset:240
	v_cmp_lt_u32_e64 s[0:1], 30, v0
	s_waitcnt vmcnt(0)
	ds_write_b64 v1, v[72:73]
	s_waitcnt lgkmcnt(0)
	; wave barrier
	s_and_saveexec_b64 s[4:5], s[0:1]
	s_cbranch_execz .LBB33_26
; %bb.17:
	s_andn2_b64 vcc, exec, s[6:7]
	s_cbranch_vccnz .LBB33_19
; %bb.18:
	scratch_load_dwordx2 v[72:73], v17, off
	ds_read_b64 v[74:75], v1
	s_waitcnt vmcnt(0) lgkmcnt(0)
	v_mul_f64 v[72:73], v[72:73], v[74:75]
	s_cbranch_execz .LBB33_20
	s_branch .LBB33_21
.LBB33_19:
                                        ; implicit-def: $vgpr72_vgpr73
.LBB33_20:
	ds_read_b64 v[72:73], v1
.LBB33_21:
	s_and_saveexec_b64 s[8:9], s[2:3]
	s_cbranch_execz .LBB33_25
; %bb.22:
	s_movk_i32 s25, 0xf8
	v_subrev_u32_e32 v74, 31, v0
	s_movk_i32 s26, 0x208
	s_mov_b64 s[2:3], 0
.LBB33_23:                              ; =>This Inner Loop Header: Depth=1
	scratch_load_dwordx2 v[76:77], off, s25
	v_mov_b32_e32 v75, s26
	ds_read_b64 v[78:79], v75
	v_add_u32_e32 v74, -1, v74
	s_add_i32 s26, s26, 8
	s_add_i32 s25, s25, 8
	v_cmp_eq_u32_e32 vcc, 0, v74
	s_or_b64 s[2:3], vcc, s[2:3]
	s_waitcnt vmcnt(0) lgkmcnt(0)
	v_fmac_f64_e32 v[72:73], v[76:77], v[78:79]
	s_andn2_b64 exec, exec, s[2:3]
	s_cbranch_execnz .LBB33_23
; %bb.24:
	s_or_b64 exec, exec, s[2:3]
.LBB33_25:
	s_or_b64 exec, exec, s[8:9]
	v_mov_b32_e32 v74, 0
	ds_read_b64 v[74:75], v74 offset:240
	s_waitcnt lgkmcnt(0)
	v_mul_f64 v[72:73], v[72:73], v[74:75]
	scratch_store_dwordx2 off, v[72:73], off offset:240
.LBB33_26:
	s_or_b64 exec, exec, s[4:5]
	scratch_load_dwordx2 v[72:73], off, off offset:232
	v_cmp_lt_u32_e64 s[2:3], 29, v0
	s_waitcnt vmcnt(0)
	ds_write_b64 v1, v[72:73]
	s_waitcnt lgkmcnt(0)
	; wave barrier
	s_and_saveexec_b64 s[4:5], s[2:3]
	s_cbranch_execz .LBB33_36
; %bb.27:
	s_andn2_b64 vcc, exec, s[6:7]
	s_cbranch_vccnz .LBB33_29
; %bb.28:
	scratch_load_dwordx2 v[72:73], v17, off
	ds_read_b64 v[74:75], v1
	s_waitcnt vmcnt(0) lgkmcnt(0)
	v_mul_f64 v[72:73], v[72:73], v[74:75]
	s_cbranch_execz .LBB33_30
	s_branch .LBB33_31
.LBB33_29:
                                        ; implicit-def: $vgpr72_vgpr73
.LBB33_30:
	ds_read_b64 v[72:73], v1
.LBB33_31:
	s_and_saveexec_b64 s[8:9], s[0:1]
	s_cbranch_execz .LBB33_35
; %bb.32:
	v_subrev_u32_e32 v74, 30, v0
	s_movk_i32 s25, 0x200
	s_mov_b64 s[0:1], 0
.LBB33_33:                              ; =>This Inner Loop Header: Depth=1
	scratch_load_dwordx2 v[76:77], off, s24
	v_mov_b32_e32 v75, s25
	ds_read_b64 v[78:79], v75
	v_add_u32_e32 v74, -1, v74
	s_add_i32 s25, s25, 8
	s_add_i32 s24, s24, 8
	v_cmp_eq_u32_e32 vcc, 0, v74
	s_or_b64 s[0:1], vcc, s[0:1]
	s_waitcnt vmcnt(0) lgkmcnt(0)
	v_fmac_f64_e32 v[72:73], v[76:77], v[78:79]
	s_andn2_b64 exec, exec, s[0:1]
	s_cbranch_execnz .LBB33_33
; %bb.34:
	s_or_b64 exec, exec, s[0:1]
.LBB33_35:
	s_or_b64 exec, exec, s[8:9]
	v_mov_b32_e32 v74, 0
	ds_read_b64 v[74:75], v74 offset:232
	s_waitcnt lgkmcnt(0)
	v_mul_f64 v[72:73], v[72:73], v[74:75]
	scratch_store_dwordx2 off, v[72:73], off offset:232
.LBB33_36:
	s_or_b64 exec, exec, s[4:5]
	scratch_load_dwordx2 v[72:73], off, off offset:224
	v_cmp_lt_u32_e64 s[0:1], 28, v0
	s_waitcnt vmcnt(0)
	ds_write_b64 v1, v[72:73]
	s_waitcnt lgkmcnt(0)
	; wave barrier
	s_and_saveexec_b64 s[4:5], s[0:1]
	s_cbranch_execz .LBB33_46
; %bb.37:
	s_andn2_b64 vcc, exec, s[6:7]
	s_cbranch_vccnz .LBB33_39
; %bb.38:
	scratch_load_dwordx2 v[72:73], v17, off
	ds_read_b64 v[74:75], v1
	s_waitcnt vmcnt(0) lgkmcnt(0)
	v_mul_f64 v[72:73], v[72:73], v[74:75]
	s_cbranch_execz .LBB33_40
	s_branch .LBB33_41
.LBB33_39:
                                        ; implicit-def: $vgpr72_vgpr73
.LBB33_40:
	ds_read_b64 v[72:73], v1
.LBB33_41:
	s_and_saveexec_b64 s[8:9], s[2:3]
	s_cbranch_execz .LBB33_45
; %bb.42:
	s_movk_i32 s24, 0xe8
	v_subrev_u32_e32 v74, 29, v0
	s_movk_i32 s25, 0x1f8
	s_mov_b64 s[2:3], 0
.LBB33_43:                              ; =>This Inner Loop Header: Depth=1
	scratch_load_dwordx2 v[76:77], off, s24
	v_mov_b32_e32 v75, s25
	ds_read_b64 v[78:79], v75
	v_add_u32_e32 v74, -1, v74
	s_add_i32 s25, s25, 8
	s_add_i32 s24, s24, 8
	v_cmp_eq_u32_e32 vcc, 0, v74
	s_or_b64 s[2:3], vcc, s[2:3]
	s_waitcnt vmcnt(0) lgkmcnt(0)
	v_fmac_f64_e32 v[72:73], v[76:77], v[78:79]
	s_andn2_b64 exec, exec, s[2:3]
	s_cbranch_execnz .LBB33_43
; %bb.44:
	s_or_b64 exec, exec, s[2:3]
.LBB33_45:
	s_or_b64 exec, exec, s[8:9]
	v_mov_b32_e32 v74, 0
	ds_read_b64 v[74:75], v74 offset:224
	s_waitcnt lgkmcnt(0)
	v_mul_f64 v[72:73], v[72:73], v[74:75]
	scratch_store_dwordx2 off, v[72:73], off offset:224
.LBB33_46:
	s_or_b64 exec, exec, s[4:5]
	scratch_load_dwordx2 v[72:73], off, off offset:216
	v_cmp_lt_u32_e64 s[2:3], 27, v0
	s_waitcnt vmcnt(0)
	ds_write_b64 v1, v[72:73]
	s_waitcnt lgkmcnt(0)
	; wave barrier
	s_and_saveexec_b64 s[4:5], s[2:3]
	s_cbranch_execz .LBB33_56
; %bb.47:
	s_andn2_b64 vcc, exec, s[6:7]
	s_cbranch_vccnz .LBB33_49
; %bb.48:
	scratch_load_dwordx2 v[72:73], v17, off
	ds_read_b64 v[74:75], v1
	s_waitcnt vmcnt(0) lgkmcnt(0)
	v_mul_f64 v[72:73], v[72:73], v[74:75]
	s_cbranch_execz .LBB33_50
	s_branch .LBB33_51
.LBB33_49:
                                        ; implicit-def: $vgpr72_vgpr73
.LBB33_50:
	ds_read_b64 v[72:73], v1
.LBB33_51:
	s_and_saveexec_b64 s[8:9], s[0:1]
	s_cbranch_execz .LBB33_55
; %bb.52:
	v_subrev_u32_e32 v74, 28, v0
	s_movk_i32 s24, 0x1f0
	s_mov_b64 s[0:1], 0
.LBB33_53:                              ; =>This Inner Loop Header: Depth=1
	scratch_load_dwordx2 v[76:77], off, s23
	v_mov_b32_e32 v75, s24
	ds_read_b64 v[78:79], v75
	v_add_u32_e32 v74, -1, v74
	s_add_i32 s24, s24, 8
	s_add_i32 s23, s23, 8
	v_cmp_eq_u32_e32 vcc, 0, v74
	s_or_b64 s[0:1], vcc, s[0:1]
	s_waitcnt vmcnt(0) lgkmcnt(0)
	v_fmac_f64_e32 v[72:73], v[76:77], v[78:79]
	s_andn2_b64 exec, exec, s[0:1]
	s_cbranch_execnz .LBB33_53
; %bb.54:
	s_or_b64 exec, exec, s[0:1]
.LBB33_55:
	s_or_b64 exec, exec, s[8:9]
	v_mov_b32_e32 v74, 0
	ds_read_b64 v[74:75], v74 offset:216
	s_waitcnt lgkmcnt(0)
	v_mul_f64 v[72:73], v[72:73], v[74:75]
	scratch_store_dwordx2 off, v[72:73], off offset:216
.LBB33_56:
	s_or_b64 exec, exec, s[4:5]
	scratch_load_dwordx2 v[72:73], off, off offset:208
	v_cmp_lt_u32_e64 s[0:1], 26, v0
	s_waitcnt vmcnt(0)
	ds_write_b64 v1, v[72:73]
	s_waitcnt lgkmcnt(0)
	; wave barrier
	s_and_saveexec_b64 s[4:5], s[0:1]
	s_cbranch_execz .LBB33_66
; %bb.57:
	s_andn2_b64 vcc, exec, s[6:7]
	s_cbranch_vccnz .LBB33_59
; %bb.58:
	scratch_load_dwordx2 v[72:73], v17, off
	ds_read_b64 v[74:75], v1
	s_waitcnt vmcnt(0) lgkmcnt(0)
	v_mul_f64 v[72:73], v[72:73], v[74:75]
	s_cbranch_execz .LBB33_60
	s_branch .LBB33_61
.LBB33_59:
                                        ; implicit-def: $vgpr72_vgpr73
.LBB33_60:
	ds_read_b64 v[72:73], v1
.LBB33_61:
	s_and_saveexec_b64 s[8:9], s[2:3]
	s_cbranch_execz .LBB33_65
; %bb.62:
	s_movk_i32 s23, 0xd8
	v_subrev_u32_e32 v74, 27, v0
	s_movk_i32 s24, 0x1e8
	s_mov_b64 s[2:3], 0
.LBB33_63:                              ; =>This Inner Loop Header: Depth=1
	scratch_load_dwordx2 v[76:77], off, s23
	v_mov_b32_e32 v75, s24
	ds_read_b64 v[78:79], v75
	v_add_u32_e32 v74, -1, v74
	s_add_i32 s24, s24, 8
	s_add_i32 s23, s23, 8
	v_cmp_eq_u32_e32 vcc, 0, v74
	s_or_b64 s[2:3], vcc, s[2:3]
	s_waitcnt vmcnt(0) lgkmcnt(0)
	v_fmac_f64_e32 v[72:73], v[76:77], v[78:79]
	s_andn2_b64 exec, exec, s[2:3]
	s_cbranch_execnz .LBB33_63
; %bb.64:
	s_or_b64 exec, exec, s[2:3]
.LBB33_65:
	s_or_b64 exec, exec, s[8:9]
	v_mov_b32_e32 v74, 0
	ds_read_b64 v[74:75], v74 offset:208
	s_waitcnt lgkmcnt(0)
	v_mul_f64 v[72:73], v[72:73], v[74:75]
	scratch_store_dwordx2 off, v[72:73], off offset:208
.LBB33_66:
	s_or_b64 exec, exec, s[4:5]
	scratch_load_dwordx2 v[72:73], off, off offset:200
	v_cmp_lt_u32_e64 s[2:3], 25, v0
	s_waitcnt vmcnt(0)
	ds_write_b64 v1, v[72:73]
	s_waitcnt lgkmcnt(0)
	; wave barrier
	s_and_saveexec_b64 s[4:5], s[2:3]
	s_cbranch_execz .LBB33_76
; %bb.67:
	s_andn2_b64 vcc, exec, s[6:7]
	s_cbranch_vccnz .LBB33_69
; %bb.68:
	scratch_load_dwordx2 v[72:73], v17, off
	ds_read_b64 v[74:75], v1
	s_waitcnt vmcnt(0) lgkmcnt(0)
	v_mul_f64 v[72:73], v[72:73], v[74:75]
	s_cbranch_execz .LBB33_70
	s_branch .LBB33_71
.LBB33_69:
                                        ; implicit-def: $vgpr72_vgpr73
.LBB33_70:
	ds_read_b64 v[72:73], v1
.LBB33_71:
	s_and_saveexec_b64 s[8:9], s[0:1]
	s_cbranch_execz .LBB33_75
; %bb.72:
	v_subrev_u32_e32 v74, 26, v0
	s_movk_i32 s23, 0x1e0
	s_mov_b64 s[0:1], 0
.LBB33_73:                              ; =>This Inner Loop Header: Depth=1
	scratch_load_dwordx2 v[76:77], off, s22
	v_mov_b32_e32 v75, s23
	ds_read_b64 v[78:79], v75
	v_add_u32_e32 v74, -1, v74
	s_add_i32 s23, s23, 8
	s_add_i32 s22, s22, 8
	v_cmp_eq_u32_e32 vcc, 0, v74
	s_or_b64 s[0:1], vcc, s[0:1]
	s_waitcnt vmcnt(0) lgkmcnt(0)
	v_fmac_f64_e32 v[72:73], v[76:77], v[78:79]
	s_andn2_b64 exec, exec, s[0:1]
	s_cbranch_execnz .LBB33_73
; %bb.74:
	s_or_b64 exec, exec, s[0:1]
.LBB33_75:
	s_or_b64 exec, exec, s[8:9]
	v_mov_b32_e32 v74, 0
	ds_read_b64 v[74:75], v74 offset:200
	s_waitcnt lgkmcnt(0)
	v_mul_f64 v[72:73], v[72:73], v[74:75]
	scratch_store_dwordx2 off, v[72:73], off offset:200
.LBB33_76:
	s_or_b64 exec, exec, s[4:5]
	scratch_load_dwordx2 v[72:73], off, off offset:192
	v_cmp_lt_u32_e64 s[0:1], 24, v0
	s_waitcnt vmcnt(0)
	ds_write_b64 v1, v[72:73]
	s_waitcnt lgkmcnt(0)
	; wave barrier
	s_and_saveexec_b64 s[4:5], s[0:1]
	s_cbranch_execz .LBB33_86
; %bb.77:
	s_andn2_b64 vcc, exec, s[6:7]
	s_cbranch_vccnz .LBB33_79
; %bb.78:
	scratch_load_dwordx2 v[72:73], v17, off
	ds_read_b64 v[74:75], v1
	s_waitcnt vmcnt(0) lgkmcnt(0)
	v_mul_f64 v[72:73], v[72:73], v[74:75]
	s_cbranch_execz .LBB33_80
	s_branch .LBB33_81
.LBB33_79:
                                        ; implicit-def: $vgpr72_vgpr73
.LBB33_80:
	ds_read_b64 v[72:73], v1
.LBB33_81:
	s_and_saveexec_b64 s[8:9], s[2:3]
	s_cbranch_execz .LBB33_85
; %bb.82:
	s_movk_i32 s22, 0xc8
	v_subrev_u32_e32 v74, 25, v0
	s_movk_i32 s23, 0x1d8
	s_mov_b64 s[2:3], 0
.LBB33_83:                              ; =>This Inner Loop Header: Depth=1
	scratch_load_dwordx2 v[76:77], off, s22
	v_mov_b32_e32 v75, s23
	ds_read_b64 v[78:79], v75
	v_add_u32_e32 v74, -1, v74
	s_add_i32 s23, s23, 8
	s_add_i32 s22, s22, 8
	v_cmp_eq_u32_e32 vcc, 0, v74
	s_or_b64 s[2:3], vcc, s[2:3]
	s_waitcnt vmcnt(0) lgkmcnt(0)
	v_fmac_f64_e32 v[72:73], v[76:77], v[78:79]
	s_andn2_b64 exec, exec, s[2:3]
	s_cbranch_execnz .LBB33_83
; %bb.84:
	s_or_b64 exec, exec, s[2:3]
.LBB33_85:
	s_or_b64 exec, exec, s[8:9]
	v_mov_b32_e32 v74, 0
	ds_read_b64 v[74:75], v74 offset:192
	s_waitcnt lgkmcnt(0)
	v_mul_f64 v[72:73], v[72:73], v[74:75]
	scratch_store_dwordx2 off, v[72:73], off offset:192
.LBB33_86:
	s_or_b64 exec, exec, s[4:5]
	scratch_load_dwordx2 v[72:73], off, off offset:184
	v_cmp_lt_u32_e64 s[2:3], 23, v0
	s_waitcnt vmcnt(0)
	ds_write_b64 v1, v[72:73]
	s_waitcnt lgkmcnt(0)
	; wave barrier
	s_and_saveexec_b64 s[4:5], s[2:3]
	s_cbranch_execz .LBB33_96
; %bb.87:
	s_andn2_b64 vcc, exec, s[6:7]
	s_cbranch_vccnz .LBB33_89
; %bb.88:
	scratch_load_dwordx2 v[72:73], v17, off
	ds_read_b64 v[74:75], v1
	s_waitcnt vmcnt(0) lgkmcnt(0)
	v_mul_f64 v[72:73], v[72:73], v[74:75]
	s_cbranch_execz .LBB33_90
	s_branch .LBB33_91
.LBB33_89:
                                        ; implicit-def: $vgpr72_vgpr73
.LBB33_90:
	ds_read_b64 v[72:73], v1
.LBB33_91:
	s_and_saveexec_b64 s[8:9], s[0:1]
	s_cbranch_execz .LBB33_95
; %bb.92:
	v_subrev_u32_e32 v74, 24, v0
	s_movk_i32 s22, 0x1d0
	s_mov_b64 s[0:1], 0
.LBB33_93:                              ; =>This Inner Loop Header: Depth=1
	scratch_load_dwordx2 v[76:77], off, s21
	v_mov_b32_e32 v75, s22
	ds_read_b64 v[78:79], v75
	v_add_u32_e32 v74, -1, v74
	s_add_i32 s22, s22, 8
	s_add_i32 s21, s21, 8
	v_cmp_eq_u32_e32 vcc, 0, v74
	s_or_b64 s[0:1], vcc, s[0:1]
	s_waitcnt vmcnt(0) lgkmcnt(0)
	v_fmac_f64_e32 v[72:73], v[76:77], v[78:79]
	s_andn2_b64 exec, exec, s[0:1]
	s_cbranch_execnz .LBB33_93
; %bb.94:
	s_or_b64 exec, exec, s[0:1]
.LBB33_95:
	s_or_b64 exec, exec, s[8:9]
	v_mov_b32_e32 v74, 0
	ds_read_b64 v[74:75], v74 offset:184
	s_waitcnt lgkmcnt(0)
	v_mul_f64 v[72:73], v[72:73], v[74:75]
	scratch_store_dwordx2 off, v[72:73], off offset:184
.LBB33_96:
	s_or_b64 exec, exec, s[4:5]
	scratch_load_dwordx2 v[72:73], off, off offset:176
	v_cmp_lt_u32_e64 s[0:1], 22, v0
	s_waitcnt vmcnt(0)
	ds_write_b64 v1, v[72:73]
	s_waitcnt lgkmcnt(0)
	; wave barrier
	s_and_saveexec_b64 s[4:5], s[0:1]
	s_cbranch_execz .LBB33_106
; %bb.97:
	s_andn2_b64 vcc, exec, s[6:7]
	s_cbranch_vccnz .LBB33_99
; %bb.98:
	scratch_load_dwordx2 v[72:73], v17, off
	ds_read_b64 v[74:75], v1
	s_waitcnt vmcnt(0) lgkmcnt(0)
	v_mul_f64 v[72:73], v[72:73], v[74:75]
	s_cbranch_execz .LBB33_100
	s_branch .LBB33_101
.LBB33_99:
                                        ; implicit-def: $vgpr72_vgpr73
.LBB33_100:
	ds_read_b64 v[72:73], v1
.LBB33_101:
	s_and_saveexec_b64 s[8:9], s[2:3]
	s_cbranch_execz .LBB33_105
; %bb.102:
	s_movk_i32 s21, 0xb8
	v_subrev_u32_e32 v74, 23, v0
	s_movk_i32 s22, 0x1c8
	s_mov_b64 s[2:3], 0
.LBB33_103:                             ; =>This Inner Loop Header: Depth=1
	scratch_load_dwordx2 v[76:77], off, s21
	v_mov_b32_e32 v75, s22
	ds_read_b64 v[78:79], v75
	v_add_u32_e32 v74, -1, v74
	s_add_i32 s22, s22, 8
	s_add_i32 s21, s21, 8
	v_cmp_eq_u32_e32 vcc, 0, v74
	s_or_b64 s[2:3], vcc, s[2:3]
	s_waitcnt vmcnt(0) lgkmcnt(0)
	v_fmac_f64_e32 v[72:73], v[76:77], v[78:79]
	s_andn2_b64 exec, exec, s[2:3]
	s_cbranch_execnz .LBB33_103
; %bb.104:
	s_or_b64 exec, exec, s[2:3]
.LBB33_105:
	s_or_b64 exec, exec, s[8:9]
	v_mov_b32_e32 v74, 0
	ds_read_b64 v[74:75], v74 offset:176
	s_waitcnt lgkmcnt(0)
	v_mul_f64 v[72:73], v[72:73], v[74:75]
	scratch_store_dwordx2 off, v[72:73], off offset:176
.LBB33_106:
	s_or_b64 exec, exec, s[4:5]
	scratch_load_dwordx2 v[72:73], off, off offset:168
	v_cmp_lt_u32_e64 s[2:3], 21, v0
	s_waitcnt vmcnt(0)
	ds_write_b64 v1, v[72:73]
	s_waitcnt lgkmcnt(0)
	; wave barrier
	s_and_saveexec_b64 s[4:5], s[2:3]
	s_cbranch_execz .LBB33_116
; %bb.107:
	s_andn2_b64 vcc, exec, s[6:7]
	s_cbranch_vccnz .LBB33_109
; %bb.108:
	scratch_load_dwordx2 v[72:73], v17, off
	ds_read_b64 v[74:75], v1
	s_waitcnt vmcnt(0) lgkmcnt(0)
	v_mul_f64 v[72:73], v[72:73], v[74:75]
	s_cbranch_execz .LBB33_110
	s_branch .LBB33_111
.LBB33_109:
                                        ; implicit-def: $vgpr72_vgpr73
.LBB33_110:
	ds_read_b64 v[72:73], v1
.LBB33_111:
	s_and_saveexec_b64 s[8:9], s[0:1]
	s_cbranch_execz .LBB33_115
; %bb.112:
	v_subrev_u32_e32 v74, 22, v0
	s_movk_i32 s21, 0x1c0
	s_mov_b64 s[0:1], 0
.LBB33_113:                             ; =>This Inner Loop Header: Depth=1
	scratch_load_dwordx2 v[76:77], off, s20
	v_mov_b32_e32 v75, s21
	ds_read_b64 v[78:79], v75
	v_add_u32_e32 v74, -1, v74
	s_add_i32 s21, s21, 8
	s_add_i32 s20, s20, 8
	v_cmp_eq_u32_e32 vcc, 0, v74
	s_or_b64 s[0:1], vcc, s[0:1]
	s_waitcnt vmcnt(0) lgkmcnt(0)
	v_fmac_f64_e32 v[72:73], v[76:77], v[78:79]
	s_andn2_b64 exec, exec, s[0:1]
	s_cbranch_execnz .LBB33_113
; %bb.114:
	s_or_b64 exec, exec, s[0:1]
.LBB33_115:
	s_or_b64 exec, exec, s[8:9]
	v_mov_b32_e32 v74, 0
	ds_read_b64 v[74:75], v74 offset:168
	s_waitcnt lgkmcnt(0)
	v_mul_f64 v[72:73], v[72:73], v[74:75]
	scratch_store_dwordx2 off, v[72:73], off offset:168
.LBB33_116:
	s_or_b64 exec, exec, s[4:5]
	scratch_load_dwordx2 v[72:73], off, off offset:160
	v_cmp_lt_u32_e64 s[0:1], 20, v0
	s_waitcnt vmcnt(0)
	ds_write_b64 v1, v[72:73]
	s_waitcnt lgkmcnt(0)
	; wave barrier
	s_and_saveexec_b64 s[4:5], s[0:1]
	s_cbranch_execz .LBB33_126
; %bb.117:
	s_andn2_b64 vcc, exec, s[6:7]
	s_cbranch_vccnz .LBB33_119
; %bb.118:
	scratch_load_dwordx2 v[72:73], v17, off
	ds_read_b64 v[74:75], v1
	s_waitcnt vmcnt(0) lgkmcnt(0)
	v_mul_f64 v[72:73], v[72:73], v[74:75]
	s_cbranch_execz .LBB33_120
	s_branch .LBB33_121
.LBB33_119:
                                        ; implicit-def: $vgpr72_vgpr73
.LBB33_120:
	ds_read_b64 v[72:73], v1
.LBB33_121:
	s_and_saveexec_b64 s[8:9], s[2:3]
	s_cbranch_execz .LBB33_125
; %bb.122:
	s_movk_i32 s20, 0xa8
	v_subrev_u32_e32 v74, 21, v0
	s_movk_i32 s21, 0x1b8
	s_mov_b64 s[2:3], 0
.LBB33_123:                             ; =>This Inner Loop Header: Depth=1
	scratch_load_dwordx2 v[76:77], off, s20
	v_mov_b32_e32 v75, s21
	ds_read_b64 v[78:79], v75
	v_add_u32_e32 v74, -1, v74
	s_add_i32 s21, s21, 8
	s_add_i32 s20, s20, 8
	v_cmp_eq_u32_e32 vcc, 0, v74
	s_or_b64 s[2:3], vcc, s[2:3]
	s_waitcnt vmcnt(0) lgkmcnt(0)
	v_fmac_f64_e32 v[72:73], v[76:77], v[78:79]
	s_andn2_b64 exec, exec, s[2:3]
	s_cbranch_execnz .LBB33_123
; %bb.124:
	s_or_b64 exec, exec, s[2:3]
.LBB33_125:
	s_or_b64 exec, exec, s[8:9]
	v_mov_b32_e32 v74, 0
	ds_read_b64 v[74:75], v74 offset:160
	s_waitcnt lgkmcnt(0)
	v_mul_f64 v[72:73], v[72:73], v[74:75]
	scratch_store_dwordx2 off, v[72:73], off offset:160
.LBB33_126:
	s_or_b64 exec, exec, s[4:5]
	scratch_load_dwordx2 v[72:73], off, off offset:152
	v_cmp_lt_u32_e64 s[2:3], 19, v0
	s_waitcnt vmcnt(0)
	ds_write_b64 v1, v[72:73]
	s_waitcnt lgkmcnt(0)
	; wave barrier
	s_and_saveexec_b64 s[4:5], s[2:3]
	s_cbranch_execz .LBB33_136
; %bb.127:
	s_andn2_b64 vcc, exec, s[6:7]
	s_cbranch_vccnz .LBB33_129
; %bb.128:
	scratch_load_dwordx2 v[72:73], v17, off
	ds_read_b64 v[74:75], v1
	s_waitcnt vmcnt(0) lgkmcnt(0)
	v_mul_f64 v[72:73], v[72:73], v[74:75]
	s_cbranch_execz .LBB33_130
	s_branch .LBB33_131
.LBB33_129:
                                        ; implicit-def: $vgpr72_vgpr73
.LBB33_130:
	ds_read_b64 v[72:73], v1
.LBB33_131:
	s_and_saveexec_b64 s[8:9], s[0:1]
	s_cbranch_execz .LBB33_135
; %bb.132:
	v_subrev_u32_e32 v74, 20, v0
	s_movk_i32 s20, 0x1b0
	s_mov_b64 s[0:1], 0
.LBB33_133:                             ; =>This Inner Loop Header: Depth=1
	scratch_load_dwordx2 v[76:77], off, s19
	v_mov_b32_e32 v75, s20
	ds_read_b64 v[78:79], v75
	v_add_u32_e32 v74, -1, v74
	s_add_i32 s20, s20, 8
	s_add_i32 s19, s19, 8
	v_cmp_eq_u32_e32 vcc, 0, v74
	s_or_b64 s[0:1], vcc, s[0:1]
	s_waitcnt vmcnt(0) lgkmcnt(0)
	v_fmac_f64_e32 v[72:73], v[76:77], v[78:79]
	s_andn2_b64 exec, exec, s[0:1]
	s_cbranch_execnz .LBB33_133
; %bb.134:
	s_or_b64 exec, exec, s[0:1]
.LBB33_135:
	s_or_b64 exec, exec, s[8:9]
	v_mov_b32_e32 v74, 0
	ds_read_b64 v[74:75], v74 offset:152
	s_waitcnt lgkmcnt(0)
	v_mul_f64 v[72:73], v[72:73], v[74:75]
	scratch_store_dwordx2 off, v[72:73], off offset:152
.LBB33_136:
	s_or_b64 exec, exec, s[4:5]
	scratch_load_dwordx2 v[72:73], off, off offset:144
	v_cmp_lt_u32_e64 s[0:1], 18, v0
	s_waitcnt vmcnt(0)
	ds_write_b64 v1, v[72:73]
	s_waitcnt lgkmcnt(0)
	; wave barrier
	s_and_saveexec_b64 s[4:5], s[0:1]
	s_cbranch_execz .LBB33_146
; %bb.137:
	s_andn2_b64 vcc, exec, s[6:7]
	s_cbranch_vccnz .LBB33_139
; %bb.138:
	scratch_load_dwordx2 v[72:73], v17, off
	ds_read_b64 v[74:75], v1
	s_waitcnt vmcnt(0) lgkmcnt(0)
	v_mul_f64 v[72:73], v[72:73], v[74:75]
	s_cbranch_execz .LBB33_140
	s_branch .LBB33_141
.LBB33_139:
                                        ; implicit-def: $vgpr72_vgpr73
.LBB33_140:
	ds_read_b64 v[72:73], v1
.LBB33_141:
	s_and_saveexec_b64 s[8:9], s[2:3]
	s_cbranch_execz .LBB33_145
; %bb.142:
	s_movk_i32 s19, 0x98
	v_subrev_u32_e32 v74, 19, v0
	s_movk_i32 s20, 0x1a8
	s_mov_b64 s[2:3], 0
.LBB33_143:                             ; =>This Inner Loop Header: Depth=1
	scratch_load_dwordx2 v[76:77], off, s19
	v_mov_b32_e32 v75, s20
	ds_read_b64 v[78:79], v75
	v_add_u32_e32 v74, -1, v74
	s_add_i32 s20, s20, 8
	s_add_i32 s19, s19, 8
	v_cmp_eq_u32_e32 vcc, 0, v74
	s_or_b64 s[2:3], vcc, s[2:3]
	s_waitcnt vmcnt(0) lgkmcnt(0)
	v_fmac_f64_e32 v[72:73], v[76:77], v[78:79]
	s_andn2_b64 exec, exec, s[2:3]
	s_cbranch_execnz .LBB33_143
; %bb.144:
	s_or_b64 exec, exec, s[2:3]
.LBB33_145:
	s_or_b64 exec, exec, s[8:9]
	v_mov_b32_e32 v74, 0
	ds_read_b64 v[74:75], v74 offset:144
	s_waitcnt lgkmcnt(0)
	v_mul_f64 v[72:73], v[72:73], v[74:75]
	scratch_store_dwordx2 off, v[72:73], off offset:144
.LBB33_146:
	s_or_b64 exec, exec, s[4:5]
	scratch_load_dwordx2 v[72:73], off, off offset:136
	v_cmp_lt_u32_e64 s[2:3], 17, v0
	s_waitcnt vmcnt(0)
	ds_write_b64 v1, v[72:73]
	s_waitcnt lgkmcnt(0)
	; wave barrier
	s_and_saveexec_b64 s[4:5], s[2:3]
	s_cbranch_execz .LBB33_156
; %bb.147:
	s_andn2_b64 vcc, exec, s[6:7]
	s_cbranch_vccnz .LBB33_149
; %bb.148:
	scratch_load_dwordx2 v[72:73], v17, off
	ds_read_b64 v[74:75], v1
	s_waitcnt vmcnt(0) lgkmcnt(0)
	v_mul_f64 v[72:73], v[72:73], v[74:75]
	s_cbranch_execz .LBB33_150
	s_branch .LBB33_151
.LBB33_149:
                                        ; implicit-def: $vgpr72_vgpr73
.LBB33_150:
	ds_read_b64 v[72:73], v1
.LBB33_151:
	s_and_saveexec_b64 s[8:9], s[0:1]
	s_cbranch_execz .LBB33_155
; %bb.152:
	v_subrev_u32_e32 v74, 18, v0
	s_movk_i32 s19, 0x1a0
	s_mov_b64 s[0:1], 0
.LBB33_153:                             ; =>This Inner Loop Header: Depth=1
	scratch_load_dwordx2 v[76:77], off, s18
	v_mov_b32_e32 v75, s19
	ds_read_b64 v[78:79], v75
	v_add_u32_e32 v74, -1, v74
	s_add_i32 s19, s19, 8
	s_add_i32 s18, s18, 8
	v_cmp_eq_u32_e32 vcc, 0, v74
	s_or_b64 s[0:1], vcc, s[0:1]
	s_waitcnt vmcnt(0) lgkmcnt(0)
	v_fmac_f64_e32 v[72:73], v[76:77], v[78:79]
	s_andn2_b64 exec, exec, s[0:1]
	s_cbranch_execnz .LBB33_153
; %bb.154:
	s_or_b64 exec, exec, s[0:1]
.LBB33_155:
	s_or_b64 exec, exec, s[8:9]
	v_mov_b32_e32 v74, 0
	ds_read_b64 v[74:75], v74 offset:136
	s_waitcnt lgkmcnt(0)
	v_mul_f64 v[72:73], v[72:73], v[74:75]
	scratch_store_dwordx2 off, v[72:73], off offset:136
.LBB33_156:
	s_or_b64 exec, exec, s[4:5]
	scratch_load_dwordx2 v[72:73], off, off offset:128
	v_cmp_lt_u32_e64 s[0:1], 16, v0
	s_waitcnt vmcnt(0)
	ds_write_b64 v1, v[72:73]
	s_waitcnt lgkmcnt(0)
	; wave barrier
	s_and_saveexec_b64 s[4:5], s[0:1]
	s_cbranch_execz .LBB33_166
; %bb.157:
	s_andn2_b64 vcc, exec, s[6:7]
	s_cbranch_vccnz .LBB33_159
; %bb.158:
	scratch_load_dwordx2 v[72:73], v17, off
	ds_read_b64 v[74:75], v1
	s_waitcnt vmcnt(0) lgkmcnt(0)
	v_mul_f64 v[72:73], v[72:73], v[74:75]
	s_cbranch_execz .LBB33_160
	s_branch .LBB33_161
.LBB33_159:
                                        ; implicit-def: $vgpr72_vgpr73
.LBB33_160:
	ds_read_b64 v[72:73], v1
.LBB33_161:
	s_and_saveexec_b64 s[8:9], s[2:3]
	s_cbranch_execz .LBB33_165
; %bb.162:
	s_movk_i32 s18, 0x88
	v_subrev_u32_e32 v74, 17, v0
	s_movk_i32 s19, 0x198
	s_mov_b64 s[2:3], 0
.LBB33_163:                             ; =>This Inner Loop Header: Depth=1
	scratch_load_dwordx2 v[76:77], off, s18
	v_mov_b32_e32 v75, s19
	ds_read_b64 v[78:79], v75
	v_add_u32_e32 v74, -1, v74
	s_add_i32 s19, s19, 8
	s_add_i32 s18, s18, 8
	v_cmp_eq_u32_e32 vcc, 0, v74
	s_or_b64 s[2:3], vcc, s[2:3]
	s_waitcnt vmcnt(0) lgkmcnt(0)
	v_fmac_f64_e32 v[72:73], v[76:77], v[78:79]
	s_andn2_b64 exec, exec, s[2:3]
	s_cbranch_execnz .LBB33_163
; %bb.164:
	s_or_b64 exec, exec, s[2:3]
.LBB33_165:
	s_or_b64 exec, exec, s[8:9]
	v_mov_b32_e32 v74, 0
	ds_read_b64 v[74:75], v74 offset:128
	s_waitcnt lgkmcnt(0)
	v_mul_f64 v[72:73], v[72:73], v[74:75]
	scratch_store_dwordx2 off, v[72:73], off offset:128
.LBB33_166:
	s_or_b64 exec, exec, s[4:5]
	scratch_load_dwordx2 v[72:73], off, off offset:120
	v_cmp_lt_u32_e64 s[2:3], 15, v0
	s_waitcnt vmcnt(0)
	ds_write_b64 v1, v[72:73]
	s_waitcnt lgkmcnt(0)
	; wave barrier
	s_and_saveexec_b64 s[4:5], s[2:3]
	s_cbranch_execz .LBB33_176
; %bb.167:
	s_andn2_b64 vcc, exec, s[6:7]
	s_cbranch_vccnz .LBB33_169
; %bb.168:
	scratch_load_dwordx2 v[72:73], v17, off
	ds_read_b64 v[74:75], v1
	s_waitcnt vmcnt(0) lgkmcnt(0)
	v_mul_f64 v[72:73], v[72:73], v[74:75]
	s_cbranch_execz .LBB33_170
	s_branch .LBB33_171
.LBB33_169:
                                        ; implicit-def: $vgpr72_vgpr73
.LBB33_170:
	ds_read_b64 v[72:73], v1
.LBB33_171:
	s_and_saveexec_b64 s[8:9], s[0:1]
	s_cbranch_execz .LBB33_175
; %bb.172:
	v_add_u32_e32 v74, -16, v0
	s_movk_i32 s18, 0x190
	s_mov_b64 s[0:1], 0
.LBB33_173:                             ; =>This Inner Loop Header: Depth=1
	scratch_load_dwordx2 v[76:77], off, s17
	v_mov_b32_e32 v75, s18
	ds_read_b64 v[78:79], v75
	v_add_u32_e32 v74, -1, v74
	s_add_i32 s18, s18, 8
	s_add_i32 s17, s17, 8
	v_cmp_eq_u32_e32 vcc, 0, v74
	s_or_b64 s[0:1], vcc, s[0:1]
	s_waitcnt vmcnt(0) lgkmcnt(0)
	v_fmac_f64_e32 v[72:73], v[76:77], v[78:79]
	s_andn2_b64 exec, exec, s[0:1]
	s_cbranch_execnz .LBB33_173
; %bb.174:
	s_or_b64 exec, exec, s[0:1]
.LBB33_175:
	s_or_b64 exec, exec, s[8:9]
	v_mov_b32_e32 v74, 0
	ds_read_b64 v[74:75], v74 offset:120
	s_waitcnt lgkmcnt(0)
	v_mul_f64 v[72:73], v[72:73], v[74:75]
	scratch_store_dwordx2 off, v[72:73], off offset:120
.LBB33_176:
	s_or_b64 exec, exec, s[4:5]
	scratch_load_dwordx2 v[72:73], off, off offset:112
	v_cmp_lt_u32_e64 s[0:1], 14, v0
	s_waitcnt vmcnt(0)
	ds_write_b64 v1, v[72:73]
	s_waitcnt lgkmcnt(0)
	; wave barrier
	s_and_saveexec_b64 s[4:5], s[0:1]
	s_cbranch_execz .LBB33_186
; %bb.177:
	s_andn2_b64 vcc, exec, s[6:7]
	s_cbranch_vccnz .LBB33_179
; %bb.178:
	scratch_load_dwordx2 v[72:73], v17, off
	ds_read_b64 v[74:75], v1
	s_waitcnt vmcnt(0) lgkmcnt(0)
	v_mul_f64 v[72:73], v[72:73], v[74:75]
	s_cbranch_execz .LBB33_180
	s_branch .LBB33_181
.LBB33_179:
                                        ; implicit-def: $vgpr72_vgpr73
.LBB33_180:
	ds_read_b64 v[72:73], v1
.LBB33_181:
	s_and_saveexec_b64 s[8:9], s[2:3]
	s_cbranch_execz .LBB33_185
; %bb.182:
	s_movk_i32 s17, 0x78
	v_add_u32_e32 v74, -15, v0
	s_movk_i32 s18, 0x188
	s_mov_b64 s[2:3], 0
.LBB33_183:                             ; =>This Inner Loop Header: Depth=1
	scratch_load_dwordx2 v[76:77], off, s17
	v_mov_b32_e32 v75, s18
	ds_read_b64 v[78:79], v75
	v_add_u32_e32 v74, -1, v74
	s_add_i32 s18, s18, 8
	s_add_i32 s17, s17, 8
	v_cmp_eq_u32_e32 vcc, 0, v74
	s_or_b64 s[2:3], vcc, s[2:3]
	s_waitcnt vmcnt(0) lgkmcnt(0)
	v_fmac_f64_e32 v[72:73], v[76:77], v[78:79]
	s_andn2_b64 exec, exec, s[2:3]
	s_cbranch_execnz .LBB33_183
; %bb.184:
	s_or_b64 exec, exec, s[2:3]
.LBB33_185:
	s_or_b64 exec, exec, s[8:9]
	v_mov_b32_e32 v74, 0
	ds_read_b64 v[74:75], v74 offset:112
	s_waitcnt lgkmcnt(0)
	v_mul_f64 v[72:73], v[72:73], v[74:75]
	scratch_store_dwordx2 off, v[72:73], off offset:112
.LBB33_186:
	s_or_b64 exec, exec, s[4:5]
	scratch_load_dwordx2 v[72:73], off, off offset:104
	v_cmp_lt_u32_e64 s[2:3], 13, v0
	s_waitcnt vmcnt(0)
	ds_write_b64 v1, v[72:73]
	s_waitcnt lgkmcnt(0)
	; wave barrier
	s_and_saveexec_b64 s[4:5], s[2:3]
	s_cbranch_execz .LBB33_196
; %bb.187:
	s_andn2_b64 vcc, exec, s[6:7]
	s_cbranch_vccnz .LBB33_189
; %bb.188:
	scratch_load_dwordx2 v[72:73], v17, off
	ds_read_b64 v[74:75], v1
	s_waitcnt vmcnt(0) lgkmcnt(0)
	v_mul_f64 v[72:73], v[72:73], v[74:75]
	s_cbranch_execz .LBB33_190
	s_branch .LBB33_191
.LBB33_189:
                                        ; implicit-def: $vgpr72_vgpr73
.LBB33_190:
	ds_read_b64 v[72:73], v1
.LBB33_191:
	s_and_saveexec_b64 s[8:9], s[0:1]
	s_cbranch_execz .LBB33_195
; %bb.192:
	v_add_u32_e32 v74, -14, v0
	s_movk_i32 s17, 0x180
	s_mov_b64 s[0:1], 0
.LBB33_193:                             ; =>This Inner Loop Header: Depth=1
	scratch_load_dwordx2 v[76:77], off, s16
	v_mov_b32_e32 v75, s17
	ds_read_b64 v[78:79], v75
	v_add_u32_e32 v74, -1, v74
	s_add_i32 s17, s17, 8
	s_add_i32 s16, s16, 8
	v_cmp_eq_u32_e32 vcc, 0, v74
	s_or_b64 s[0:1], vcc, s[0:1]
	s_waitcnt vmcnt(0) lgkmcnt(0)
	v_fmac_f64_e32 v[72:73], v[76:77], v[78:79]
	s_andn2_b64 exec, exec, s[0:1]
	s_cbranch_execnz .LBB33_193
; %bb.194:
	s_or_b64 exec, exec, s[0:1]
.LBB33_195:
	s_or_b64 exec, exec, s[8:9]
	v_mov_b32_e32 v74, 0
	ds_read_b64 v[74:75], v74 offset:104
	s_waitcnt lgkmcnt(0)
	v_mul_f64 v[72:73], v[72:73], v[74:75]
	scratch_store_dwordx2 off, v[72:73], off offset:104
.LBB33_196:
	s_or_b64 exec, exec, s[4:5]
	scratch_load_dwordx2 v[72:73], off, off offset:96
	v_cmp_lt_u32_e64 s[0:1], 12, v0
	s_waitcnt vmcnt(0)
	ds_write_b64 v1, v[72:73]
	s_waitcnt lgkmcnt(0)
	; wave barrier
	s_and_saveexec_b64 s[4:5], s[0:1]
	s_cbranch_execz .LBB33_206
; %bb.197:
	s_andn2_b64 vcc, exec, s[6:7]
	s_cbranch_vccnz .LBB33_199
; %bb.198:
	scratch_load_dwordx2 v[72:73], v17, off
	ds_read_b64 v[74:75], v1
	s_waitcnt vmcnt(0) lgkmcnt(0)
	v_mul_f64 v[72:73], v[72:73], v[74:75]
	s_cbranch_execz .LBB33_200
	s_branch .LBB33_201
.LBB33_199:
                                        ; implicit-def: $vgpr72_vgpr73
.LBB33_200:
	ds_read_b64 v[72:73], v1
.LBB33_201:
	s_and_saveexec_b64 s[8:9], s[2:3]
	s_cbranch_execz .LBB33_205
; %bb.202:
	s_movk_i32 s16, 0x68
	v_add_u32_e32 v74, -13, v0
	s_movk_i32 s17, 0x178
	s_mov_b64 s[2:3], 0
.LBB33_203:                             ; =>This Inner Loop Header: Depth=1
	scratch_load_dwordx2 v[76:77], off, s16
	v_mov_b32_e32 v75, s17
	ds_read_b64 v[78:79], v75
	v_add_u32_e32 v74, -1, v74
	s_add_i32 s17, s17, 8
	s_add_i32 s16, s16, 8
	v_cmp_eq_u32_e32 vcc, 0, v74
	s_or_b64 s[2:3], vcc, s[2:3]
	s_waitcnt vmcnt(0) lgkmcnt(0)
	v_fmac_f64_e32 v[72:73], v[76:77], v[78:79]
	s_andn2_b64 exec, exec, s[2:3]
	s_cbranch_execnz .LBB33_203
; %bb.204:
	s_or_b64 exec, exec, s[2:3]
.LBB33_205:
	s_or_b64 exec, exec, s[8:9]
	v_mov_b32_e32 v74, 0
	ds_read_b64 v[74:75], v74 offset:96
	s_waitcnt lgkmcnt(0)
	v_mul_f64 v[72:73], v[72:73], v[74:75]
	scratch_store_dwordx2 off, v[72:73], off offset:96
.LBB33_206:
	s_or_b64 exec, exec, s[4:5]
	scratch_load_dwordx2 v[72:73], off, off offset:88
	v_cmp_lt_u32_e64 s[2:3], 11, v0
	s_waitcnt vmcnt(0)
	ds_write_b64 v1, v[72:73]
	s_waitcnt lgkmcnt(0)
	; wave barrier
	s_and_saveexec_b64 s[4:5], s[2:3]
	s_cbranch_execz .LBB33_216
; %bb.207:
	s_andn2_b64 vcc, exec, s[6:7]
	s_cbranch_vccnz .LBB33_209
; %bb.208:
	scratch_load_dwordx2 v[72:73], v17, off
	ds_read_b64 v[74:75], v1
	s_waitcnt vmcnt(0) lgkmcnt(0)
	v_mul_f64 v[72:73], v[72:73], v[74:75]
	s_cbranch_execz .LBB33_210
	s_branch .LBB33_211
.LBB33_209:
                                        ; implicit-def: $vgpr72_vgpr73
.LBB33_210:
	ds_read_b64 v[72:73], v1
.LBB33_211:
	s_and_saveexec_b64 s[8:9], s[0:1]
	s_cbranch_execz .LBB33_215
; %bb.212:
	v_add_u32_e32 v74, -12, v0
	s_movk_i32 s16, 0x170
	s_mov_b64 s[0:1], 0
.LBB33_213:                             ; =>This Inner Loop Header: Depth=1
	scratch_load_dwordx2 v[76:77], off, s15
	v_mov_b32_e32 v75, s16
	ds_read_b64 v[78:79], v75
	v_add_u32_e32 v74, -1, v74
	s_add_i32 s16, s16, 8
	s_add_i32 s15, s15, 8
	v_cmp_eq_u32_e32 vcc, 0, v74
	s_or_b64 s[0:1], vcc, s[0:1]
	s_waitcnt vmcnt(0) lgkmcnt(0)
	v_fmac_f64_e32 v[72:73], v[76:77], v[78:79]
	s_andn2_b64 exec, exec, s[0:1]
	s_cbranch_execnz .LBB33_213
; %bb.214:
	s_or_b64 exec, exec, s[0:1]
.LBB33_215:
	s_or_b64 exec, exec, s[8:9]
	v_mov_b32_e32 v74, 0
	ds_read_b64 v[74:75], v74 offset:88
	s_waitcnt lgkmcnt(0)
	v_mul_f64 v[72:73], v[72:73], v[74:75]
	scratch_store_dwordx2 off, v[72:73], off offset:88
.LBB33_216:
	s_or_b64 exec, exec, s[4:5]
	scratch_load_dwordx2 v[72:73], off, off offset:80
	v_cmp_lt_u32_e64 s[0:1], 10, v0
	s_waitcnt vmcnt(0)
	ds_write_b64 v1, v[72:73]
	s_waitcnt lgkmcnt(0)
	; wave barrier
	s_and_saveexec_b64 s[4:5], s[0:1]
	s_cbranch_execz .LBB33_226
; %bb.217:
	s_andn2_b64 vcc, exec, s[6:7]
	s_cbranch_vccnz .LBB33_219
; %bb.218:
	scratch_load_dwordx2 v[72:73], v17, off
	ds_read_b64 v[74:75], v1
	s_waitcnt vmcnt(0) lgkmcnt(0)
	v_mul_f64 v[72:73], v[72:73], v[74:75]
	s_cbranch_execz .LBB33_220
	s_branch .LBB33_221
.LBB33_219:
                                        ; implicit-def: $vgpr72_vgpr73
.LBB33_220:
	ds_read_b64 v[72:73], v1
.LBB33_221:
	s_and_saveexec_b64 s[8:9], s[2:3]
	s_cbranch_execz .LBB33_225
; %bb.222:
	s_movk_i32 s15, 0x58
	v_add_u32_e32 v74, -11, v0
	s_movk_i32 s16, 0x168
	s_mov_b64 s[2:3], 0
.LBB33_223:                             ; =>This Inner Loop Header: Depth=1
	scratch_load_dwordx2 v[76:77], off, s15
	v_mov_b32_e32 v75, s16
	ds_read_b64 v[78:79], v75
	v_add_u32_e32 v74, -1, v74
	s_add_i32 s16, s16, 8
	s_add_i32 s15, s15, 8
	v_cmp_eq_u32_e32 vcc, 0, v74
	s_or_b64 s[2:3], vcc, s[2:3]
	s_waitcnt vmcnt(0) lgkmcnt(0)
	v_fmac_f64_e32 v[72:73], v[76:77], v[78:79]
	s_andn2_b64 exec, exec, s[2:3]
	s_cbranch_execnz .LBB33_223
; %bb.224:
	s_or_b64 exec, exec, s[2:3]
.LBB33_225:
	s_or_b64 exec, exec, s[8:9]
	v_mov_b32_e32 v74, 0
	ds_read_b64 v[74:75], v74 offset:80
	s_waitcnt lgkmcnt(0)
	v_mul_f64 v[72:73], v[72:73], v[74:75]
	scratch_store_dwordx2 off, v[72:73], off offset:80
.LBB33_226:
	s_or_b64 exec, exec, s[4:5]
	scratch_load_dwordx2 v[72:73], off, off offset:72
	v_cmp_lt_u32_e64 s[2:3], 9, v0
	s_waitcnt vmcnt(0)
	ds_write_b64 v1, v[72:73]
	s_waitcnt lgkmcnt(0)
	; wave barrier
	s_and_saveexec_b64 s[4:5], s[2:3]
	s_cbranch_execz .LBB33_236
; %bb.227:
	s_andn2_b64 vcc, exec, s[6:7]
	s_cbranch_vccnz .LBB33_229
; %bb.228:
	scratch_load_dwordx2 v[72:73], v17, off
	ds_read_b64 v[74:75], v1
	s_waitcnt vmcnt(0) lgkmcnt(0)
	v_mul_f64 v[72:73], v[72:73], v[74:75]
	s_cbranch_execz .LBB33_230
	s_branch .LBB33_231
.LBB33_229:
                                        ; implicit-def: $vgpr72_vgpr73
.LBB33_230:
	ds_read_b64 v[72:73], v1
.LBB33_231:
	s_and_saveexec_b64 s[8:9], s[0:1]
	s_cbranch_execz .LBB33_235
; %bb.232:
	v_add_u32_e32 v74, -10, v0
	s_movk_i32 s15, 0x160
	s_mov_b64 s[0:1], 0
.LBB33_233:                             ; =>This Inner Loop Header: Depth=1
	scratch_load_dwordx2 v[76:77], off, s14
	v_mov_b32_e32 v75, s15
	ds_read_b64 v[78:79], v75
	v_add_u32_e32 v74, -1, v74
	s_add_i32 s15, s15, 8
	s_add_i32 s14, s14, 8
	v_cmp_eq_u32_e32 vcc, 0, v74
	s_or_b64 s[0:1], vcc, s[0:1]
	s_waitcnt vmcnt(0) lgkmcnt(0)
	v_fmac_f64_e32 v[72:73], v[76:77], v[78:79]
	s_andn2_b64 exec, exec, s[0:1]
	s_cbranch_execnz .LBB33_233
; %bb.234:
	s_or_b64 exec, exec, s[0:1]
.LBB33_235:
	s_or_b64 exec, exec, s[8:9]
	v_mov_b32_e32 v74, 0
	ds_read_b64 v[74:75], v74 offset:72
	s_waitcnt lgkmcnt(0)
	v_mul_f64 v[72:73], v[72:73], v[74:75]
	scratch_store_dwordx2 off, v[72:73], off offset:72
.LBB33_236:
	s_or_b64 exec, exec, s[4:5]
	scratch_load_dwordx2 v[72:73], off, off offset:64
	v_cmp_lt_u32_e64 s[0:1], 8, v0
	s_waitcnt vmcnt(0)
	ds_write_b64 v1, v[72:73]
	s_waitcnt lgkmcnt(0)
	; wave barrier
	s_and_saveexec_b64 s[4:5], s[0:1]
	s_cbranch_execz .LBB33_246
; %bb.237:
	s_andn2_b64 vcc, exec, s[6:7]
	s_cbranch_vccnz .LBB33_239
; %bb.238:
	scratch_load_dwordx2 v[72:73], v17, off
	ds_read_b64 v[74:75], v1
	s_waitcnt vmcnt(0) lgkmcnt(0)
	v_mul_f64 v[72:73], v[72:73], v[74:75]
	s_cbranch_execz .LBB33_240
	s_branch .LBB33_241
.LBB33_239:
                                        ; implicit-def: $vgpr72_vgpr73
.LBB33_240:
	ds_read_b64 v[72:73], v1
.LBB33_241:
	s_and_saveexec_b64 s[8:9], s[2:3]
	s_cbranch_execz .LBB33_245
; %bb.242:
	s_movk_i32 s14, 0x48
	v_add_u32_e32 v74, -9, v0
	s_movk_i32 s15, 0x158
	s_mov_b64 s[2:3], 0
.LBB33_243:                             ; =>This Inner Loop Header: Depth=1
	scratch_load_dwordx2 v[76:77], off, s14
	v_mov_b32_e32 v75, s15
	ds_read_b64 v[78:79], v75
	v_add_u32_e32 v74, -1, v74
	s_add_i32 s15, s15, 8
	s_add_i32 s14, s14, 8
	v_cmp_eq_u32_e32 vcc, 0, v74
	s_or_b64 s[2:3], vcc, s[2:3]
	s_waitcnt vmcnt(0) lgkmcnt(0)
	v_fmac_f64_e32 v[72:73], v[76:77], v[78:79]
	s_andn2_b64 exec, exec, s[2:3]
	s_cbranch_execnz .LBB33_243
; %bb.244:
	s_or_b64 exec, exec, s[2:3]
.LBB33_245:
	s_or_b64 exec, exec, s[8:9]
	v_mov_b32_e32 v74, 0
	ds_read_b64 v[74:75], v74 offset:64
	s_waitcnt lgkmcnt(0)
	v_mul_f64 v[72:73], v[72:73], v[74:75]
	scratch_store_dwordx2 off, v[72:73], off offset:64
.LBB33_246:
	s_or_b64 exec, exec, s[4:5]
	scratch_load_dwordx2 v[72:73], off, off offset:56
	v_cmp_lt_u32_e64 s[2:3], 7, v0
	s_waitcnt vmcnt(0)
	ds_write_b64 v1, v[72:73]
	s_waitcnt lgkmcnt(0)
	; wave barrier
	s_and_saveexec_b64 s[4:5], s[2:3]
	s_cbranch_execz .LBB33_256
; %bb.247:
	s_andn2_b64 vcc, exec, s[6:7]
	s_cbranch_vccnz .LBB33_249
; %bb.248:
	scratch_load_dwordx2 v[72:73], v17, off
	ds_read_b64 v[74:75], v1
	s_waitcnt vmcnt(0) lgkmcnt(0)
	v_mul_f64 v[72:73], v[72:73], v[74:75]
	s_cbranch_execz .LBB33_250
	s_branch .LBB33_251
.LBB33_249:
                                        ; implicit-def: $vgpr72_vgpr73
.LBB33_250:
	ds_read_b64 v[72:73], v1
.LBB33_251:
	s_and_saveexec_b64 s[8:9], s[0:1]
	s_cbranch_execz .LBB33_255
; %bb.252:
	v_add_u32_e32 v74, -8, v0
	s_movk_i32 s14, 0x150
	s_mov_b64 s[0:1], 0
.LBB33_253:                             ; =>This Inner Loop Header: Depth=1
	scratch_load_dwordx2 v[76:77], off, s13
	v_mov_b32_e32 v75, s14
	ds_read_b64 v[78:79], v75
	v_add_u32_e32 v74, -1, v74
	s_add_i32 s14, s14, 8
	s_add_i32 s13, s13, 8
	v_cmp_eq_u32_e32 vcc, 0, v74
	s_or_b64 s[0:1], vcc, s[0:1]
	s_waitcnt vmcnt(0) lgkmcnt(0)
	v_fmac_f64_e32 v[72:73], v[76:77], v[78:79]
	s_andn2_b64 exec, exec, s[0:1]
	s_cbranch_execnz .LBB33_253
; %bb.254:
	s_or_b64 exec, exec, s[0:1]
.LBB33_255:
	s_or_b64 exec, exec, s[8:9]
	v_mov_b32_e32 v74, 0
	ds_read_b64 v[74:75], v74 offset:56
	s_waitcnt lgkmcnt(0)
	v_mul_f64 v[72:73], v[72:73], v[74:75]
	scratch_store_dwordx2 off, v[72:73], off offset:56
.LBB33_256:
	s_or_b64 exec, exec, s[4:5]
	scratch_load_dwordx2 v[72:73], off, off offset:48
	v_cmp_lt_u32_e64 s[0:1], 6, v0
	s_waitcnt vmcnt(0)
	ds_write_b64 v1, v[72:73]
	s_waitcnt lgkmcnt(0)
	; wave barrier
	s_and_saveexec_b64 s[4:5], s[0:1]
	s_cbranch_execz .LBB33_266
; %bb.257:
	s_andn2_b64 vcc, exec, s[6:7]
	s_cbranch_vccnz .LBB33_259
; %bb.258:
	scratch_load_dwordx2 v[72:73], v17, off
	ds_read_b64 v[74:75], v1
	s_waitcnt vmcnt(0) lgkmcnt(0)
	v_mul_f64 v[72:73], v[72:73], v[74:75]
	s_cbranch_execz .LBB33_260
	s_branch .LBB33_261
.LBB33_259:
                                        ; implicit-def: $vgpr72_vgpr73
.LBB33_260:
	ds_read_b64 v[72:73], v1
.LBB33_261:
	s_and_saveexec_b64 s[8:9], s[2:3]
	s_cbranch_execz .LBB33_265
; %bb.262:
	s_mov_b32 s13, 56
	v_add_u32_e32 v74, -7, v0
	s_movk_i32 s14, 0x148
	s_mov_b64 s[2:3], 0
.LBB33_263:                             ; =>This Inner Loop Header: Depth=1
	scratch_load_dwordx2 v[76:77], off, s13
	v_mov_b32_e32 v75, s14
	ds_read_b64 v[78:79], v75
	v_add_u32_e32 v74, -1, v74
	s_add_i32 s14, s14, 8
	s_add_i32 s13, s13, 8
	v_cmp_eq_u32_e32 vcc, 0, v74
	s_or_b64 s[2:3], vcc, s[2:3]
	s_waitcnt vmcnt(0) lgkmcnt(0)
	v_fmac_f64_e32 v[72:73], v[76:77], v[78:79]
	s_andn2_b64 exec, exec, s[2:3]
	s_cbranch_execnz .LBB33_263
; %bb.264:
	s_or_b64 exec, exec, s[2:3]
.LBB33_265:
	s_or_b64 exec, exec, s[8:9]
	v_mov_b32_e32 v74, 0
	ds_read_b64 v[74:75], v74 offset:48
	s_waitcnt lgkmcnt(0)
	v_mul_f64 v[72:73], v[72:73], v[74:75]
	scratch_store_dwordx2 off, v[72:73], off offset:48
.LBB33_266:
	s_or_b64 exec, exec, s[4:5]
	scratch_load_dwordx2 v[72:73], off, off offset:40
	v_cmp_lt_u32_e64 s[2:3], 5, v0
	s_waitcnt vmcnt(0)
	ds_write_b64 v1, v[72:73]
	s_waitcnt lgkmcnt(0)
	; wave barrier
	s_and_saveexec_b64 s[4:5], s[2:3]
	s_cbranch_execz .LBB33_276
; %bb.267:
	s_andn2_b64 vcc, exec, s[6:7]
	s_cbranch_vccnz .LBB33_269
; %bb.268:
	scratch_load_dwordx2 v[72:73], v17, off
	ds_read_b64 v[74:75], v1
	s_waitcnt vmcnt(0) lgkmcnt(0)
	v_mul_f64 v[72:73], v[72:73], v[74:75]
	s_cbranch_execz .LBB33_270
	s_branch .LBB33_271
.LBB33_269:
                                        ; implicit-def: $vgpr72_vgpr73
.LBB33_270:
	ds_read_b64 v[72:73], v1
.LBB33_271:
	s_and_saveexec_b64 s[8:9], s[0:1]
	s_cbranch_execz .LBB33_275
; %bb.272:
	v_add_u32_e32 v74, -6, v0
	s_movk_i32 s13, 0x140
	s_mov_b64 s[0:1], 0
.LBB33_273:                             ; =>This Inner Loop Header: Depth=1
	scratch_load_dwordx2 v[76:77], off, s12
	v_mov_b32_e32 v75, s13
	ds_read_b64 v[78:79], v75
	v_add_u32_e32 v74, -1, v74
	s_add_i32 s13, s13, 8
	s_add_i32 s12, s12, 8
	v_cmp_eq_u32_e32 vcc, 0, v74
	s_or_b64 s[0:1], vcc, s[0:1]
	s_waitcnt vmcnt(0) lgkmcnt(0)
	v_fmac_f64_e32 v[72:73], v[76:77], v[78:79]
	s_andn2_b64 exec, exec, s[0:1]
	s_cbranch_execnz .LBB33_273
; %bb.274:
	s_or_b64 exec, exec, s[0:1]
.LBB33_275:
	s_or_b64 exec, exec, s[8:9]
	v_mov_b32_e32 v74, 0
	ds_read_b64 v[74:75], v74 offset:40
	s_waitcnt lgkmcnt(0)
	v_mul_f64 v[72:73], v[72:73], v[74:75]
	scratch_store_dwordx2 off, v[72:73], off offset:40
.LBB33_276:
	s_or_b64 exec, exec, s[4:5]
	scratch_load_dwordx2 v[72:73], off, off offset:32
	v_cmp_lt_u32_e64 s[0:1], 4, v0
	s_waitcnt vmcnt(0)
	ds_write_b64 v1, v[72:73]
	s_waitcnt lgkmcnt(0)
	; wave barrier
	s_and_saveexec_b64 s[4:5], s[0:1]
	s_cbranch_execz .LBB33_286
; %bb.277:
	s_andn2_b64 vcc, exec, s[6:7]
	s_cbranch_vccnz .LBB33_279
; %bb.278:
	scratch_load_dwordx2 v[72:73], v17, off
	ds_read_b64 v[74:75], v1
	s_waitcnt vmcnt(0) lgkmcnt(0)
	v_mul_f64 v[72:73], v[72:73], v[74:75]
	s_cbranch_execz .LBB33_280
	s_branch .LBB33_281
.LBB33_279:
                                        ; implicit-def: $vgpr72_vgpr73
.LBB33_280:
	ds_read_b64 v[72:73], v1
.LBB33_281:
	s_and_saveexec_b64 s[8:9], s[2:3]
	s_cbranch_execz .LBB33_285
; %bb.282:
	s_mov_b32 s12, 40
	v_add_u32_e32 v74, -5, v0
	s_movk_i32 s13, 0x138
	s_mov_b64 s[2:3], 0
.LBB33_283:                             ; =>This Inner Loop Header: Depth=1
	scratch_load_dwordx2 v[76:77], off, s12
	v_mov_b32_e32 v75, s13
	ds_read_b64 v[78:79], v75
	v_add_u32_e32 v74, -1, v74
	s_add_i32 s13, s13, 8
	s_add_i32 s12, s12, 8
	v_cmp_eq_u32_e32 vcc, 0, v74
	s_or_b64 s[2:3], vcc, s[2:3]
	s_waitcnt vmcnt(0) lgkmcnt(0)
	v_fmac_f64_e32 v[72:73], v[76:77], v[78:79]
	s_andn2_b64 exec, exec, s[2:3]
	s_cbranch_execnz .LBB33_283
; %bb.284:
	s_or_b64 exec, exec, s[2:3]
.LBB33_285:
	s_or_b64 exec, exec, s[8:9]
	v_mov_b32_e32 v74, 0
	ds_read_b64 v[74:75], v74 offset:32
	s_waitcnt lgkmcnt(0)
	v_mul_f64 v[72:73], v[72:73], v[74:75]
	scratch_store_dwordx2 off, v[72:73], off offset:32
.LBB33_286:
	s_or_b64 exec, exec, s[4:5]
	scratch_load_dwordx2 v[72:73], off, off offset:24
	v_cmp_lt_u32_e64 s[2:3], 3, v0
	s_waitcnt vmcnt(0)
	ds_write_b64 v1, v[72:73]
	s_waitcnt lgkmcnt(0)
	; wave barrier
	s_and_saveexec_b64 s[4:5], s[2:3]
	s_cbranch_execz .LBB33_296
; %bb.287:
	s_andn2_b64 vcc, exec, s[6:7]
	s_cbranch_vccnz .LBB33_289
; %bb.288:
	scratch_load_dwordx2 v[72:73], v17, off
	ds_read_b64 v[74:75], v1
	s_waitcnt vmcnt(0) lgkmcnt(0)
	v_mul_f64 v[72:73], v[72:73], v[74:75]
	s_cbranch_execz .LBB33_290
	s_branch .LBB33_291
.LBB33_289:
                                        ; implicit-def: $vgpr72_vgpr73
.LBB33_290:
	ds_read_b64 v[72:73], v1
.LBB33_291:
	s_and_saveexec_b64 s[8:9], s[0:1]
	s_cbranch_execz .LBB33_295
; %bb.292:
	v_add_u32_e32 v74, -4, v0
	s_movk_i32 s12, 0x130
	s_mov_b64 s[0:1], 0
.LBB33_293:                             ; =>This Inner Loop Header: Depth=1
	scratch_load_dwordx2 v[76:77], off, s11
	v_mov_b32_e32 v75, s12
	ds_read_b64 v[78:79], v75
	v_add_u32_e32 v74, -1, v74
	s_add_i32 s12, s12, 8
	s_add_i32 s11, s11, 8
	v_cmp_eq_u32_e32 vcc, 0, v74
	s_or_b64 s[0:1], vcc, s[0:1]
	s_waitcnt vmcnt(0) lgkmcnt(0)
	v_fmac_f64_e32 v[72:73], v[76:77], v[78:79]
	s_andn2_b64 exec, exec, s[0:1]
	s_cbranch_execnz .LBB33_293
; %bb.294:
	s_or_b64 exec, exec, s[0:1]
.LBB33_295:
	s_or_b64 exec, exec, s[8:9]
	v_mov_b32_e32 v74, 0
	ds_read_b64 v[74:75], v74 offset:24
	s_waitcnt lgkmcnt(0)
	v_mul_f64 v[72:73], v[72:73], v[74:75]
	scratch_store_dwordx2 off, v[72:73], off offset:24
.LBB33_296:
	s_or_b64 exec, exec, s[4:5]
	scratch_load_dwordx2 v[72:73], off, off offset:16
	v_cmp_lt_u32_e64 s[0:1], 2, v0
	s_waitcnt vmcnt(0)
	ds_write_b64 v1, v[72:73]
	s_waitcnt lgkmcnt(0)
	; wave barrier
	s_and_saveexec_b64 s[4:5], s[0:1]
	s_cbranch_execz .LBB33_306
; %bb.297:
	s_andn2_b64 vcc, exec, s[6:7]
	s_cbranch_vccnz .LBB33_299
; %bb.298:
	scratch_load_dwordx2 v[72:73], v17, off
	ds_read_b64 v[74:75], v1
	s_waitcnt vmcnt(0) lgkmcnt(0)
	v_mul_f64 v[72:73], v[72:73], v[74:75]
	s_cbranch_execz .LBB33_300
	s_branch .LBB33_301
.LBB33_299:
                                        ; implicit-def: $vgpr72_vgpr73
.LBB33_300:
	ds_read_b64 v[72:73], v1
.LBB33_301:
	s_and_saveexec_b64 s[8:9], s[2:3]
	s_cbranch_execz .LBB33_305
; %bb.302:
	s_mov_b32 s11, 24
	v_add_u32_e32 v74, -3, v0
	s_movk_i32 s12, 0x128
	s_mov_b64 s[2:3], 0
.LBB33_303:                             ; =>This Inner Loop Header: Depth=1
	scratch_load_dwordx2 v[76:77], off, s11
	v_mov_b32_e32 v75, s12
	ds_read_b64 v[78:79], v75
	v_add_u32_e32 v74, -1, v74
	s_add_i32 s12, s12, 8
	s_add_i32 s11, s11, 8
	v_cmp_eq_u32_e32 vcc, 0, v74
	s_or_b64 s[2:3], vcc, s[2:3]
	s_waitcnt vmcnt(0) lgkmcnt(0)
	v_fmac_f64_e32 v[72:73], v[76:77], v[78:79]
	s_andn2_b64 exec, exec, s[2:3]
	s_cbranch_execnz .LBB33_303
; %bb.304:
	s_or_b64 exec, exec, s[2:3]
.LBB33_305:
	s_or_b64 exec, exec, s[8:9]
	v_mov_b32_e32 v74, 0
	ds_read_b64 v[74:75], v74 offset:16
	s_waitcnt lgkmcnt(0)
	v_mul_f64 v[72:73], v[72:73], v[74:75]
	scratch_store_dwordx2 off, v[72:73], off offset:16
.LBB33_306:
	s_or_b64 exec, exec, s[4:5]
	scratch_load_dwordx2 v[72:73], off, off offset:8
	v_cmp_lt_u32_e64 s[2:3], 1, v0
	s_waitcnt vmcnt(0)
	ds_write_b64 v1, v[72:73]
	s_waitcnt lgkmcnt(0)
	; wave barrier
	s_and_saveexec_b64 s[4:5], s[2:3]
	s_cbranch_execz .LBB33_316
; %bb.307:
	s_andn2_b64 vcc, exec, s[6:7]
	s_cbranch_vccnz .LBB33_309
; %bb.308:
	scratch_load_dwordx2 v[72:73], v17, off
	ds_read_b64 v[74:75], v1
	s_waitcnt vmcnt(0) lgkmcnt(0)
	v_mul_f64 v[72:73], v[72:73], v[74:75]
	s_cbranch_execz .LBB33_310
	s_branch .LBB33_311
.LBB33_309:
                                        ; implicit-def: $vgpr72_vgpr73
.LBB33_310:
	ds_read_b64 v[72:73], v1
.LBB33_311:
	s_and_saveexec_b64 s[8:9], s[0:1]
	s_cbranch_execz .LBB33_315
; %bb.312:
	v_add_u32_e32 v74, -2, v0
	s_movk_i32 s11, 0x120
	s_mov_b64 s[0:1], 0
.LBB33_313:                             ; =>This Inner Loop Header: Depth=1
	scratch_load_dwordx2 v[76:77], off, s10
	v_mov_b32_e32 v75, s11
	ds_read_b64 v[78:79], v75
	v_add_u32_e32 v74, -1, v74
	s_add_i32 s11, s11, 8
	s_add_i32 s10, s10, 8
	v_cmp_eq_u32_e32 vcc, 0, v74
	s_or_b64 s[0:1], vcc, s[0:1]
	s_waitcnt vmcnt(0) lgkmcnt(0)
	v_fmac_f64_e32 v[72:73], v[76:77], v[78:79]
	s_andn2_b64 exec, exec, s[0:1]
	s_cbranch_execnz .LBB33_313
; %bb.314:
	s_or_b64 exec, exec, s[0:1]
.LBB33_315:
	s_or_b64 exec, exec, s[8:9]
	v_mov_b32_e32 v74, 0
	ds_read_b64 v[74:75], v74 offset:8
	s_waitcnt lgkmcnt(0)
	v_mul_f64 v[72:73], v[72:73], v[74:75]
	scratch_store_dwordx2 off, v[72:73], off offset:8
.LBB33_316:
	s_or_b64 exec, exec, s[4:5]
	scratch_load_dwordx2 v[72:73], off, off
	v_cmp_ne_u32_e32 vcc, 0, v0
	s_waitcnt vmcnt(0)
	ds_write_b64 v1, v[72:73]
	s_waitcnt lgkmcnt(0)
	; wave barrier
	s_and_saveexec_b64 s[0:1], vcc
	s_cbranch_execz .LBB33_326
; %bb.317:
	s_andn2_b64 vcc, exec, s[6:7]
	s_cbranch_vccnz .LBB33_319
; %bb.318:
	scratch_load_dwordx2 v[72:73], v17, off
	ds_read_b64 v[74:75], v1
	s_waitcnt vmcnt(0) lgkmcnt(0)
	v_mul_f64 v[72:73], v[72:73], v[74:75]
	s_cbranch_execz .LBB33_320
	s_branch .LBB33_321
.LBB33_319:
                                        ; implicit-def: $vgpr72_vgpr73
.LBB33_320:
	ds_read_b64 v[72:73], v1
.LBB33_321:
	s_and_saveexec_b64 s[4:5], s[2:3]
	s_cbranch_execz .LBB33_325
; %bb.322:
	s_or_b32 s8, 0, 8
	v_add_u32_e32 v74, -1, v0
	s_movk_i32 s9, 0x118
	s_mov_b64 s[2:3], 0
.LBB33_323:                             ; =>This Inner Loop Header: Depth=1
	scratch_load_dwordx2 v[76:77], off, s8
	v_mov_b32_e32 v75, s9
	ds_read_b64 v[78:79], v75
	v_add_u32_e32 v74, -1, v74
	s_add_i32 s9, s9, 8
	s_add_i32 s8, s8, 8
	v_cmp_eq_u32_e32 vcc, 0, v74
	s_or_b64 s[2:3], vcc, s[2:3]
	s_waitcnt vmcnt(0) lgkmcnt(0)
	v_fmac_f64_e32 v[72:73], v[76:77], v[78:79]
	s_andn2_b64 exec, exec, s[2:3]
	s_cbranch_execnz .LBB33_323
; %bb.324:
	s_or_b64 exec, exec, s[2:3]
.LBB33_325:
	s_or_b64 exec, exec, s[4:5]
	v_mov_b32_e32 v74, 0
	ds_read_b64 v[74:75], v74
	s_waitcnt lgkmcnt(0)
	v_mul_f64 v[72:73], v[72:73], v[74:75]
	scratch_store_dwordx2 off, v[72:73], off
.LBB33_326:
	s_or_b64 exec, exec, s[0:1]
	s_mov_b64 s[0:1], 0
.LBB33_327:
	s_and_b64 vcc, exec, s[0:1]
	s_cbranch_vccz .LBB33_649
; %bb.328:
	scratch_load_dwordx2 v[72:73], off, off offset:8
	v_cmp_eq_u32_e64 s[2:3], 0, v0
	s_waitcnt vmcnt(0)
	ds_write_b64 v1, v[72:73]
	s_waitcnt lgkmcnt(0)
	; wave barrier
	s_and_saveexec_b64 s[0:1], s[2:3]
	s_cbranch_execz .LBB33_334
; %bb.329:
	s_and_b64 vcc, exec, s[6:7]
	s_cbranch_vccz .LBB33_331
; %bb.330:
	scratch_load_dwordx2 v[72:73], v17, off
	ds_read_b64 v[74:75], v1
	s_waitcnt vmcnt(0) lgkmcnt(0)
	v_mul_f64 v[72:73], v[72:73], v[74:75]
	s_cbranch_execz .LBB33_332
	s_branch .LBB33_333
.LBB33_331:
                                        ; implicit-def: $vgpr72_vgpr73
.LBB33_332:
	ds_read_b64 v[72:73], v1
.LBB33_333:
	v_mov_b32_e32 v74, 0
	ds_read_b64 v[74:75], v74 offset:8
	s_waitcnt lgkmcnt(0)
	v_mul_f64 v[72:73], v[72:73], v[74:75]
	scratch_store_dwordx2 off, v[72:73], off offset:8
.LBB33_334:
	s_or_b64 exec, exec, s[0:1]
	scratch_load_dwordx2 v[72:73], off, off offset:16
	v_cndmask_b32_e64 v74, 0, 1, s[6:7]
	v_cmp_gt_u32_e32 vcc, 2, v0
	v_cmp_ne_u32_e64 s[0:1], 1, v74
	s_waitcnt vmcnt(0)
	ds_write_b64 v1, v[72:73]
	s_waitcnt lgkmcnt(0)
	; wave barrier
	s_and_saveexec_b64 s[4:5], vcc
	s_cbranch_execz .LBB33_340
; %bb.335:
	s_and_b64 vcc, exec, s[0:1]
	s_cbranch_vccnz .LBB33_337
; %bb.336:
	scratch_load_dwordx2 v[72:73], v17, off
	ds_read_b64 v[74:75], v1
	s_waitcnt vmcnt(0) lgkmcnt(0)
	v_mul_f64 v[72:73], v[72:73], v[74:75]
	s_cbranch_execz .LBB33_338
	s_branch .LBB33_339
.LBB33_337:
                                        ; implicit-def: $vgpr72_vgpr73
.LBB33_338:
	ds_read_b64 v[72:73], v1
.LBB33_339:
	scratch_load_dwordx2 v[78:79], off, off offset:8
	v_mov_b32_e32 v74, 0
	ds_read2_b64 v[74:77], v74 offset0:2 offset1:35
	s_waitcnt vmcnt(0) lgkmcnt(0)
	v_fma_f64 v[76:77], v[78:79], v[76:77], v[72:73]
	v_cndmask_b32_e64 v73, v73, v77, s[2:3]
	v_cndmask_b32_e64 v72, v72, v76, s[2:3]
	v_mul_f64 v[72:73], v[72:73], v[74:75]
	scratch_store_dwordx2 off, v[72:73], off offset:16
.LBB33_340:
	s_or_b64 exec, exec, s[4:5]
	scratch_load_dwordx2 v[72:73], off, off offset:24
	v_cmp_gt_u32_e32 vcc, 3, v0
	s_waitcnt vmcnt(0)
	ds_write_b64 v1, v[72:73]
	s_waitcnt lgkmcnt(0)
	; wave barrier
	s_and_saveexec_b64 s[4:5], vcc
	s_cbranch_execz .LBB33_348
; %bb.341:
	s_and_b64 vcc, exec, s[0:1]
	s_cbranch_vccnz .LBB33_343
; %bb.342:
	scratch_load_dwordx2 v[72:73], v17, off
	ds_read_b64 v[74:75], v1
	s_waitcnt vmcnt(0) lgkmcnt(0)
	v_mul_f64 v[72:73], v[72:73], v[74:75]
	s_cbranch_execz .LBB33_344
	s_branch .LBB33_345
.LBB33_343:
                                        ; implicit-def: $vgpr72_vgpr73
.LBB33_344:
	ds_read_b64 v[72:73], v1
.LBB33_345:
	v_cmp_ne_u32_e32 vcc, 2, v0
	s_and_saveexec_b64 s[6:7], vcc
	s_cbranch_execz .LBB33_347
; %bb.346:
	scratch_load_dwordx2 v[74:75], v17, off offset:8
	scratch_load_dwordx2 v[76:77], off, off offset:16
	ds_read_b64 v[78:79], v1 offset:8
	v_mov_b32_e32 v80, 0
	ds_read_b64 v[80:81], v80 offset:288
	s_waitcnt vmcnt(1) lgkmcnt(1)
	v_fmac_f64_e32 v[72:73], v[74:75], v[78:79]
	s_waitcnt vmcnt(0) lgkmcnt(0)
	v_fma_f64 v[74:75], v[76:77], v[80:81], v[72:73]
	v_cndmask_b32_e64 v73, v73, v75, s[2:3]
	v_cndmask_b32_e64 v72, v72, v74, s[2:3]
.LBB33_347:
	s_or_b64 exec, exec, s[6:7]
	v_mov_b32_e32 v74, 0
	ds_read_b64 v[74:75], v74 offset:24
	s_waitcnt lgkmcnt(0)
	v_mul_f64 v[72:73], v[72:73], v[74:75]
	scratch_store_dwordx2 off, v[72:73], off offset:24
.LBB33_348:
	s_or_b64 exec, exec, s[4:5]
	scratch_load_dwordx2 v[72:73], off, off offset:32
	v_cmp_gt_u32_e32 vcc, 4, v0
	s_waitcnt vmcnt(0)
	ds_write_b64 v1, v[72:73]
	s_waitcnt lgkmcnt(0)
	; wave barrier
	s_and_saveexec_b64 s[2:3], vcc
	s_cbranch_execz .LBB33_358
; %bb.349:
	s_and_b64 vcc, exec, s[0:1]
	s_cbranch_vccnz .LBB33_351
; %bb.350:
	scratch_load_dwordx2 v[72:73], v17, off
	ds_read_b64 v[74:75], v1
	s_waitcnt vmcnt(0) lgkmcnt(0)
	v_mul_f64 v[72:73], v[72:73], v[74:75]
	s_cbranch_execz .LBB33_352
	s_branch .LBB33_353
.LBB33_351:
                                        ; implicit-def: $vgpr72_vgpr73
.LBB33_352:
	ds_read_b64 v[72:73], v1
.LBB33_353:
	v_cmp_ne_u32_e32 vcc, 3, v0
	s_and_saveexec_b64 s[4:5], vcc
	s_cbranch_execz .LBB33_357
; %bb.354:
	s_mov_b32 s6, 0
	v_add_u32_e32 v74, 0x118, v16
	v_add3_u32 v75, v16, s6, 8
	s_mov_b64 s[6:7], 0
	v_mov_b32_e32 v76, v0
.LBB33_355:                             ; =>This Inner Loop Header: Depth=1
	scratch_load_dwordx2 v[78:79], v75, off
	ds_read_b64 v[80:81], v74
	v_add_u32_e32 v76, 1, v76
	v_cmp_lt_u32_e32 vcc, 2, v76
	v_add_u32_e32 v74, 8, v74
	v_add_u32_e32 v75, 8, v75
	s_or_b64 s[6:7], vcc, s[6:7]
	s_waitcnt vmcnt(0) lgkmcnt(0)
	v_fmac_f64_e32 v[72:73], v[78:79], v[80:81]
	s_andn2_b64 exec, exec, s[6:7]
	s_cbranch_execnz .LBB33_355
; %bb.356:
	s_or_b64 exec, exec, s[6:7]
.LBB33_357:
	s_or_b64 exec, exec, s[4:5]
	v_mov_b32_e32 v74, 0
	ds_read_b64 v[74:75], v74 offset:32
	s_waitcnt lgkmcnt(0)
	v_mul_f64 v[72:73], v[72:73], v[74:75]
	scratch_store_dwordx2 off, v[72:73], off offset:32
.LBB33_358:
	s_or_b64 exec, exec, s[2:3]
	scratch_load_dwordx2 v[72:73], off, off offset:40
	v_cmp_gt_u32_e32 vcc, 5, v0
	s_waitcnt vmcnt(0)
	ds_write_b64 v1, v[72:73]
	s_waitcnt lgkmcnt(0)
	; wave barrier
	s_and_saveexec_b64 s[2:3], vcc
	s_cbranch_execz .LBB33_368
; %bb.359:
	s_and_b64 vcc, exec, s[0:1]
	s_cbranch_vccnz .LBB33_361
; %bb.360:
	scratch_load_dwordx2 v[72:73], v17, off
	ds_read_b64 v[74:75], v1
	s_waitcnt vmcnt(0) lgkmcnt(0)
	v_mul_f64 v[72:73], v[72:73], v[74:75]
	s_cbranch_execz .LBB33_362
	s_branch .LBB33_363
.LBB33_361:
                                        ; implicit-def: $vgpr72_vgpr73
.LBB33_362:
	ds_read_b64 v[72:73], v1
.LBB33_363:
	v_cmp_ne_u32_e32 vcc, 4, v0
	s_and_saveexec_b64 s[4:5], vcc
	s_cbranch_execz .LBB33_367
; %bb.364:
	s_mov_b32 s6, 0
	v_add_u32_e32 v74, 0x118, v16
	v_add3_u32 v75, v16, s6, 8
	s_mov_b64 s[6:7], 0
	v_mov_b32_e32 v76, v0
.LBB33_365:                             ; =>This Inner Loop Header: Depth=1
	scratch_load_dwordx2 v[78:79], v75, off
	ds_read_b64 v[80:81], v74
	v_add_u32_e32 v76, 1, v76
	v_cmp_lt_u32_e32 vcc, 3, v76
	v_add_u32_e32 v74, 8, v74
	v_add_u32_e32 v75, 8, v75
	s_or_b64 s[6:7], vcc, s[6:7]
	s_waitcnt vmcnt(0) lgkmcnt(0)
	v_fmac_f64_e32 v[72:73], v[78:79], v[80:81]
	s_andn2_b64 exec, exec, s[6:7]
	s_cbranch_execnz .LBB33_365
; %bb.366:
	s_or_b64 exec, exec, s[6:7]
.LBB33_367:
	s_or_b64 exec, exec, s[4:5]
	v_mov_b32_e32 v74, 0
	ds_read_b64 v[74:75], v74 offset:40
	s_waitcnt lgkmcnt(0)
	v_mul_f64 v[72:73], v[72:73], v[74:75]
	scratch_store_dwordx2 off, v[72:73], off offset:40
.LBB33_368:
	;; [unrolled: 55-line block ×28, first 2 shown]
	s_or_b64 exec, exec, s[2:3]
	scratch_load_dwordx2 v[72:73], off, off offset:256
	v_cmp_gt_u32_e64 s[2:3], 32, v0
	s_waitcnt vmcnt(0)
	ds_write_b64 v1, v[72:73]
	s_waitcnt lgkmcnt(0)
	; wave barrier
	s_and_saveexec_b64 s[4:5], s[2:3]
	s_cbranch_execz .LBB33_638
; %bb.629:
	s_and_b64 vcc, exec, s[0:1]
	s_cbranch_vccnz .LBB33_631
; %bb.630:
	scratch_load_dwordx2 v[72:73], v17, off
	ds_read_b64 v[74:75], v1
	s_waitcnt vmcnt(0) lgkmcnt(0)
	v_mul_f64 v[72:73], v[72:73], v[74:75]
	s_cbranch_execz .LBB33_632
	s_branch .LBB33_633
.LBB33_631:
                                        ; implicit-def: $vgpr72_vgpr73
.LBB33_632:
	ds_read_b64 v[72:73], v1
.LBB33_633:
	v_cmp_ne_u32_e32 vcc, 31, v0
	s_and_saveexec_b64 s[6:7], vcc
	s_cbranch_execz .LBB33_637
; %bb.634:
	s_mov_b32 s8, 0
	v_add_u32_e32 v74, 0x118, v16
	v_add3_u32 v75, v16, s8, 8
	s_mov_b64 s[8:9], 0
	v_mov_b32_e32 v76, v0
.LBB33_635:                             ; =>This Inner Loop Header: Depth=1
	scratch_load_dwordx2 v[78:79], v75, off
	ds_read_b64 v[80:81], v74
	v_add_u32_e32 v76, 1, v76
	v_cmp_lt_u32_e32 vcc, 30, v76
	v_add_u32_e32 v74, 8, v74
	v_add_u32_e32 v75, 8, v75
	s_or_b64 s[8:9], vcc, s[8:9]
	s_waitcnt vmcnt(0) lgkmcnt(0)
	v_fmac_f64_e32 v[72:73], v[78:79], v[80:81]
	s_andn2_b64 exec, exec, s[8:9]
	s_cbranch_execnz .LBB33_635
; %bb.636:
	s_or_b64 exec, exec, s[8:9]
.LBB33_637:
	s_or_b64 exec, exec, s[6:7]
	v_mov_b32_e32 v74, 0
	ds_read_b64 v[74:75], v74 offset:256
	s_waitcnt lgkmcnt(0)
	v_mul_f64 v[72:73], v[72:73], v[74:75]
	scratch_store_dwordx2 off, v[72:73], off offset:256
.LBB33_638:
	s_or_b64 exec, exec, s[4:5]
	scratch_load_dwordx2 v[72:73], off, off offset:264
	v_cmp_ne_u32_e32 vcc, 33, v0
	s_waitcnt vmcnt(0)
	ds_write_b64 v1, v[72:73]
	s_waitcnt lgkmcnt(0)
	; wave barrier
	s_and_saveexec_b64 s[4:5], vcc
	s_cbranch_execz .LBB33_648
; %bb.639:
	s_and_b64 vcc, exec, s[0:1]
	s_cbranch_vccnz .LBB33_641
; %bb.640:
	scratch_load_dwordx2 v[72:73], v17, off
	ds_read_b64 v[74:75], v1
	s_waitcnt vmcnt(0) lgkmcnt(0)
	v_mul_f64 v[72:73], v[72:73], v[74:75]
	s_cbranch_execz .LBB33_642
	s_branch .LBB33_643
.LBB33_641:
                                        ; implicit-def: $vgpr72_vgpr73
.LBB33_642:
	ds_read_b64 v[72:73], v1
.LBB33_643:
	s_and_saveexec_b64 s[0:1], s[2:3]
	s_cbranch_execz .LBB33_647
; %bb.644:
	s_mov_b32 s2, 0
	v_add_u32_e32 v1, 0x118, v16
	v_add3_u32 v16, v16, s2, 8
	s_mov_b64 s[2:3], 0
.LBB33_645:                             ; =>This Inner Loop Header: Depth=1
	scratch_load_dwordx2 v[74:75], v16, off
	ds_read_b64 v[76:77], v1
	v_add_u32_e32 v0, 1, v0
	v_cmp_lt_u32_e32 vcc, 31, v0
	v_add_u32_e32 v1, 8, v1
	v_add_u32_e32 v16, 8, v16
	s_or_b64 s[2:3], vcc, s[2:3]
	s_waitcnt vmcnt(0) lgkmcnt(0)
	v_fmac_f64_e32 v[72:73], v[74:75], v[76:77]
	s_andn2_b64 exec, exec, s[2:3]
	s_cbranch_execnz .LBB33_645
; %bb.646:
	s_or_b64 exec, exec, s[2:3]
.LBB33_647:
	s_or_b64 exec, exec, s[0:1]
	v_mov_b32_e32 v0, 0
	ds_read_b64 v[0:1], v0 offset:264
	s_waitcnt lgkmcnt(0)
	v_mul_f64 v[0:1], v[72:73], v[0:1]
	scratch_store_dwordx2 off, v[0:1], off offset:264
.LBB33_648:
	s_or_b64 exec, exec, s[4:5]
.LBB33_649:
	scratch_load_dwordx4 v[72:75], off, off
	s_waitcnt vmcnt(0)
	global_store_dwordx2 v[2:3], v[72:73], off
	global_store_dwordx2 v[4:5], v[74:75], off
	scratch_load_dwordx4 v[0:3], off, off offset:16
	s_waitcnt vmcnt(0)
	global_store_dwordx2 v[6:7], v[0:1], off
	global_store_dwordx2 v[8:9], v[2:3], off
	scratch_load_dwordx4 v[0:3], off, off offset:32
	;; [unrolled: 4-line block ×16, first 2 shown]
	s_waitcnt vmcnt(0)
	global_store_dwordx2 v[58:59], v[0:1], off
	global_store_dwordx2 v[62:63], v[2:3], off
.LBB33_650:
	s_endpgm
	.section	.rodata,"a",@progbits
	.p2align	6, 0x0
	.amdhsa_kernel _ZN9rocsolver6v33100L18trti2_kernel_smallILi34EdPdEEv13rocblas_fill_17rocblas_diagonal_T1_iil
		.amdhsa_group_segment_fixed_size 544
		.amdhsa_private_segment_fixed_size 288
		.amdhsa_kernarg_size 32
		.amdhsa_user_sgpr_count 2
		.amdhsa_user_sgpr_dispatch_ptr 0
		.amdhsa_user_sgpr_queue_ptr 0
		.amdhsa_user_sgpr_kernarg_segment_ptr 1
		.amdhsa_user_sgpr_dispatch_id 0
		.amdhsa_user_sgpr_kernarg_preload_length 0
		.amdhsa_user_sgpr_kernarg_preload_offset 0
		.amdhsa_user_sgpr_private_segment_size 0
		.amdhsa_uses_dynamic_stack 0
		.amdhsa_enable_private_segment 1
		.amdhsa_system_sgpr_workgroup_id_x 1
		.amdhsa_system_sgpr_workgroup_id_y 0
		.amdhsa_system_sgpr_workgroup_id_z 0
		.amdhsa_system_sgpr_workgroup_info 0
		.amdhsa_system_vgpr_workitem_id 0
		.amdhsa_next_free_vgpr 82
		.amdhsa_next_free_sgpr 27
		.amdhsa_accum_offset 84
		.amdhsa_reserve_vcc 1
		.amdhsa_float_round_mode_32 0
		.amdhsa_float_round_mode_16_64 0
		.amdhsa_float_denorm_mode_32 3
		.amdhsa_float_denorm_mode_16_64 3
		.amdhsa_dx10_clamp 1
		.amdhsa_ieee_mode 1
		.amdhsa_fp16_overflow 0
		.amdhsa_tg_split 0
		.amdhsa_exception_fp_ieee_invalid_op 0
		.amdhsa_exception_fp_denorm_src 0
		.amdhsa_exception_fp_ieee_div_zero 0
		.amdhsa_exception_fp_ieee_overflow 0
		.amdhsa_exception_fp_ieee_underflow 0
		.amdhsa_exception_fp_ieee_inexact 0
		.amdhsa_exception_int_div_zero 0
	.end_amdhsa_kernel
	.section	.text._ZN9rocsolver6v33100L18trti2_kernel_smallILi34EdPdEEv13rocblas_fill_17rocblas_diagonal_T1_iil,"axG",@progbits,_ZN9rocsolver6v33100L18trti2_kernel_smallILi34EdPdEEv13rocblas_fill_17rocblas_diagonal_T1_iil,comdat
.Lfunc_end33:
	.size	_ZN9rocsolver6v33100L18trti2_kernel_smallILi34EdPdEEv13rocblas_fill_17rocblas_diagonal_T1_iil, .Lfunc_end33-_ZN9rocsolver6v33100L18trti2_kernel_smallILi34EdPdEEv13rocblas_fill_17rocblas_diagonal_T1_iil
                                        ; -- End function
	.set _ZN9rocsolver6v33100L18trti2_kernel_smallILi34EdPdEEv13rocblas_fill_17rocblas_diagonal_T1_iil.num_vgpr, 82
	.set _ZN9rocsolver6v33100L18trti2_kernel_smallILi34EdPdEEv13rocblas_fill_17rocblas_diagonal_T1_iil.num_agpr, 0
	.set _ZN9rocsolver6v33100L18trti2_kernel_smallILi34EdPdEEv13rocblas_fill_17rocblas_diagonal_T1_iil.numbered_sgpr, 27
	.set _ZN9rocsolver6v33100L18trti2_kernel_smallILi34EdPdEEv13rocblas_fill_17rocblas_diagonal_T1_iil.num_named_barrier, 0
	.set _ZN9rocsolver6v33100L18trti2_kernel_smallILi34EdPdEEv13rocblas_fill_17rocblas_diagonal_T1_iil.private_seg_size, 288
	.set _ZN9rocsolver6v33100L18trti2_kernel_smallILi34EdPdEEv13rocblas_fill_17rocblas_diagonal_T1_iil.uses_vcc, 1
	.set _ZN9rocsolver6v33100L18trti2_kernel_smallILi34EdPdEEv13rocblas_fill_17rocblas_diagonal_T1_iil.uses_flat_scratch, 0
	.set _ZN9rocsolver6v33100L18trti2_kernel_smallILi34EdPdEEv13rocblas_fill_17rocblas_diagonal_T1_iil.has_dyn_sized_stack, 0
	.set _ZN9rocsolver6v33100L18trti2_kernel_smallILi34EdPdEEv13rocblas_fill_17rocblas_diagonal_T1_iil.has_recursion, 0
	.set _ZN9rocsolver6v33100L18trti2_kernel_smallILi34EdPdEEv13rocblas_fill_17rocblas_diagonal_T1_iil.has_indirect_call, 0
	.section	.AMDGPU.csdata,"",@progbits
; Kernel info:
; codeLenInByte = 16040
; TotalNumSgprs: 33
; NumVgprs: 82
; NumAgprs: 0
; TotalNumVgprs: 82
; ScratchSize: 288
; MemoryBound: 0
; FloatMode: 240
; IeeeMode: 1
; LDSByteSize: 544 bytes/workgroup (compile time only)
; SGPRBlocks: 4
; VGPRBlocks: 10
; NumSGPRsForWavesPerEU: 33
; NumVGPRsForWavesPerEU: 82
; AccumOffset: 84
; Occupancy: 5
; WaveLimiterHint : 0
; COMPUTE_PGM_RSRC2:SCRATCH_EN: 1
; COMPUTE_PGM_RSRC2:USER_SGPR: 2
; COMPUTE_PGM_RSRC2:TRAP_HANDLER: 0
; COMPUTE_PGM_RSRC2:TGID_X_EN: 1
; COMPUTE_PGM_RSRC2:TGID_Y_EN: 0
; COMPUTE_PGM_RSRC2:TGID_Z_EN: 0
; COMPUTE_PGM_RSRC2:TIDIG_COMP_CNT: 0
; COMPUTE_PGM_RSRC3_GFX90A:ACCUM_OFFSET: 20
; COMPUTE_PGM_RSRC3_GFX90A:TG_SPLIT: 0
	.section	.text._ZN9rocsolver6v33100L18trti2_kernel_smallILi35EdPdEEv13rocblas_fill_17rocblas_diagonal_T1_iil,"axG",@progbits,_ZN9rocsolver6v33100L18trti2_kernel_smallILi35EdPdEEv13rocblas_fill_17rocblas_diagonal_T1_iil,comdat
	.globl	_ZN9rocsolver6v33100L18trti2_kernel_smallILi35EdPdEEv13rocblas_fill_17rocblas_diagonal_T1_iil ; -- Begin function _ZN9rocsolver6v33100L18trti2_kernel_smallILi35EdPdEEv13rocblas_fill_17rocblas_diagonal_T1_iil
	.p2align	8
	.type	_ZN9rocsolver6v33100L18trti2_kernel_smallILi35EdPdEEv13rocblas_fill_17rocblas_diagonal_T1_iil,@function
_ZN9rocsolver6v33100L18trti2_kernel_smallILi35EdPdEEv13rocblas_fill_17rocblas_diagonal_T1_iil: ; @_ZN9rocsolver6v33100L18trti2_kernel_smallILi35EdPdEEv13rocblas_fill_17rocblas_diagonal_T1_iil
; %bb.0:
	v_cmp_gt_u32_e32 vcc, 35, v0
	s_and_saveexec_b64 s[4:5], vcc
	s_cbranch_execz .LBB34_670
; %bb.1:
	s_load_dwordx8 s[4:11], s[0:1], 0x0
	s_ashr_i32 s3, s2, 31
	v_lshlrev_b32_e32 v12, 3, v0
	v_mov_b32_e32 v13, 0
	s_waitcnt lgkmcnt(0)
	s_ashr_i32 s1, s8, 31
	s_mov_b32 s0, s8
	s_mul_hi_u32 s8, s10, s2
	s_mul_i32 s3, s10, s3
	s_add_i32 s3, s8, s3
	s_mul_i32 s8, s11, s2
	s_add_i32 s3, s3, s8
	s_mul_i32 s2, s10, s2
	s_lshl_b64 s[2:3], s[2:3], 3
	s_add_u32 s2, s6, s2
	s_addc_u32 s3, s7, s3
	s_lshl_b64 s[0:1], s[0:1], 3
	s_add_u32 s0, s2, s0
	s_addc_u32 s1, s3, s1
	v_lshl_add_u64 v[2:3], s[0:1], 0, v[12:13]
	s_ashr_i32 s3, s9, 31
	s_mov_b32 s2, s9
	v_lshl_add_u64 v[4:5], s[2:3], 3, v[2:3]
	global_load_dwordx2 v[6:7], v12, s[0:1]
	global_load_dwordx2 v[8:9], v[4:5], off
	s_add_i32 s2, s9, s9
	s_cmpk_lg_i32 s5, 0x84
	s_cselect_b64 s[6:7], -1, 0
	s_cmpk_eq_i32 s5, 0x84
	s_waitcnt vmcnt(0)
	scratch_store_dwordx4 off, v[6:9], off
	s_nop 1
	v_add_u32_e32 v8, s2, v0
	v_add_u32_e32 v10, s9, v8
	v_ashrrev_i32_e32 v9, 31, v8
	v_ashrrev_i32_e32 v11, 31, v10
	v_lshl_add_u64 v[6:7], v[8:9], 3, s[0:1]
	v_lshl_add_u64 v[8:9], v[10:11], 3, s[0:1]
	global_load_dwordx2 v[14:15], v[6:7], off
	global_load_dwordx2 v[16:17], v[8:9], off
	s_waitcnt vmcnt(0)
	scratch_store_dwordx4 off, v[14:17], off offset:16
	s_nop 1
	v_add_u32_e32 v14, s9, v10
	v_add_u32_e32 v16, s9, v14
	v_ashrrev_i32_e32 v15, 31, v14
	v_ashrrev_i32_e32 v17, 31, v16
	v_lshl_add_u64 v[10:11], v[14:15], 3, s[0:1]
	v_lshl_add_u64 v[14:15], v[16:17], 3, s[0:1]
	global_load_dwordx2 v[18:19], v[10:11], off
	global_load_dwordx2 v[20:21], v[14:15], off
	s_waitcnt vmcnt(0)
	scratch_store_dwordx4 off, v[18:21], off offset:32
	;; [unrolled: 11-line block ×14, first 2 shown]
	s_nop 1
	v_add_u32_e32 v66, s9, v64
	v_ashrrev_i32_e32 v67, 31, v66
	v_lshl_add_u64 v[64:65], v[66:67], 3, s[0:1]
	v_add_u32_e32 v66, s9, v66
	v_ashrrev_i32_e32 v67, 31, v66
	v_lshl_add_u64 v[68:69], v[66:67], 3, s[0:1]
	global_load_dwordx2 v[70:71], v[64:65], off
	global_load_dwordx2 v[72:73], v[68:69], off
	v_add_u32_e32 v66, s9, v66
	v_ashrrev_i32_e32 v67, 31, v66
	s_waitcnt vmcnt(0)
	scratch_store_dwordx4 off, v[70:73], off offset:240
	s_nop 1
	v_lshl_add_u64 v[70:71], v[66:67], 3, s[0:1]
	v_add_u32_e32 v66, s9, v66
	v_ashrrev_i32_e32 v67, 31, v66
	v_lshl_add_u64 v[72:73], v[66:67], 3, s[0:1]
	global_load_dwordx2 v[74:75], v[70:71], off
	global_load_dwordx2 v[76:77], v[72:73], off
	v_add_u32_e32 v66, s9, v66
	v_ashrrev_i32_e32 v67, 31, v66
	v_lshl_add_u64 v[66:67], v[66:67], 3, s[0:1]
	s_waitcnt vmcnt(0)
	scratch_store_dwordx4 off, v[74:77], off offset:256
	global_load_dwordx2 v[74:75], v[66:67], off
	s_waitcnt vmcnt(0)
	scratch_store_dwordx2 off, v[74:75], off offset:272
	v_mov_b64_e32 v[74:75], -1.0
	s_cbranch_scc1 .LBB34_3
; %bb.2:
	scratch_load_dwordx2 v[74:75], v12, off
	s_waitcnt vmcnt(0)
	v_div_scale_f64 v[76:77], s[0:1], v[74:75], v[74:75], 1.0
	v_rcp_f64_e32 v[78:79], v[76:77]
	v_div_scale_f64 v[80:81], vcc, 1.0, v[74:75], 1.0
	v_fma_f64 v[82:83], -v[76:77], v[78:79], 1.0
	v_fmac_f64_e32 v[78:79], v[78:79], v[82:83]
	v_fma_f64 v[82:83], -v[76:77], v[78:79], 1.0
	v_fmac_f64_e32 v[78:79], v[78:79], v[82:83]
	v_mul_f64 v[82:83], v[80:81], v[78:79]
	v_fma_f64 v[76:77], -v[76:77], v[82:83], v[80:81]
	v_div_fmas_f64 v[76:77], v[76:77], v[78:79], v[82:83]
	v_div_fixup_f64 v[74:75], v[76:77], v[74:75], 1.0
	scratch_store_dwordx2 v12, v[74:75], off
	v_xor_b32_e32 v75, 0x80000000, v75
.LBB34_3:
	s_cmpk_eq_i32 s4, 0x79
	v_add_u32_e32 v1, 0x120, v12
	v_mov_b32_e32 v13, v12
	s_mov_b64 s[0:1], -1
	ds_write_b64 v12, v[74:75]
	s_cbranch_scc1 .LBB34_337
; %bb.4:
	scratch_load_dwordx2 v[74:75], off, off offset:264
	s_movk_i32 s8, 0x50
	s_movk_i32 s9, 0x60
	;; [unrolled: 1-line block ×12, first 2 shown]
	v_cmp_eq_u32_e64 s[0:1], 34, v0
	s_waitcnt vmcnt(0)
	ds_write_b64 v1, v[74:75]
	s_waitcnt lgkmcnt(0)
	; wave barrier
	s_and_saveexec_b64 s[2:3], s[0:1]
	s_cbranch_execz .LBB34_10
; %bb.5:
	s_and_b64 vcc, exec, s[6:7]
	s_cbranch_vccz .LBB34_7
; %bb.6:
	scratch_load_dwordx2 v[74:75], v13, off
	ds_read_b64 v[76:77], v1
	s_waitcnt vmcnt(0) lgkmcnt(0)
	v_mul_f64 v[74:75], v[74:75], v[76:77]
	s_cbranch_execz .LBB34_8
	s_branch .LBB34_9
.LBB34_7:
                                        ; implicit-def: $vgpr74_vgpr75
.LBB34_8:
	ds_read_b64 v[74:75], v1
.LBB34_9:
	v_mov_b32_e32 v76, 0
	ds_read_b64 v[76:77], v76 offset:264
	s_waitcnt lgkmcnt(0)
	v_mul_f64 v[74:75], v[74:75], v[76:77]
	scratch_store_dwordx2 off, v[74:75], off offset:264
.LBB34_10:
	s_or_b64 exec, exec, s[2:3]
	scratch_load_dwordx2 v[74:75], off, off offset:256
	s_mov_b32 s10, 16
	s_mov_b32 s11, 32
	;; [unrolled: 1-line block ×6, first 2 shown]
	v_cmp_lt_u32_e64 s[4:5], 32, v0
	s_waitcnt vmcnt(0)
	ds_write_b64 v1, v[74:75]
	s_waitcnt lgkmcnt(0)
	; wave barrier
	s_and_saveexec_b64 s[2:3], s[4:5]
	s_cbranch_execz .LBB34_16
; %bb.11:
	s_andn2_b64 vcc, exec, s[6:7]
	s_cbranch_vccnz .LBB34_13
; %bb.12:
	scratch_load_dwordx2 v[74:75], v13, off
	ds_read_b64 v[76:77], v1
	s_waitcnt vmcnt(0) lgkmcnt(0)
	v_mul_f64 v[74:75], v[74:75], v[76:77]
	s_cbranch_execz .LBB34_14
	s_branch .LBB34_15
.LBB34_13:
                                        ; implicit-def: $vgpr74_vgpr75
.LBB34_14:
	ds_read_b64 v[74:75], v1
.LBB34_15:
	scratch_load_dwordx2 v[80:81], off, off offset:264
	v_mov_b32_e32 v76, 0
	ds_read2_b64 v[76:79], v76 offset0:32 offset1:69
	s_waitcnt vmcnt(0) lgkmcnt(0)
	v_fma_f64 v[78:79], v[80:81], v[78:79], v[74:75]
	v_cndmask_b32_e64 v75, v75, v79, s[0:1]
	v_cndmask_b32_e64 v74, v74, v78, s[0:1]
	v_mul_f64 v[74:75], v[74:75], v[76:77]
	scratch_store_dwordx2 off, v[74:75], off offset:256
.LBB34_16:
	s_or_b64 exec, exec, s[2:3]
	scratch_load_dwordx2 v[74:75], off, off offset:248
	v_cmp_lt_u32_e64 s[2:3], 31, v0
	s_waitcnt vmcnt(0)
	ds_write_b64 v1, v[74:75]
	s_waitcnt lgkmcnt(0)
	; wave barrier
	s_and_saveexec_b64 s[0:1], s[2:3]
	s_cbranch_execz .LBB34_26
; %bb.17:
	s_andn2_b64 vcc, exec, s[6:7]
	s_cbranch_vccnz .LBB34_19
; %bb.18:
	scratch_load_dwordx2 v[74:75], v13, off
	ds_read_b64 v[76:77], v1
	s_waitcnt vmcnt(0) lgkmcnt(0)
	v_mul_f64 v[74:75], v[74:75], v[76:77]
	s_cbranch_execz .LBB34_20
	s_branch .LBB34_21
.LBB34_19:
                                        ; implicit-def: $vgpr74_vgpr75
.LBB34_20:
	ds_read_b64 v[74:75], v1
.LBB34_21:
	s_and_saveexec_b64 s[8:9], s[4:5]
	s_cbranch_execz .LBB34_25
; %bb.22:
	v_subrev_u32_e32 v76, 32, v0
	s_movk_i32 s26, 0x220
	s_mov_b64 s[4:5], 0
.LBB34_23:                              ; =>This Inner Loop Header: Depth=1
	scratch_load_dwordx2 v[78:79], off, s25
	v_mov_b32_e32 v77, s26
	ds_read_b64 v[80:81], v77
	v_add_u32_e32 v76, -1, v76
	s_add_i32 s26, s26, 8
	s_add_i32 s25, s25, 8
	v_cmp_eq_u32_e32 vcc, 0, v76
	s_or_b64 s[4:5], vcc, s[4:5]
	s_waitcnt vmcnt(0) lgkmcnt(0)
	v_fmac_f64_e32 v[74:75], v[78:79], v[80:81]
	s_andn2_b64 exec, exec, s[4:5]
	s_cbranch_execnz .LBB34_23
; %bb.24:
	s_or_b64 exec, exec, s[4:5]
.LBB34_25:
	s_or_b64 exec, exec, s[8:9]
	v_mov_b32_e32 v76, 0
	ds_read_b64 v[76:77], v76 offset:248
	s_waitcnt lgkmcnt(0)
	v_mul_f64 v[74:75], v[74:75], v[76:77]
	scratch_store_dwordx2 off, v[74:75], off offset:248
.LBB34_26:
	s_or_b64 exec, exec, s[0:1]
	scratch_load_dwordx2 v[74:75], off, off offset:240
	v_cmp_lt_u32_e64 s[0:1], 30, v0
	s_waitcnt vmcnt(0)
	ds_write_b64 v1, v[74:75]
	s_waitcnt lgkmcnt(0)
	; wave barrier
	s_and_saveexec_b64 s[4:5], s[0:1]
	s_cbranch_execz .LBB34_36
; %bb.27:
	s_andn2_b64 vcc, exec, s[6:7]
	s_cbranch_vccnz .LBB34_29
; %bb.28:
	scratch_load_dwordx2 v[74:75], v13, off
	ds_read_b64 v[76:77], v1
	s_waitcnt vmcnt(0) lgkmcnt(0)
	v_mul_f64 v[74:75], v[74:75], v[76:77]
	s_cbranch_execz .LBB34_30
	s_branch .LBB34_31
.LBB34_29:
                                        ; implicit-def: $vgpr74_vgpr75
.LBB34_30:
	ds_read_b64 v[74:75], v1
.LBB34_31:
	s_and_saveexec_b64 s[8:9], s[2:3]
	s_cbranch_execz .LBB34_35
; %bb.32:
	s_movk_i32 s25, 0xf8
	v_subrev_u32_e32 v76, 31, v0
	s_movk_i32 s26, 0x218
	s_mov_b64 s[2:3], 0
.LBB34_33:                              ; =>This Inner Loop Header: Depth=1
	scratch_load_dwordx2 v[78:79], off, s25
	v_mov_b32_e32 v77, s26
	ds_read_b64 v[80:81], v77
	v_add_u32_e32 v76, -1, v76
	s_add_i32 s26, s26, 8
	s_add_i32 s25, s25, 8
	v_cmp_eq_u32_e32 vcc, 0, v76
	s_or_b64 s[2:3], vcc, s[2:3]
	s_waitcnt vmcnt(0) lgkmcnt(0)
	v_fmac_f64_e32 v[74:75], v[78:79], v[80:81]
	s_andn2_b64 exec, exec, s[2:3]
	s_cbranch_execnz .LBB34_33
; %bb.34:
	s_or_b64 exec, exec, s[2:3]
.LBB34_35:
	s_or_b64 exec, exec, s[8:9]
	v_mov_b32_e32 v76, 0
	ds_read_b64 v[76:77], v76 offset:240
	s_waitcnt lgkmcnt(0)
	v_mul_f64 v[74:75], v[74:75], v[76:77]
	scratch_store_dwordx2 off, v[74:75], off offset:240
.LBB34_36:
	s_or_b64 exec, exec, s[4:5]
	scratch_load_dwordx2 v[74:75], off, off offset:232
	v_cmp_lt_u32_e64 s[2:3], 29, v0
	s_waitcnt vmcnt(0)
	ds_write_b64 v1, v[74:75]
	s_waitcnt lgkmcnt(0)
	; wave barrier
	s_and_saveexec_b64 s[4:5], s[2:3]
	s_cbranch_execz .LBB34_46
; %bb.37:
	s_andn2_b64 vcc, exec, s[6:7]
	s_cbranch_vccnz .LBB34_39
; %bb.38:
	scratch_load_dwordx2 v[74:75], v13, off
	ds_read_b64 v[76:77], v1
	s_waitcnt vmcnt(0) lgkmcnt(0)
	v_mul_f64 v[74:75], v[74:75], v[76:77]
	s_cbranch_execz .LBB34_40
	s_branch .LBB34_41
.LBB34_39:
                                        ; implicit-def: $vgpr74_vgpr75
.LBB34_40:
	ds_read_b64 v[74:75], v1
.LBB34_41:
	s_and_saveexec_b64 s[8:9], s[0:1]
	s_cbranch_execz .LBB34_45
; %bb.42:
	v_subrev_u32_e32 v76, 30, v0
	s_movk_i32 s25, 0x210
	s_mov_b64 s[0:1], 0
.LBB34_43:                              ; =>This Inner Loop Header: Depth=1
	scratch_load_dwordx2 v[78:79], off, s24
	v_mov_b32_e32 v77, s25
	ds_read_b64 v[80:81], v77
	v_add_u32_e32 v76, -1, v76
	s_add_i32 s25, s25, 8
	s_add_i32 s24, s24, 8
	v_cmp_eq_u32_e32 vcc, 0, v76
	s_or_b64 s[0:1], vcc, s[0:1]
	s_waitcnt vmcnt(0) lgkmcnt(0)
	v_fmac_f64_e32 v[74:75], v[78:79], v[80:81]
	s_andn2_b64 exec, exec, s[0:1]
	s_cbranch_execnz .LBB34_43
; %bb.44:
	s_or_b64 exec, exec, s[0:1]
.LBB34_45:
	s_or_b64 exec, exec, s[8:9]
	v_mov_b32_e32 v76, 0
	ds_read_b64 v[76:77], v76 offset:232
	s_waitcnt lgkmcnt(0)
	v_mul_f64 v[74:75], v[74:75], v[76:77]
	scratch_store_dwordx2 off, v[74:75], off offset:232
.LBB34_46:
	s_or_b64 exec, exec, s[4:5]
	scratch_load_dwordx2 v[74:75], off, off offset:224
	v_cmp_lt_u32_e64 s[0:1], 28, v0
	s_waitcnt vmcnt(0)
	ds_write_b64 v1, v[74:75]
	s_waitcnt lgkmcnt(0)
	; wave barrier
	s_and_saveexec_b64 s[4:5], s[0:1]
	s_cbranch_execz .LBB34_56
; %bb.47:
	s_andn2_b64 vcc, exec, s[6:7]
	s_cbranch_vccnz .LBB34_49
; %bb.48:
	scratch_load_dwordx2 v[74:75], v13, off
	ds_read_b64 v[76:77], v1
	s_waitcnt vmcnt(0) lgkmcnt(0)
	v_mul_f64 v[74:75], v[74:75], v[76:77]
	s_cbranch_execz .LBB34_50
	s_branch .LBB34_51
.LBB34_49:
                                        ; implicit-def: $vgpr74_vgpr75
.LBB34_50:
	ds_read_b64 v[74:75], v1
.LBB34_51:
	s_and_saveexec_b64 s[8:9], s[2:3]
	s_cbranch_execz .LBB34_55
; %bb.52:
	s_movk_i32 s24, 0xe8
	v_subrev_u32_e32 v76, 29, v0
	s_movk_i32 s25, 0x208
	s_mov_b64 s[2:3], 0
.LBB34_53:                              ; =>This Inner Loop Header: Depth=1
	scratch_load_dwordx2 v[78:79], off, s24
	v_mov_b32_e32 v77, s25
	ds_read_b64 v[80:81], v77
	v_add_u32_e32 v76, -1, v76
	s_add_i32 s25, s25, 8
	s_add_i32 s24, s24, 8
	v_cmp_eq_u32_e32 vcc, 0, v76
	s_or_b64 s[2:3], vcc, s[2:3]
	s_waitcnt vmcnt(0) lgkmcnt(0)
	v_fmac_f64_e32 v[74:75], v[78:79], v[80:81]
	s_andn2_b64 exec, exec, s[2:3]
	s_cbranch_execnz .LBB34_53
; %bb.54:
	s_or_b64 exec, exec, s[2:3]
.LBB34_55:
	s_or_b64 exec, exec, s[8:9]
	v_mov_b32_e32 v76, 0
	ds_read_b64 v[76:77], v76 offset:224
	s_waitcnt lgkmcnt(0)
	v_mul_f64 v[74:75], v[74:75], v[76:77]
	scratch_store_dwordx2 off, v[74:75], off offset:224
.LBB34_56:
	s_or_b64 exec, exec, s[4:5]
	scratch_load_dwordx2 v[74:75], off, off offset:216
	v_cmp_lt_u32_e64 s[2:3], 27, v0
	s_waitcnt vmcnt(0)
	ds_write_b64 v1, v[74:75]
	s_waitcnt lgkmcnt(0)
	; wave barrier
	s_and_saveexec_b64 s[4:5], s[2:3]
	s_cbranch_execz .LBB34_66
; %bb.57:
	s_andn2_b64 vcc, exec, s[6:7]
	s_cbranch_vccnz .LBB34_59
; %bb.58:
	scratch_load_dwordx2 v[74:75], v13, off
	ds_read_b64 v[76:77], v1
	s_waitcnt vmcnt(0) lgkmcnt(0)
	v_mul_f64 v[74:75], v[74:75], v[76:77]
	s_cbranch_execz .LBB34_60
	s_branch .LBB34_61
.LBB34_59:
                                        ; implicit-def: $vgpr74_vgpr75
.LBB34_60:
	ds_read_b64 v[74:75], v1
.LBB34_61:
	s_and_saveexec_b64 s[8:9], s[0:1]
	s_cbranch_execz .LBB34_65
; %bb.62:
	v_subrev_u32_e32 v76, 28, v0
	s_movk_i32 s24, 0x200
	s_mov_b64 s[0:1], 0
.LBB34_63:                              ; =>This Inner Loop Header: Depth=1
	scratch_load_dwordx2 v[78:79], off, s23
	v_mov_b32_e32 v77, s24
	ds_read_b64 v[80:81], v77
	v_add_u32_e32 v76, -1, v76
	s_add_i32 s24, s24, 8
	s_add_i32 s23, s23, 8
	v_cmp_eq_u32_e32 vcc, 0, v76
	s_or_b64 s[0:1], vcc, s[0:1]
	s_waitcnt vmcnt(0) lgkmcnt(0)
	v_fmac_f64_e32 v[74:75], v[78:79], v[80:81]
	s_andn2_b64 exec, exec, s[0:1]
	s_cbranch_execnz .LBB34_63
; %bb.64:
	s_or_b64 exec, exec, s[0:1]
.LBB34_65:
	s_or_b64 exec, exec, s[8:9]
	v_mov_b32_e32 v76, 0
	ds_read_b64 v[76:77], v76 offset:216
	s_waitcnt lgkmcnt(0)
	v_mul_f64 v[74:75], v[74:75], v[76:77]
	scratch_store_dwordx2 off, v[74:75], off offset:216
.LBB34_66:
	s_or_b64 exec, exec, s[4:5]
	scratch_load_dwordx2 v[74:75], off, off offset:208
	v_cmp_lt_u32_e64 s[0:1], 26, v0
	s_waitcnt vmcnt(0)
	ds_write_b64 v1, v[74:75]
	s_waitcnt lgkmcnt(0)
	; wave barrier
	s_and_saveexec_b64 s[4:5], s[0:1]
	s_cbranch_execz .LBB34_76
; %bb.67:
	s_andn2_b64 vcc, exec, s[6:7]
	s_cbranch_vccnz .LBB34_69
; %bb.68:
	scratch_load_dwordx2 v[74:75], v13, off
	ds_read_b64 v[76:77], v1
	s_waitcnt vmcnt(0) lgkmcnt(0)
	v_mul_f64 v[74:75], v[74:75], v[76:77]
	s_cbranch_execz .LBB34_70
	s_branch .LBB34_71
.LBB34_69:
                                        ; implicit-def: $vgpr74_vgpr75
.LBB34_70:
	ds_read_b64 v[74:75], v1
.LBB34_71:
	s_and_saveexec_b64 s[8:9], s[2:3]
	s_cbranch_execz .LBB34_75
; %bb.72:
	s_movk_i32 s23, 0xd8
	v_subrev_u32_e32 v76, 27, v0
	s_movk_i32 s24, 0x1f8
	s_mov_b64 s[2:3], 0
.LBB34_73:                              ; =>This Inner Loop Header: Depth=1
	scratch_load_dwordx2 v[78:79], off, s23
	v_mov_b32_e32 v77, s24
	ds_read_b64 v[80:81], v77
	v_add_u32_e32 v76, -1, v76
	s_add_i32 s24, s24, 8
	s_add_i32 s23, s23, 8
	v_cmp_eq_u32_e32 vcc, 0, v76
	s_or_b64 s[2:3], vcc, s[2:3]
	s_waitcnt vmcnt(0) lgkmcnt(0)
	v_fmac_f64_e32 v[74:75], v[78:79], v[80:81]
	s_andn2_b64 exec, exec, s[2:3]
	s_cbranch_execnz .LBB34_73
; %bb.74:
	s_or_b64 exec, exec, s[2:3]
.LBB34_75:
	s_or_b64 exec, exec, s[8:9]
	v_mov_b32_e32 v76, 0
	ds_read_b64 v[76:77], v76 offset:208
	s_waitcnt lgkmcnt(0)
	v_mul_f64 v[74:75], v[74:75], v[76:77]
	scratch_store_dwordx2 off, v[74:75], off offset:208
.LBB34_76:
	s_or_b64 exec, exec, s[4:5]
	scratch_load_dwordx2 v[74:75], off, off offset:200
	v_cmp_lt_u32_e64 s[2:3], 25, v0
	s_waitcnt vmcnt(0)
	ds_write_b64 v1, v[74:75]
	s_waitcnt lgkmcnt(0)
	; wave barrier
	s_and_saveexec_b64 s[4:5], s[2:3]
	s_cbranch_execz .LBB34_86
; %bb.77:
	s_andn2_b64 vcc, exec, s[6:7]
	s_cbranch_vccnz .LBB34_79
; %bb.78:
	scratch_load_dwordx2 v[74:75], v13, off
	ds_read_b64 v[76:77], v1
	s_waitcnt vmcnt(0) lgkmcnt(0)
	v_mul_f64 v[74:75], v[74:75], v[76:77]
	s_cbranch_execz .LBB34_80
	s_branch .LBB34_81
.LBB34_79:
                                        ; implicit-def: $vgpr74_vgpr75
.LBB34_80:
	ds_read_b64 v[74:75], v1
.LBB34_81:
	s_and_saveexec_b64 s[8:9], s[0:1]
	s_cbranch_execz .LBB34_85
; %bb.82:
	v_subrev_u32_e32 v76, 26, v0
	s_movk_i32 s23, 0x1f0
	s_mov_b64 s[0:1], 0
.LBB34_83:                              ; =>This Inner Loop Header: Depth=1
	scratch_load_dwordx2 v[78:79], off, s22
	v_mov_b32_e32 v77, s23
	ds_read_b64 v[80:81], v77
	v_add_u32_e32 v76, -1, v76
	s_add_i32 s23, s23, 8
	s_add_i32 s22, s22, 8
	v_cmp_eq_u32_e32 vcc, 0, v76
	s_or_b64 s[0:1], vcc, s[0:1]
	s_waitcnt vmcnt(0) lgkmcnt(0)
	v_fmac_f64_e32 v[74:75], v[78:79], v[80:81]
	s_andn2_b64 exec, exec, s[0:1]
	s_cbranch_execnz .LBB34_83
; %bb.84:
	s_or_b64 exec, exec, s[0:1]
.LBB34_85:
	s_or_b64 exec, exec, s[8:9]
	v_mov_b32_e32 v76, 0
	ds_read_b64 v[76:77], v76 offset:200
	s_waitcnt lgkmcnt(0)
	v_mul_f64 v[74:75], v[74:75], v[76:77]
	scratch_store_dwordx2 off, v[74:75], off offset:200
.LBB34_86:
	s_or_b64 exec, exec, s[4:5]
	scratch_load_dwordx2 v[74:75], off, off offset:192
	v_cmp_lt_u32_e64 s[0:1], 24, v0
	s_waitcnt vmcnt(0)
	ds_write_b64 v1, v[74:75]
	s_waitcnt lgkmcnt(0)
	; wave barrier
	s_and_saveexec_b64 s[4:5], s[0:1]
	s_cbranch_execz .LBB34_96
; %bb.87:
	s_andn2_b64 vcc, exec, s[6:7]
	s_cbranch_vccnz .LBB34_89
; %bb.88:
	scratch_load_dwordx2 v[74:75], v13, off
	ds_read_b64 v[76:77], v1
	s_waitcnt vmcnt(0) lgkmcnt(0)
	v_mul_f64 v[74:75], v[74:75], v[76:77]
	s_cbranch_execz .LBB34_90
	s_branch .LBB34_91
.LBB34_89:
                                        ; implicit-def: $vgpr74_vgpr75
.LBB34_90:
	ds_read_b64 v[74:75], v1
.LBB34_91:
	s_and_saveexec_b64 s[8:9], s[2:3]
	s_cbranch_execz .LBB34_95
; %bb.92:
	s_movk_i32 s22, 0xc8
	v_subrev_u32_e32 v76, 25, v0
	s_movk_i32 s23, 0x1e8
	s_mov_b64 s[2:3], 0
.LBB34_93:                              ; =>This Inner Loop Header: Depth=1
	scratch_load_dwordx2 v[78:79], off, s22
	v_mov_b32_e32 v77, s23
	ds_read_b64 v[80:81], v77
	v_add_u32_e32 v76, -1, v76
	s_add_i32 s23, s23, 8
	s_add_i32 s22, s22, 8
	v_cmp_eq_u32_e32 vcc, 0, v76
	s_or_b64 s[2:3], vcc, s[2:3]
	s_waitcnt vmcnt(0) lgkmcnt(0)
	v_fmac_f64_e32 v[74:75], v[78:79], v[80:81]
	s_andn2_b64 exec, exec, s[2:3]
	s_cbranch_execnz .LBB34_93
; %bb.94:
	s_or_b64 exec, exec, s[2:3]
.LBB34_95:
	s_or_b64 exec, exec, s[8:9]
	v_mov_b32_e32 v76, 0
	ds_read_b64 v[76:77], v76 offset:192
	s_waitcnt lgkmcnt(0)
	v_mul_f64 v[74:75], v[74:75], v[76:77]
	scratch_store_dwordx2 off, v[74:75], off offset:192
.LBB34_96:
	s_or_b64 exec, exec, s[4:5]
	scratch_load_dwordx2 v[74:75], off, off offset:184
	v_cmp_lt_u32_e64 s[2:3], 23, v0
	s_waitcnt vmcnt(0)
	ds_write_b64 v1, v[74:75]
	s_waitcnt lgkmcnt(0)
	; wave barrier
	s_and_saveexec_b64 s[4:5], s[2:3]
	s_cbranch_execz .LBB34_106
; %bb.97:
	s_andn2_b64 vcc, exec, s[6:7]
	s_cbranch_vccnz .LBB34_99
; %bb.98:
	scratch_load_dwordx2 v[74:75], v13, off
	ds_read_b64 v[76:77], v1
	s_waitcnt vmcnt(0) lgkmcnt(0)
	v_mul_f64 v[74:75], v[74:75], v[76:77]
	s_cbranch_execz .LBB34_100
	s_branch .LBB34_101
.LBB34_99:
                                        ; implicit-def: $vgpr74_vgpr75
.LBB34_100:
	ds_read_b64 v[74:75], v1
.LBB34_101:
	s_and_saveexec_b64 s[8:9], s[0:1]
	s_cbranch_execz .LBB34_105
; %bb.102:
	v_subrev_u32_e32 v76, 24, v0
	s_movk_i32 s22, 0x1e0
	s_mov_b64 s[0:1], 0
.LBB34_103:                             ; =>This Inner Loop Header: Depth=1
	scratch_load_dwordx2 v[78:79], off, s21
	v_mov_b32_e32 v77, s22
	ds_read_b64 v[80:81], v77
	v_add_u32_e32 v76, -1, v76
	s_add_i32 s22, s22, 8
	s_add_i32 s21, s21, 8
	v_cmp_eq_u32_e32 vcc, 0, v76
	s_or_b64 s[0:1], vcc, s[0:1]
	s_waitcnt vmcnt(0) lgkmcnt(0)
	v_fmac_f64_e32 v[74:75], v[78:79], v[80:81]
	s_andn2_b64 exec, exec, s[0:1]
	s_cbranch_execnz .LBB34_103
; %bb.104:
	s_or_b64 exec, exec, s[0:1]
.LBB34_105:
	s_or_b64 exec, exec, s[8:9]
	v_mov_b32_e32 v76, 0
	ds_read_b64 v[76:77], v76 offset:184
	s_waitcnt lgkmcnt(0)
	v_mul_f64 v[74:75], v[74:75], v[76:77]
	scratch_store_dwordx2 off, v[74:75], off offset:184
.LBB34_106:
	s_or_b64 exec, exec, s[4:5]
	scratch_load_dwordx2 v[74:75], off, off offset:176
	v_cmp_lt_u32_e64 s[0:1], 22, v0
	s_waitcnt vmcnt(0)
	ds_write_b64 v1, v[74:75]
	s_waitcnt lgkmcnt(0)
	; wave barrier
	s_and_saveexec_b64 s[4:5], s[0:1]
	s_cbranch_execz .LBB34_116
; %bb.107:
	s_andn2_b64 vcc, exec, s[6:7]
	s_cbranch_vccnz .LBB34_109
; %bb.108:
	scratch_load_dwordx2 v[74:75], v13, off
	ds_read_b64 v[76:77], v1
	s_waitcnt vmcnt(0) lgkmcnt(0)
	v_mul_f64 v[74:75], v[74:75], v[76:77]
	s_cbranch_execz .LBB34_110
	s_branch .LBB34_111
.LBB34_109:
                                        ; implicit-def: $vgpr74_vgpr75
.LBB34_110:
	ds_read_b64 v[74:75], v1
.LBB34_111:
	s_and_saveexec_b64 s[8:9], s[2:3]
	s_cbranch_execz .LBB34_115
; %bb.112:
	s_movk_i32 s21, 0xb8
	v_subrev_u32_e32 v76, 23, v0
	s_movk_i32 s22, 0x1d8
	s_mov_b64 s[2:3], 0
.LBB34_113:                             ; =>This Inner Loop Header: Depth=1
	scratch_load_dwordx2 v[78:79], off, s21
	v_mov_b32_e32 v77, s22
	ds_read_b64 v[80:81], v77
	v_add_u32_e32 v76, -1, v76
	s_add_i32 s22, s22, 8
	s_add_i32 s21, s21, 8
	v_cmp_eq_u32_e32 vcc, 0, v76
	s_or_b64 s[2:3], vcc, s[2:3]
	s_waitcnt vmcnt(0) lgkmcnt(0)
	v_fmac_f64_e32 v[74:75], v[78:79], v[80:81]
	s_andn2_b64 exec, exec, s[2:3]
	s_cbranch_execnz .LBB34_113
; %bb.114:
	s_or_b64 exec, exec, s[2:3]
.LBB34_115:
	s_or_b64 exec, exec, s[8:9]
	v_mov_b32_e32 v76, 0
	ds_read_b64 v[76:77], v76 offset:176
	s_waitcnt lgkmcnt(0)
	v_mul_f64 v[74:75], v[74:75], v[76:77]
	scratch_store_dwordx2 off, v[74:75], off offset:176
.LBB34_116:
	s_or_b64 exec, exec, s[4:5]
	scratch_load_dwordx2 v[74:75], off, off offset:168
	v_cmp_lt_u32_e64 s[2:3], 21, v0
	s_waitcnt vmcnt(0)
	ds_write_b64 v1, v[74:75]
	s_waitcnt lgkmcnt(0)
	; wave barrier
	s_and_saveexec_b64 s[4:5], s[2:3]
	s_cbranch_execz .LBB34_126
; %bb.117:
	s_andn2_b64 vcc, exec, s[6:7]
	s_cbranch_vccnz .LBB34_119
; %bb.118:
	scratch_load_dwordx2 v[74:75], v13, off
	ds_read_b64 v[76:77], v1
	s_waitcnt vmcnt(0) lgkmcnt(0)
	v_mul_f64 v[74:75], v[74:75], v[76:77]
	s_cbranch_execz .LBB34_120
	s_branch .LBB34_121
.LBB34_119:
                                        ; implicit-def: $vgpr74_vgpr75
.LBB34_120:
	ds_read_b64 v[74:75], v1
.LBB34_121:
	s_and_saveexec_b64 s[8:9], s[0:1]
	s_cbranch_execz .LBB34_125
; %bb.122:
	v_subrev_u32_e32 v76, 22, v0
	s_movk_i32 s21, 0x1d0
	s_mov_b64 s[0:1], 0
.LBB34_123:                             ; =>This Inner Loop Header: Depth=1
	scratch_load_dwordx2 v[78:79], off, s20
	v_mov_b32_e32 v77, s21
	ds_read_b64 v[80:81], v77
	v_add_u32_e32 v76, -1, v76
	s_add_i32 s21, s21, 8
	s_add_i32 s20, s20, 8
	v_cmp_eq_u32_e32 vcc, 0, v76
	s_or_b64 s[0:1], vcc, s[0:1]
	s_waitcnt vmcnt(0) lgkmcnt(0)
	v_fmac_f64_e32 v[74:75], v[78:79], v[80:81]
	s_andn2_b64 exec, exec, s[0:1]
	s_cbranch_execnz .LBB34_123
; %bb.124:
	s_or_b64 exec, exec, s[0:1]
.LBB34_125:
	s_or_b64 exec, exec, s[8:9]
	v_mov_b32_e32 v76, 0
	ds_read_b64 v[76:77], v76 offset:168
	s_waitcnt lgkmcnt(0)
	v_mul_f64 v[74:75], v[74:75], v[76:77]
	scratch_store_dwordx2 off, v[74:75], off offset:168
.LBB34_126:
	s_or_b64 exec, exec, s[4:5]
	scratch_load_dwordx2 v[74:75], off, off offset:160
	v_cmp_lt_u32_e64 s[0:1], 20, v0
	s_waitcnt vmcnt(0)
	ds_write_b64 v1, v[74:75]
	s_waitcnt lgkmcnt(0)
	; wave barrier
	s_and_saveexec_b64 s[4:5], s[0:1]
	s_cbranch_execz .LBB34_136
; %bb.127:
	s_andn2_b64 vcc, exec, s[6:7]
	s_cbranch_vccnz .LBB34_129
; %bb.128:
	scratch_load_dwordx2 v[74:75], v13, off
	ds_read_b64 v[76:77], v1
	s_waitcnt vmcnt(0) lgkmcnt(0)
	v_mul_f64 v[74:75], v[74:75], v[76:77]
	s_cbranch_execz .LBB34_130
	s_branch .LBB34_131
.LBB34_129:
                                        ; implicit-def: $vgpr74_vgpr75
.LBB34_130:
	ds_read_b64 v[74:75], v1
.LBB34_131:
	s_and_saveexec_b64 s[8:9], s[2:3]
	s_cbranch_execz .LBB34_135
; %bb.132:
	s_movk_i32 s20, 0xa8
	v_subrev_u32_e32 v76, 21, v0
	s_movk_i32 s21, 0x1c8
	s_mov_b64 s[2:3], 0
.LBB34_133:                             ; =>This Inner Loop Header: Depth=1
	scratch_load_dwordx2 v[78:79], off, s20
	v_mov_b32_e32 v77, s21
	ds_read_b64 v[80:81], v77
	v_add_u32_e32 v76, -1, v76
	s_add_i32 s21, s21, 8
	s_add_i32 s20, s20, 8
	v_cmp_eq_u32_e32 vcc, 0, v76
	s_or_b64 s[2:3], vcc, s[2:3]
	s_waitcnt vmcnt(0) lgkmcnt(0)
	v_fmac_f64_e32 v[74:75], v[78:79], v[80:81]
	s_andn2_b64 exec, exec, s[2:3]
	s_cbranch_execnz .LBB34_133
; %bb.134:
	s_or_b64 exec, exec, s[2:3]
.LBB34_135:
	s_or_b64 exec, exec, s[8:9]
	v_mov_b32_e32 v76, 0
	ds_read_b64 v[76:77], v76 offset:160
	s_waitcnt lgkmcnt(0)
	v_mul_f64 v[74:75], v[74:75], v[76:77]
	scratch_store_dwordx2 off, v[74:75], off offset:160
.LBB34_136:
	s_or_b64 exec, exec, s[4:5]
	scratch_load_dwordx2 v[74:75], off, off offset:152
	v_cmp_lt_u32_e64 s[2:3], 19, v0
	s_waitcnt vmcnt(0)
	ds_write_b64 v1, v[74:75]
	s_waitcnt lgkmcnt(0)
	; wave barrier
	s_and_saveexec_b64 s[4:5], s[2:3]
	s_cbranch_execz .LBB34_146
; %bb.137:
	s_andn2_b64 vcc, exec, s[6:7]
	s_cbranch_vccnz .LBB34_139
; %bb.138:
	scratch_load_dwordx2 v[74:75], v13, off
	ds_read_b64 v[76:77], v1
	s_waitcnt vmcnt(0) lgkmcnt(0)
	v_mul_f64 v[74:75], v[74:75], v[76:77]
	s_cbranch_execz .LBB34_140
	s_branch .LBB34_141
.LBB34_139:
                                        ; implicit-def: $vgpr74_vgpr75
.LBB34_140:
	ds_read_b64 v[74:75], v1
.LBB34_141:
	s_and_saveexec_b64 s[8:9], s[0:1]
	s_cbranch_execz .LBB34_145
; %bb.142:
	v_subrev_u32_e32 v76, 20, v0
	s_movk_i32 s20, 0x1c0
	s_mov_b64 s[0:1], 0
.LBB34_143:                             ; =>This Inner Loop Header: Depth=1
	scratch_load_dwordx2 v[78:79], off, s19
	v_mov_b32_e32 v77, s20
	ds_read_b64 v[80:81], v77
	v_add_u32_e32 v76, -1, v76
	s_add_i32 s20, s20, 8
	s_add_i32 s19, s19, 8
	v_cmp_eq_u32_e32 vcc, 0, v76
	s_or_b64 s[0:1], vcc, s[0:1]
	s_waitcnt vmcnt(0) lgkmcnt(0)
	v_fmac_f64_e32 v[74:75], v[78:79], v[80:81]
	s_andn2_b64 exec, exec, s[0:1]
	s_cbranch_execnz .LBB34_143
; %bb.144:
	s_or_b64 exec, exec, s[0:1]
.LBB34_145:
	s_or_b64 exec, exec, s[8:9]
	v_mov_b32_e32 v76, 0
	ds_read_b64 v[76:77], v76 offset:152
	s_waitcnt lgkmcnt(0)
	v_mul_f64 v[74:75], v[74:75], v[76:77]
	scratch_store_dwordx2 off, v[74:75], off offset:152
.LBB34_146:
	s_or_b64 exec, exec, s[4:5]
	scratch_load_dwordx2 v[74:75], off, off offset:144
	v_cmp_lt_u32_e64 s[0:1], 18, v0
	s_waitcnt vmcnt(0)
	ds_write_b64 v1, v[74:75]
	s_waitcnt lgkmcnt(0)
	; wave barrier
	s_and_saveexec_b64 s[4:5], s[0:1]
	s_cbranch_execz .LBB34_156
; %bb.147:
	s_andn2_b64 vcc, exec, s[6:7]
	s_cbranch_vccnz .LBB34_149
; %bb.148:
	scratch_load_dwordx2 v[74:75], v13, off
	ds_read_b64 v[76:77], v1
	s_waitcnt vmcnt(0) lgkmcnt(0)
	v_mul_f64 v[74:75], v[74:75], v[76:77]
	s_cbranch_execz .LBB34_150
	s_branch .LBB34_151
.LBB34_149:
                                        ; implicit-def: $vgpr74_vgpr75
.LBB34_150:
	ds_read_b64 v[74:75], v1
.LBB34_151:
	s_and_saveexec_b64 s[8:9], s[2:3]
	s_cbranch_execz .LBB34_155
; %bb.152:
	s_movk_i32 s19, 0x98
	v_subrev_u32_e32 v76, 19, v0
	s_movk_i32 s20, 0x1b8
	s_mov_b64 s[2:3], 0
.LBB34_153:                             ; =>This Inner Loop Header: Depth=1
	scratch_load_dwordx2 v[78:79], off, s19
	v_mov_b32_e32 v77, s20
	ds_read_b64 v[80:81], v77
	v_add_u32_e32 v76, -1, v76
	s_add_i32 s20, s20, 8
	s_add_i32 s19, s19, 8
	v_cmp_eq_u32_e32 vcc, 0, v76
	s_or_b64 s[2:3], vcc, s[2:3]
	s_waitcnt vmcnt(0) lgkmcnt(0)
	v_fmac_f64_e32 v[74:75], v[78:79], v[80:81]
	s_andn2_b64 exec, exec, s[2:3]
	s_cbranch_execnz .LBB34_153
; %bb.154:
	s_or_b64 exec, exec, s[2:3]
.LBB34_155:
	s_or_b64 exec, exec, s[8:9]
	v_mov_b32_e32 v76, 0
	ds_read_b64 v[76:77], v76 offset:144
	s_waitcnt lgkmcnt(0)
	v_mul_f64 v[74:75], v[74:75], v[76:77]
	scratch_store_dwordx2 off, v[74:75], off offset:144
.LBB34_156:
	s_or_b64 exec, exec, s[4:5]
	scratch_load_dwordx2 v[74:75], off, off offset:136
	v_cmp_lt_u32_e64 s[2:3], 17, v0
	s_waitcnt vmcnt(0)
	ds_write_b64 v1, v[74:75]
	s_waitcnt lgkmcnt(0)
	; wave barrier
	s_and_saveexec_b64 s[4:5], s[2:3]
	s_cbranch_execz .LBB34_166
; %bb.157:
	s_andn2_b64 vcc, exec, s[6:7]
	s_cbranch_vccnz .LBB34_159
; %bb.158:
	scratch_load_dwordx2 v[74:75], v13, off
	ds_read_b64 v[76:77], v1
	s_waitcnt vmcnt(0) lgkmcnt(0)
	v_mul_f64 v[74:75], v[74:75], v[76:77]
	s_cbranch_execz .LBB34_160
	s_branch .LBB34_161
.LBB34_159:
                                        ; implicit-def: $vgpr74_vgpr75
.LBB34_160:
	ds_read_b64 v[74:75], v1
.LBB34_161:
	s_and_saveexec_b64 s[8:9], s[0:1]
	s_cbranch_execz .LBB34_165
; %bb.162:
	v_subrev_u32_e32 v76, 18, v0
	s_movk_i32 s19, 0x1b0
	s_mov_b64 s[0:1], 0
.LBB34_163:                             ; =>This Inner Loop Header: Depth=1
	scratch_load_dwordx2 v[78:79], off, s18
	v_mov_b32_e32 v77, s19
	ds_read_b64 v[80:81], v77
	v_add_u32_e32 v76, -1, v76
	s_add_i32 s19, s19, 8
	s_add_i32 s18, s18, 8
	v_cmp_eq_u32_e32 vcc, 0, v76
	s_or_b64 s[0:1], vcc, s[0:1]
	s_waitcnt vmcnt(0) lgkmcnt(0)
	v_fmac_f64_e32 v[74:75], v[78:79], v[80:81]
	s_andn2_b64 exec, exec, s[0:1]
	s_cbranch_execnz .LBB34_163
; %bb.164:
	s_or_b64 exec, exec, s[0:1]
.LBB34_165:
	s_or_b64 exec, exec, s[8:9]
	v_mov_b32_e32 v76, 0
	ds_read_b64 v[76:77], v76 offset:136
	s_waitcnt lgkmcnt(0)
	v_mul_f64 v[74:75], v[74:75], v[76:77]
	scratch_store_dwordx2 off, v[74:75], off offset:136
.LBB34_166:
	s_or_b64 exec, exec, s[4:5]
	scratch_load_dwordx2 v[74:75], off, off offset:128
	v_cmp_lt_u32_e64 s[0:1], 16, v0
	s_waitcnt vmcnt(0)
	ds_write_b64 v1, v[74:75]
	s_waitcnt lgkmcnt(0)
	; wave barrier
	s_and_saveexec_b64 s[4:5], s[0:1]
	s_cbranch_execz .LBB34_176
; %bb.167:
	s_andn2_b64 vcc, exec, s[6:7]
	s_cbranch_vccnz .LBB34_169
; %bb.168:
	scratch_load_dwordx2 v[74:75], v13, off
	ds_read_b64 v[76:77], v1
	s_waitcnt vmcnt(0) lgkmcnt(0)
	v_mul_f64 v[74:75], v[74:75], v[76:77]
	s_cbranch_execz .LBB34_170
	s_branch .LBB34_171
.LBB34_169:
                                        ; implicit-def: $vgpr74_vgpr75
.LBB34_170:
	ds_read_b64 v[74:75], v1
.LBB34_171:
	s_and_saveexec_b64 s[8:9], s[2:3]
	s_cbranch_execz .LBB34_175
; %bb.172:
	s_movk_i32 s18, 0x88
	v_subrev_u32_e32 v76, 17, v0
	s_movk_i32 s19, 0x1a8
	s_mov_b64 s[2:3], 0
.LBB34_173:                             ; =>This Inner Loop Header: Depth=1
	scratch_load_dwordx2 v[78:79], off, s18
	v_mov_b32_e32 v77, s19
	ds_read_b64 v[80:81], v77
	v_add_u32_e32 v76, -1, v76
	s_add_i32 s19, s19, 8
	s_add_i32 s18, s18, 8
	v_cmp_eq_u32_e32 vcc, 0, v76
	s_or_b64 s[2:3], vcc, s[2:3]
	s_waitcnt vmcnt(0) lgkmcnt(0)
	v_fmac_f64_e32 v[74:75], v[78:79], v[80:81]
	s_andn2_b64 exec, exec, s[2:3]
	s_cbranch_execnz .LBB34_173
; %bb.174:
	s_or_b64 exec, exec, s[2:3]
.LBB34_175:
	s_or_b64 exec, exec, s[8:9]
	v_mov_b32_e32 v76, 0
	ds_read_b64 v[76:77], v76 offset:128
	s_waitcnt lgkmcnt(0)
	v_mul_f64 v[74:75], v[74:75], v[76:77]
	scratch_store_dwordx2 off, v[74:75], off offset:128
.LBB34_176:
	s_or_b64 exec, exec, s[4:5]
	scratch_load_dwordx2 v[74:75], off, off offset:120
	v_cmp_lt_u32_e64 s[2:3], 15, v0
	s_waitcnt vmcnt(0)
	ds_write_b64 v1, v[74:75]
	s_waitcnt lgkmcnt(0)
	; wave barrier
	s_and_saveexec_b64 s[4:5], s[2:3]
	s_cbranch_execz .LBB34_186
; %bb.177:
	s_andn2_b64 vcc, exec, s[6:7]
	s_cbranch_vccnz .LBB34_179
; %bb.178:
	scratch_load_dwordx2 v[74:75], v13, off
	ds_read_b64 v[76:77], v1
	s_waitcnt vmcnt(0) lgkmcnt(0)
	v_mul_f64 v[74:75], v[74:75], v[76:77]
	s_cbranch_execz .LBB34_180
	s_branch .LBB34_181
.LBB34_179:
                                        ; implicit-def: $vgpr74_vgpr75
.LBB34_180:
	ds_read_b64 v[74:75], v1
.LBB34_181:
	s_and_saveexec_b64 s[8:9], s[0:1]
	s_cbranch_execz .LBB34_185
; %bb.182:
	v_add_u32_e32 v76, -16, v0
	s_movk_i32 s18, 0x1a0
	s_mov_b64 s[0:1], 0
.LBB34_183:                             ; =>This Inner Loop Header: Depth=1
	scratch_load_dwordx2 v[78:79], off, s17
	v_mov_b32_e32 v77, s18
	ds_read_b64 v[80:81], v77
	v_add_u32_e32 v76, -1, v76
	s_add_i32 s18, s18, 8
	s_add_i32 s17, s17, 8
	v_cmp_eq_u32_e32 vcc, 0, v76
	s_or_b64 s[0:1], vcc, s[0:1]
	s_waitcnt vmcnt(0) lgkmcnt(0)
	v_fmac_f64_e32 v[74:75], v[78:79], v[80:81]
	s_andn2_b64 exec, exec, s[0:1]
	s_cbranch_execnz .LBB34_183
; %bb.184:
	s_or_b64 exec, exec, s[0:1]
.LBB34_185:
	s_or_b64 exec, exec, s[8:9]
	v_mov_b32_e32 v76, 0
	ds_read_b64 v[76:77], v76 offset:120
	s_waitcnt lgkmcnt(0)
	v_mul_f64 v[74:75], v[74:75], v[76:77]
	scratch_store_dwordx2 off, v[74:75], off offset:120
.LBB34_186:
	s_or_b64 exec, exec, s[4:5]
	scratch_load_dwordx2 v[74:75], off, off offset:112
	v_cmp_lt_u32_e64 s[0:1], 14, v0
	s_waitcnt vmcnt(0)
	ds_write_b64 v1, v[74:75]
	s_waitcnt lgkmcnt(0)
	; wave barrier
	s_and_saveexec_b64 s[4:5], s[0:1]
	s_cbranch_execz .LBB34_196
; %bb.187:
	s_andn2_b64 vcc, exec, s[6:7]
	s_cbranch_vccnz .LBB34_189
; %bb.188:
	scratch_load_dwordx2 v[74:75], v13, off
	ds_read_b64 v[76:77], v1
	s_waitcnt vmcnt(0) lgkmcnt(0)
	v_mul_f64 v[74:75], v[74:75], v[76:77]
	s_cbranch_execz .LBB34_190
	s_branch .LBB34_191
.LBB34_189:
                                        ; implicit-def: $vgpr74_vgpr75
.LBB34_190:
	ds_read_b64 v[74:75], v1
.LBB34_191:
	s_and_saveexec_b64 s[8:9], s[2:3]
	s_cbranch_execz .LBB34_195
; %bb.192:
	s_movk_i32 s17, 0x78
	v_add_u32_e32 v76, -15, v0
	s_movk_i32 s18, 0x198
	s_mov_b64 s[2:3], 0
.LBB34_193:                             ; =>This Inner Loop Header: Depth=1
	scratch_load_dwordx2 v[78:79], off, s17
	v_mov_b32_e32 v77, s18
	ds_read_b64 v[80:81], v77
	v_add_u32_e32 v76, -1, v76
	s_add_i32 s18, s18, 8
	s_add_i32 s17, s17, 8
	v_cmp_eq_u32_e32 vcc, 0, v76
	s_or_b64 s[2:3], vcc, s[2:3]
	s_waitcnt vmcnt(0) lgkmcnt(0)
	v_fmac_f64_e32 v[74:75], v[78:79], v[80:81]
	s_andn2_b64 exec, exec, s[2:3]
	s_cbranch_execnz .LBB34_193
; %bb.194:
	s_or_b64 exec, exec, s[2:3]
.LBB34_195:
	s_or_b64 exec, exec, s[8:9]
	v_mov_b32_e32 v76, 0
	ds_read_b64 v[76:77], v76 offset:112
	s_waitcnt lgkmcnt(0)
	v_mul_f64 v[74:75], v[74:75], v[76:77]
	scratch_store_dwordx2 off, v[74:75], off offset:112
.LBB34_196:
	s_or_b64 exec, exec, s[4:5]
	scratch_load_dwordx2 v[74:75], off, off offset:104
	v_cmp_lt_u32_e64 s[2:3], 13, v0
	s_waitcnt vmcnt(0)
	ds_write_b64 v1, v[74:75]
	s_waitcnt lgkmcnt(0)
	; wave barrier
	s_and_saveexec_b64 s[4:5], s[2:3]
	s_cbranch_execz .LBB34_206
; %bb.197:
	s_andn2_b64 vcc, exec, s[6:7]
	s_cbranch_vccnz .LBB34_199
; %bb.198:
	scratch_load_dwordx2 v[74:75], v13, off
	ds_read_b64 v[76:77], v1
	s_waitcnt vmcnt(0) lgkmcnt(0)
	v_mul_f64 v[74:75], v[74:75], v[76:77]
	s_cbranch_execz .LBB34_200
	s_branch .LBB34_201
.LBB34_199:
                                        ; implicit-def: $vgpr74_vgpr75
.LBB34_200:
	ds_read_b64 v[74:75], v1
.LBB34_201:
	s_and_saveexec_b64 s[8:9], s[0:1]
	s_cbranch_execz .LBB34_205
; %bb.202:
	v_add_u32_e32 v76, -14, v0
	s_movk_i32 s17, 0x190
	s_mov_b64 s[0:1], 0
.LBB34_203:                             ; =>This Inner Loop Header: Depth=1
	scratch_load_dwordx2 v[78:79], off, s16
	v_mov_b32_e32 v77, s17
	ds_read_b64 v[80:81], v77
	v_add_u32_e32 v76, -1, v76
	s_add_i32 s17, s17, 8
	s_add_i32 s16, s16, 8
	v_cmp_eq_u32_e32 vcc, 0, v76
	s_or_b64 s[0:1], vcc, s[0:1]
	s_waitcnt vmcnt(0) lgkmcnt(0)
	v_fmac_f64_e32 v[74:75], v[78:79], v[80:81]
	s_andn2_b64 exec, exec, s[0:1]
	s_cbranch_execnz .LBB34_203
; %bb.204:
	s_or_b64 exec, exec, s[0:1]
.LBB34_205:
	s_or_b64 exec, exec, s[8:9]
	v_mov_b32_e32 v76, 0
	ds_read_b64 v[76:77], v76 offset:104
	s_waitcnt lgkmcnt(0)
	v_mul_f64 v[74:75], v[74:75], v[76:77]
	scratch_store_dwordx2 off, v[74:75], off offset:104
.LBB34_206:
	s_or_b64 exec, exec, s[4:5]
	scratch_load_dwordx2 v[74:75], off, off offset:96
	v_cmp_lt_u32_e64 s[0:1], 12, v0
	s_waitcnt vmcnt(0)
	ds_write_b64 v1, v[74:75]
	s_waitcnt lgkmcnt(0)
	; wave barrier
	s_and_saveexec_b64 s[4:5], s[0:1]
	s_cbranch_execz .LBB34_216
; %bb.207:
	s_andn2_b64 vcc, exec, s[6:7]
	s_cbranch_vccnz .LBB34_209
; %bb.208:
	scratch_load_dwordx2 v[74:75], v13, off
	ds_read_b64 v[76:77], v1
	s_waitcnt vmcnt(0) lgkmcnt(0)
	v_mul_f64 v[74:75], v[74:75], v[76:77]
	s_cbranch_execz .LBB34_210
	s_branch .LBB34_211
.LBB34_209:
                                        ; implicit-def: $vgpr74_vgpr75
.LBB34_210:
	ds_read_b64 v[74:75], v1
.LBB34_211:
	s_and_saveexec_b64 s[8:9], s[2:3]
	s_cbranch_execz .LBB34_215
; %bb.212:
	s_movk_i32 s16, 0x68
	v_add_u32_e32 v76, -13, v0
	s_movk_i32 s17, 0x188
	s_mov_b64 s[2:3], 0
.LBB34_213:                             ; =>This Inner Loop Header: Depth=1
	scratch_load_dwordx2 v[78:79], off, s16
	v_mov_b32_e32 v77, s17
	ds_read_b64 v[80:81], v77
	v_add_u32_e32 v76, -1, v76
	s_add_i32 s17, s17, 8
	s_add_i32 s16, s16, 8
	v_cmp_eq_u32_e32 vcc, 0, v76
	s_or_b64 s[2:3], vcc, s[2:3]
	s_waitcnt vmcnt(0) lgkmcnt(0)
	v_fmac_f64_e32 v[74:75], v[78:79], v[80:81]
	s_andn2_b64 exec, exec, s[2:3]
	s_cbranch_execnz .LBB34_213
; %bb.214:
	s_or_b64 exec, exec, s[2:3]
.LBB34_215:
	s_or_b64 exec, exec, s[8:9]
	v_mov_b32_e32 v76, 0
	ds_read_b64 v[76:77], v76 offset:96
	s_waitcnt lgkmcnt(0)
	v_mul_f64 v[74:75], v[74:75], v[76:77]
	scratch_store_dwordx2 off, v[74:75], off offset:96
.LBB34_216:
	s_or_b64 exec, exec, s[4:5]
	scratch_load_dwordx2 v[74:75], off, off offset:88
	v_cmp_lt_u32_e64 s[2:3], 11, v0
	s_waitcnt vmcnt(0)
	ds_write_b64 v1, v[74:75]
	s_waitcnt lgkmcnt(0)
	; wave barrier
	s_and_saveexec_b64 s[4:5], s[2:3]
	s_cbranch_execz .LBB34_226
; %bb.217:
	s_andn2_b64 vcc, exec, s[6:7]
	s_cbranch_vccnz .LBB34_219
; %bb.218:
	scratch_load_dwordx2 v[74:75], v13, off
	ds_read_b64 v[76:77], v1
	s_waitcnt vmcnt(0) lgkmcnt(0)
	v_mul_f64 v[74:75], v[74:75], v[76:77]
	s_cbranch_execz .LBB34_220
	s_branch .LBB34_221
.LBB34_219:
                                        ; implicit-def: $vgpr74_vgpr75
.LBB34_220:
	ds_read_b64 v[74:75], v1
.LBB34_221:
	s_and_saveexec_b64 s[8:9], s[0:1]
	s_cbranch_execz .LBB34_225
; %bb.222:
	v_add_u32_e32 v76, -12, v0
	s_movk_i32 s16, 0x180
	s_mov_b64 s[0:1], 0
.LBB34_223:                             ; =>This Inner Loop Header: Depth=1
	scratch_load_dwordx2 v[78:79], off, s15
	v_mov_b32_e32 v77, s16
	ds_read_b64 v[80:81], v77
	v_add_u32_e32 v76, -1, v76
	s_add_i32 s16, s16, 8
	s_add_i32 s15, s15, 8
	v_cmp_eq_u32_e32 vcc, 0, v76
	s_or_b64 s[0:1], vcc, s[0:1]
	s_waitcnt vmcnt(0) lgkmcnt(0)
	v_fmac_f64_e32 v[74:75], v[78:79], v[80:81]
	s_andn2_b64 exec, exec, s[0:1]
	s_cbranch_execnz .LBB34_223
; %bb.224:
	s_or_b64 exec, exec, s[0:1]
.LBB34_225:
	s_or_b64 exec, exec, s[8:9]
	v_mov_b32_e32 v76, 0
	ds_read_b64 v[76:77], v76 offset:88
	s_waitcnt lgkmcnt(0)
	v_mul_f64 v[74:75], v[74:75], v[76:77]
	scratch_store_dwordx2 off, v[74:75], off offset:88
.LBB34_226:
	s_or_b64 exec, exec, s[4:5]
	scratch_load_dwordx2 v[74:75], off, off offset:80
	v_cmp_lt_u32_e64 s[0:1], 10, v0
	s_waitcnt vmcnt(0)
	ds_write_b64 v1, v[74:75]
	s_waitcnt lgkmcnt(0)
	; wave barrier
	s_and_saveexec_b64 s[4:5], s[0:1]
	s_cbranch_execz .LBB34_236
; %bb.227:
	s_andn2_b64 vcc, exec, s[6:7]
	s_cbranch_vccnz .LBB34_229
; %bb.228:
	scratch_load_dwordx2 v[74:75], v13, off
	ds_read_b64 v[76:77], v1
	s_waitcnt vmcnt(0) lgkmcnt(0)
	v_mul_f64 v[74:75], v[74:75], v[76:77]
	s_cbranch_execz .LBB34_230
	s_branch .LBB34_231
.LBB34_229:
                                        ; implicit-def: $vgpr74_vgpr75
.LBB34_230:
	ds_read_b64 v[74:75], v1
.LBB34_231:
	s_and_saveexec_b64 s[8:9], s[2:3]
	s_cbranch_execz .LBB34_235
; %bb.232:
	s_movk_i32 s15, 0x58
	v_add_u32_e32 v76, -11, v0
	s_movk_i32 s16, 0x178
	s_mov_b64 s[2:3], 0
.LBB34_233:                             ; =>This Inner Loop Header: Depth=1
	scratch_load_dwordx2 v[78:79], off, s15
	v_mov_b32_e32 v77, s16
	ds_read_b64 v[80:81], v77
	v_add_u32_e32 v76, -1, v76
	s_add_i32 s16, s16, 8
	s_add_i32 s15, s15, 8
	v_cmp_eq_u32_e32 vcc, 0, v76
	s_or_b64 s[2:3], vcc, s[2:3]
	s_waitcnt vmcnt(0) lgkmcnt(0)
	v_fmac_f64_e32 v[74:75], v[78:79], v[80:81]
	s_andn2_b64 exec, exec, s[2:3]
	s_cbranch_execnz .LBB34_233
; %bb.234:
	s_or_b64 exec, exec, s[2:3]
.LBB34_235:
	s_or_b64 exec, exec, s[8:9]
	v_mov_b32_e32 v76, 0
	ds_read_b64 v[76:77], v76 offset:80
	s_waitcnt lgkmcnt(0)
	v_mul_f64 v[74:75], v[74:75], v[76:77]
	scratch_store_dwordx2 off, v[74:75], off offset:80
.LBB34_236:
	s_or_b64 exec, exec, s[4:5]
	scratch_load_dwordx2 v[74:75], off, off offset:72
	v_cmp_lt_u32_e64 s[2:3], 9, v0
	s_waitcnt vmcnt(0)
	ds_write_b64 v1, v[74:75]
	s_waitcnt lgkmcnt(0)
	; wave barrier
	s_and_saveexec_b64 s[4:5], s[2:3]
	s_cbranch_execz .LBB34_246
; %bb.237:
	s_andn2_b64 vcc, exec, s[6:7]
	s_cbranch_vccnz .LBB34_239
; %bb.238:
	scratch_load_dwordx2 v[74:75], v13, off
	ds_read_b64 v[76:77], v1
	s_waitcnt vmcnt(0) lgkmcnt(0)
	v_mul_f64 v[74:75], v[74:75], v[76:77]
	s_cbranch_execz .LBB34_240
	s_branch .LBB34_241
.LBB34_239:
                                        ; implicit-def: $vgpr74_vgpr75
.LBB34_240:
	ds_read_b64 v[74:75], v1
.LBB34_241:
	s_and_saveexec_b64 s[8:9], s[0:1]
	s_cbranch_execz .LBB34_245
; %bb.242:
	v_add_u32_e32 v76, -10, v0
	s_movk_i32 s15, 0x170
	s_mov_b64 s[0:1], 0
.LBB34_243:                             ; =>This Inner Loop Header: Depth=1
	scratch_load_dwordx2 v[78:79], off, s14
	v_mov_b32_e32 v77, s15
	ds_read_b64 v[80:81], v77
	v_add_u32_e32 v76, -1, v76
	s_add_i32 s15, s15, 8
	s_add_i32 s14, s14, 8
	v_cmp_eq_u32_e32 vcc, 0, v76
	s_or_b64 s[0:1], vcc, s[0:1]
	s_waitcnt vmcnt(0) lgkmcnt(0)
	v_fmac_f64_e32 v[74:75], v[78:79], v[80:81]
	s_andn2_b64 exec, exec, s[0:1]
	s_cbranch_execnz .LBB34_243
; %bb.244:
	s_or_b64 exec, exec, s[0:1]
.LBB34_245:
	s_or_b64 exec, exec, s[8:9]
	v_mov_b32_e32 v76, 0
	ds_read_b64 v[76:77], v76 offset:72
	s_waitcnt lgkmcnt(0)
	v_mul_f64 v[74:75], v[74:75], v[76:77]
	scratch_store_dwordx2 off, v[74:75], off offset:72
.LBB34_246:
	s_or_b64 exec, exec, s[4:5]
	scratch_load_dwordx2 v[74:75], off, off offset:64
	v_cmp_lt_u32_e64 s[0:1], 8, v0
	s_waitcnt vmcnt(0)
	ds_write_b64 v1, v[74:75]
	s_waitcnt lgkmcnt(0)
	; wave barrier
	s_and_saveexec_b64 s[4:5], s[0:1]
	s_cbranch_execz .LBB34_256
; %bb.247:
	s_andn2_b64 vcc, exec, s[6:7]
	s_cbranch_vccnz .LBB34_249
; %bb.248:
	scratch_load_dwordx2 v[74:75], v13, off
	ds_read_b64 v[76:77], v1
	s_waitcnt vmcnt(0) lgkmcnt(0)
	v_mul_f64 v[74:75], v[74:75], v[76:77]
	s_cbranch_execz .LBB34_250
	s_branch .LBB34_251
.LBB34_249:
                                        ; implicit-def: $vgpr74_vgpr75
.LBB34_250:
	ds_read_b64 v[74:75], v1
.LBB34_251:
	s_and_saveexec_b64 s[8:9], s[2:3]
	s_cbranch_execz .LBB34_255
; %bb.252:
	s_movk_i32 s14, 0x48
	v_add_u32_e32 v76, -9, v0
	s_movk_i32 s15, 0x168
	s_mov_b64 s[2:3], 0
.LBB34_253:                             ; =>This Inner Loop Header: Depth=1
	scratch_load_dwordx2 v[78:79], off, s14
	v_mov_b32_e32 v77, s15
	ds_read_b64 v[80:81], v77
	v_add_u32_e32 v76, -1, v76
	s_add_i32 s15, s15, 8
	s_add_i32 s14, s14, 8
	v_cmp_eq_u32_e32 vcc, 0, v76
	s_or_b64 s[2:3], vcc, s[2:3]
	s_waitcnt vmcnt(0) lgkmcnt(0)
	v_fmac_f64_e32 v[74:75], v[78:79], v[80:81]
	s_andn2_b64 exec, exec, s[2:3]
	s_cbranch_execnz .LBB34_253
; %bb.254:
	s_or_b64 exec, exec, s[2:3]
.LBB34_255:
	s_or_b64 exec, exec, s[8:9]
	v_mov_b32_e32 v76, 0
	ds_read_b64 v[76:77], v76 offset:64
	s_waitcnt lgkmcnt(0)
	v_mul_f64 v[74:75], v[74:75], v[76:77]
	scratch_store_dwordx2 off, v[74:75], off offset:64
.LBB34_256:
	s_or_b64 exec, exec, s[4:5]
	scratch_load_dwordx2 v[74:75], off, off offset:56
	v_cmp_lt_u32_e64 s[2:3], 7, v0
	s_waitcnt vmcnt(0)
	ds_write_b64 v1, v[74:75]
	s_waitcnt lgkmcnt(0)
	; wave barrier
	s_and_saveexec_b64 s[4:5], s[2:3]
	s_cbranch_execz .LBB34_266
; %bb.257:
	s_andn2_b64 vcc, exec, s[6:7]
	s_cbranch_vccnz .LBB34_259
; %bb.258:
	scratch_load_dwordx2 v[74:75], v13, off
	ds_read_b64 v[76:77], v1
	s_waitcnt vmcnt(0) lgkmcnt(0)
	v_mul_f64 v[74:75], v[74:75], v[76:77]
	s_cbranch_execz .LBB34_260
	s_branch .LBB34_261
.LBB34_259:
                                        ; implicit-def: $vgpr74_vgpr75
.LBB34_260:
	ds_read_b64 v[74:75], v1
.LBB34_261:
	s_and_saveexec_b64 s[8:9], s[0:1]
	s_cbranch_execz .LBB34_265
; %bb.262:
	v_add_u32_e32 v76, -8, v0
	s_movk_i32 s14, 0x160
	s_mov_b64 s[0:1], 0
.LBB34_263:                             ; =>This Inner Loop Header: Depth=1
	scratch_load_dwordx2 v[78:79], off, s13
	v_mov_b32_e32 v77, s14
	ds_read_b64 v[80:81], v77
	v_add_u32_e32 v76, -1, v76
	s_add_i32 s14, s14, 8
	s_add_i32 s13, s13, 8
	v_cmp_eq_u32_e32 vcc, 0, v76
	s_or_b64 s[0:1], vcc, s[0:1]
	s_waitcnt vmcnt(0) lgkmcnt(0)
	v_fmac_f64_e32 v[74:75], v[78:79], v[80:81]
	s_andn2_b64 exec, exec, s[0:1]
	s_cbranch_execnz .LBB34_263
; %bb.264:
	s_or_b64 exec, exec, s[0:1]
.LBB34_265:
	s_or_b64 exec, exec, s[8:9]
	v_mov_b32_e32 v76, 0
	ds_read_b64 v[76:77], v76 offset:56
	s_waitcnt lgkmcnt(0)
	v_mul_f64 v[74:75], v[74:75], v[76:77]
	scratch_store_dwordx2 off, v[74:75], off offset:56
.LBB34_266:
	s_or_b64 exec, exec, s[4:5]
	scratch_load_dwordx2 v[74:75], off, off offset:48
	v_cmp_lt_u32_e64 s[0:1], 6, v0
	s_waitcnt vmcnt(0)
	ds_write_b64 v1, v[74:75]
	s_waitcnt lgkmcnt(0)
	; wave barrier
	s_and_saveexec_b64 s[4:5], s[0:1]
	s_cbranch_execz .LBB34_276
; %bb.267:
	s_andn2_b64 vcc, exec, s[6:7]
	s_cbranch_vccnz .LBB34_269
; %bb.268:
	scratch_load_dwordx2 v[74:75], v13, off
	ds_read_b64 v[76:77], v1
	s_waitcnt vmcnt(0) lgkmcnt(0)
	v_mul_f64 v[74:75], v[74:75], v[76:77]
	s_cbranch_execz .LBB34_270
	s_branch .LBB34_271
.LBB34_269:
                                        ; implicit-def: $vgpr74_vgpr75
.LBB34_270:
	ds_read_b64 v[74:75], v1
.LBB34_271:
	s_and_saveexec_b64 s[8:9], s[2:3]
	s_cbranch_execz .LBB34_275
; %bb.272:
	s_mov_b32 s13, 56
	v_add_u32_e32 v76, -7, v0
	s_movk_i32 s14, 0x158
	s_mov_b64 s[2:3], 0
.LBB34_273:                             ; =>This Inner Loop Header: Depth=1
	scratch_load_dwordx2 v[78:79], off, s13
	v_mov_b32_e32 v77, s14
	ds_read_b64 v[80:81], v77
	v_add_u32_e32 v76, -1, v76
	s_add_i32 s14, s14, 8
	s_add_i32 s13, s13, 8
	v_cmp_eq_u32_e32 vcc, 0, v76
	s_or_b64 s[2:3], vcc, s[2:3]
	s_waitcnt vmcnt(0) lgkmcnt(0)
	v_fmac_f64_e32 v[74:75], v[78:79], v[80:81]
	s_andn2_b64 exec, exec, s[2:3]
	s_cbranch_execnz .LBB34_273
; %bb.274:
	s_or_b64 exec, exec, s[2:3]
.LBB34_275:
	s_or_b64 exec, exec, s[8:9]
	v_mov_b32_e32 v76, 0
	ds_read_b64 v[76:77], v76 offset:48
	s_waitcnt lgkmcnt(0)
	v_mul_f64 v[74:75], v[74:75], v[76:77]
	scratch_store_dwordx2 off, v[74:75], off offset:48
.LBB34_276:
	s_or_b64 exec, exec, s[4:5]
	scratch_load_dwordx2 v[74:75], off, off offset:40
	v_cmp_lt_u32_e64 s[2:3], 5, v0
	s_waitcnt vmcnt(0)
	ds_write_b64 v1, v[74:75]
	s_waitcnt lgkmcnt(0)
	; wave barrier
	s_and_saveexec_b64 s[4:5], s[2:3]
	s_cbranch_execz .LBB34_286
; %bb.277:
	s_andn2_b64 vcc, exec, s[6:7]
	s_cbranch_vccnz .LBB34_279
; %bb.278:
	scratch_load_dwordx2 v[74:75], v13, off
	ds_read_b64 v[76:77], v1
	s_waitcnt vmcnt(0) lgkmcnt(0)
	v_mul_f64 v[74:75], v[74:75], v[76:77]
	s_cbranch_execz .LBB34_280
	s_branch .LBB34_281
.LBB34_279:
                                        ; implicit-def: $vgpr74_vgpr75
.LBB34_280:
	ds_read_b64 v[74:75], v1
.LBB34_281:
	s_and_saveexec_b64 s[8:9], s[0:1]
	s_cbranch_execz .LBB34_285
; %bb.282:
	v_add_u32_e32 v76, -6, v0
	s_movk_i32 s13, 0x150
	s_mov_b64 s[0:1], 0
.LBB34_283:                             ; =>This Inner Loop Header: Depth=1
	scratch_load_dwordx2 v[78:79], off, s12
	v_mov_b32_e32 v77, s13
	ds_read_b64 v[80:81], v77
	v_add_u32_e32 v76, -1, v76
	s_add_i32 s13, s13, 8
	s_add_i32 s12, s12, 8
	v_cmp_eq_u32_e32 vcc, 0, v76
	s_or_b64 s[0:1], vcc, s[0:1]
	s_waitcnt vmcnt(0) lgkmcnt(0)
	v_fmac_f64_e32 v[74:75], v[78:79], v[80:81]
	s_andn2_b64 exec, exec, s[0:1]
	s_cbranch_execnz .LBB34_283
; %bb.284:
	s_or_b64 exec, exec, s[0:1]
.LBB34_285:
	s_or_b64 exec, exec, s[8:9]
	v_mov_b32_e32 v76, 0
	ds_read_b64 v[76:77], v76 offset:40
	s_waitcnt lgkmcnt(0)
	v_mul_f64 v[74:75], v[74:75], v[76:77]
	scratch_store_dwordx2 off, v[74:75], off offset:40
.LBB34_286:
	s_or_b64 exec, exec, s[4:5]
	scratch_load_dwordx2 v[74:75], off, off offset:32
	v_cmp_lt_u32_e64 s[0:1], 4, v0
	s_waitcnt vmcnt(0)
	ds_write_b64 v1, v[74:75]
	s_waitcnt lgkmcnt(0)
	; wave barrier
	s_and_saveexec_b64 s[4:5], s[0:1]
	s_cbranch_execz .LBB34_296
; %bb.287:
	s_andn2_b64 vcc, exec, s[6:7]
	s_cbranch_vccnz .LBB34_289
; %bb.288:
	scratch_load_dwordx2 v[74:75], v13, off
	ds_read_b64 v[76:77], v1
	s_waitcnt vmcnt(0) lgkmcnt(0)
	v_mul_f64 v[74:75], v[74:75], v[76:77]
	s_cbranch_execz .LBB34_290
	s_branch .LBB34_291
.LBB34_289:
                                        ; implicit-def: $vgpr74_vgpr75
.LBB34_290:
	ds_read_b64 v[74:75], v1
.LBB34_291:
	s_and_saveexec_b64 s[8:9], s[2:3]
	s_cbranch_execz .LBB34_295
; %bb.292:
	s_mov_b32 s12, 40
	v_add_u32_e32 v76, -5, v0
	s_movk_i32 s13, 0x148
	s_mov_b64 s[2:3], 0
.LBB34_293:                             ; =>This Inner Loop Header: Depth=1
	scratch_load_dwordx2 v[78:79], off, s12
	v_mov_b32_e32 v77, s13
	ds_read_b64 v[80:81], v77
	v_add_u32_e32 v76, -1, v76
	s_add_i32 s13, s13, 8
	s_add_i32 s12, s12, 8
	v_cmp_eq_u32_e32 vcc, 0, v76
	s_or_b64 s[2:3], vcc, s[2:3]
	s_waitcnt vmcnt(0) lgkmcnt(0)
	v_fmac_f64_e32 v[74:75], v[78:79], v[80:81]
	s_andn2_b64 exec, exec, s[2:3]
	s_cbranch_execnz .LBB34_293
; %bb.294:
	s_or_b64 exec, exec, s[2:3]
.LBB34_295:
	s_or_b64 exec, exec, s[8:9]
	v_mov_b32_e32 v76, 0
	ds_read_b64 v[76:77], v76 offset:32
	s_waitcnt lgkmcnt(0)
	v_mul_f64 v[74:75], v[74:75], v[76:77]
	scratch_store_dwordx2 off, v[74:75], off offset:32
.LBB34_296:
	s_or_b64 exec, exec, s[4:5]
	scratch_load_dwordx2 v[74:75], off, off offset:24
	v_cmp_lt_u32_e64 s[2:3], 3, v0
	s_waitcnt vmcnt(0)
	ds_write_b64 v1, v[74:75]
	s_waitcnt lgkmcnt(0)
	; wave barrier
	s_and_saveexec_b64 s[4:5], s[2:3]
	s_cbranch_execz .LBB34_306
; %bb.297:
	s_andn2_b64 vcc, exec, s[6:7]
	s_cbranch_vccnz .LBB34_299
; %bb.298:
	scratch_load_dwordx2 v[74:75], v13, off
	ds_read_b64 v[76:77], v1
	s_waitcnt vmcnt(0) lgkmcnt(0)
	v_mul_f64 v[74:75], v[74:75], v[76:77]
	s_cbranch_execz .LBB34_300
	s_branch .LBB34_301
.LBB34_299:
                                        ; implicit-def: $vgpr74_vgpr75
.LBB34_300:
	ds_read_b64 v[74:75], v1
.LBB34_301:
	s_and_saveexec_b64 s[8:9], s[0:1]
	s_cbranch_execz .LBB34_305
; %bb.302:
	v_add_u32_e32 v76, -4, v0
	s_movk_i32 s12, 0x140
	s_mov_b64 s[0:1], 0
.LBB34_303:                             ; =>This Inner Loop Header: Depth=1
	scratch_load_dwordx2 v[78:79], off, s11
	v_mov_b32_e32 v77, s12
	ds_read_b64 v[80:81], v77
	v_add_u32_e32 v76, -1, v76
	s_add_i32 s12, s12, 8
	s_add_i32 s11, s11, 8
	v_cmp_eq_u32_e32 vcc, 0, v76
	s_or_b64 s[0:1], vcc, s[0:1]
	s_waitcnt vmcnt(0) lgkmcnt(0)
	v_fmac_f64_e32 v[74:75], v[78:79], v[80:81]
	s_andn2_b64 exec, exec, s[0:1]
	s_cbranch_execnz .LBB34_303
; %bb.304:
	s_or_b64 exec, exec, s[0:1]
.LBB34_305:
	s_or_b64 exec, exec, s[8:9]
	v_mov_b32_e32 v76, 0
	ds_read_b64 v[76:77], v76 offset:24
	s_waitcnt lgkmcnt(0)
	v_mul_f64 v[74:75], v[74:75], v[76:77]
	scratch_store_dwordx2 off, v[74:75], off offset:24
.LBB34_306:
	s_or_b64 exec, exec, s[4:5]
	scratch_load_dwordx2 v[74:75], off, off offset:16
	v_cmp_lt_u32_e64 s[0:1], 2, v0
	s_waitcnt vmcnt(0)
	ds_write_b64 v1, v[74:75]
	s_waitcnt lgkmcnt(0)
	; wave barrier
	s_and_saveexec_b64 s[4:5], s[0:1]
	s_cbranch_execz .LBB34_316
; %bb.307:
	s_andn2_b64 vcc, exec, s[6:7]
	s_cbranch_vccnz .LBB34_309
; %bb.308:
	scratch_load_dwordx2 v[74:75], v13, off
	ds_read_b64 v[76:77], v1
	s_waitcnt vmcnt(0) lgkmcnt(0)
	v_mul_f64 v[74:75], v[74:75], v[76:77]
	s_cbranch_execz .LBB34_310
	s_branch .LBB34_311
.LBB34_309:
                                        ; implicit-def: $vgpr74_vgpr75
.LBB34_310:
	ds_read_b64 v[74:75], v1
.LBB34_311:
	s_and_saveexec_b64 s[8:9], s[2:3]
	s_cbranch_execz .LBB34_315
; %bb.312:
	s_mov_b32 s11, 24
	v_add_u32_e32 v76, -3, v0
	s_movk_i32 s12, 0x138
	s_mov_b64 s[2:3], 0
.LBB34_313:                             ; =>This Inner Loop Header: Depth=1
	scratch_load_dwordx2 v[78:79], off, s11
	v_mov_b32_e32 v77, s12
	ds_read_b64 v[80:81], v77
	v_add_u32_e32 v76, -1, v76
	s_add_i32 s12, s12, 8
	s_add_i32 s11, s11, 8
	v_cmp_eq_u32_e32 vcc, 0, v76
	s_or_b64 s[2:3], vcc, s[2:3]
	s_waitcnt vmcnt(0) lgkmcnt(0)
	v_fmac_f64_e32 v[74:75], v[78:79], v[80:81]
	s_andn2_b64 exec, exec, s[2:3]
	s_cbranch_execnz .LBB34_313
; %bb.314:
	s_or_b64 exec, exec, s[2:3]
.LBB34_315:
	s_or_b64 exec, exec, s[8:9]
	v_mov_b32_e32 v76, 0
	ds_read_b64 v[76:77], v76 offset:16
	s_waitcnt lgkmcnt(0)
	v_mul_f64 v[74:75], v[74:75], v[76:77]
	scratch_store_dwordx2 off, v[74:75], off offset:16
.LBB34_316:
	s_or_b64 exec, exec, s[4:5]
	scratch_load_dwordx2 v[74:75], off, off offset:8
	v_cmp_lt_u32_e64 s[2:3], 1, v0
	s_waitcnt vmcnt(0)
	ds_write_b64 v1, v[74:75]
	s_waitcnt lgkmcnt(0)
	; wave barrier
	s_and_saveexec_b64 s[4:5], s[2:3]
	s_cbranch_execz .LBB34_326
; %bb.317:
	s_andn2_b64 vcc, exec, s[6:7]
	s_cbranch_vccnz .LBB34_319
; %bb.318:
	scratch_load_dwordx2 v[74:75], v13, off
	ds_read_b64 v[76:77], v1
	s_waitcnt vmcnt(0) lgkmcnt(0)
	v_mul_f64 v[74:75], v[74:75], v[76:77]
	s_cbranch_execz .LBB34_320
	s_branch .LBB34_321
.LBB34_319:
                                        ; implicit-def: $vgpr74_vgpr75
.LBB34_320:
	ds_read_b64 v[74:75], v1
.LBB34_321:
	s_and_saveexec_b64 s[8:9], s[0:1]
	s_cbranch_execz .LBB34_325
; %bb.322:
	v_add_u32_e32 v76, -2, v0
	s_movk_i32 s11, 0x130
	s_mov_b64 s[0:1], 0
.LBB34_323:                             ; =>This Inner Loop Header: Depth=1
	scratch_load_dwordx2 v[78:79], off, s10
	v_mov_b32_e32 v77, s11
	ds_read_b64 v[80:81], v77
	v_add_u32_e32 v76, -1, v76
	s_add_i32 s11, s11, 8
	s_add_i32 s10, s10, 8
	v_cmp_eq_u32_e32 vcc, 0, v76
	s_or_b64 s[0:1], vcc, s[0:1]
	s_waitcnt vmcnt(0) lgkmcnt(0)
	v_fmac_f64_e32 v[74:75], v[78:79], v[80:81]
	s_andn2_b64 exec, exec, s[0:1]
	s_cbranch_execnz .LBB34_323
; %bb.324:
	s_or_b64 exec, exec, s[0:1]
.LBB34_325:
	s_or_b64 exec, exec, s[8:9]
	v_mov_b32_e32 v76, 0
	ds_read_b64 v[76:77], v76 offset:8
	s_waitcnt lgkmcnt(0)
	v_mul_f64 v[74:75], v[74:75], v[76:77]
	scratch_store_dwordx2 off, v[74:75], off offset:8
.LBB34_326:
	s_or_b64 exec, exec, s[4:5]
	scratch_load_dwordx2 v[74:75], off, off
	v_cmp_ne_u32_e32 vcc, 0, v0
	s_waitcnt vmcnt(0)
	ds_write_b64 v1, v[74:75]
	s_waitcnt lgkmcnt(0)
	; wave barrier
	s_and_saveexec_b64 s[0:1], vcc
	s_cbranch_execz .LBB34_336
; %bb.327:
	s_andn2_b64 vcc, exec, s[6:7]
	s_cbranch_vccnz .LBB34_329
; %bb.328:
	scratch_load_dwordx2 v[74:75], v13, off
	ds_read_b64 v[76:77], v1
	s_waitcnt vmcnt(0) lgkmcnt(0)
	v_mul_f64 v[74:75], v[74:75], v[76:77]
	s_cbranch_execz .LBB34_330
	s_branch .LBB34_331
.LBB34_329:
                                        ; implicit-def: $vgpr74_vgpr75
.LBB34_330:
	ds_read_b64 v[74:75], v1
.LBB34_331:
	s_and_saveexec_b64 s[4:5], s[2:3]
	s_cbranch_execz .LBB34_335
; %bb.332:
	s_or_b32 s8, 0, 8
	v_add_u32_e32 v76, -1, v0
	s_movk_i32 s9, 0x128
	s_mov_b64 s[2:3], 0
.LBB34_333:                             ; =>This Inner Loop Header: Depth=1
	scratch_load_dwordx2 v[78:79], off, s8
	v_mov_b32_e32 v77, s9
	ds_read_b64 v[80:81], v77
	v_add_u32_e32 v76, -1, v76
	s_add_i32 s9, s9, 8
	s_add_i32 s8, s8, 8
	v_cmp_eq_u32_e32 vcc, 0, v76
	s_or_b64 s[2:3], vcc, s[2:3]
	s_waitcnt vmcnt(0) lgkmcnt(0)
	v_fmac_f64_e32 v[74:75], v[78:79], v[80:81]
	s_andn2_b64 exec, exec, s[2:3]
	s_cbranch_execnz .LBB34_333
; %bb.334:
	s_or_b64 exec, exec, s[2:3]
.LBB34_335:
	s_or_b64 exec, exec, s[4:5]
	v_mov_b32_e32 v76, 0
	ds_read_b64 v[76:77], v76
	s_waitcnt lgkmcnt(0)
	v_mul_f64 v[74:75], v[74:75], v[76:77]
	scratch_store_dwordx2 off, v[74:75], off
.LBB34_336:
	s_or_b64 exec, exec, s[0:1]
	s_mov_b64 s[0:1], 0
.LBB34_337:
	s_and_b64 vcc, exec, s[0:1]
	s_cbranch_vccz .LBB34_669
; %bb.338:
	scratch_load_dwordx2 v[74:75], off, off offset:8
	v_cmp_eq_u32_e64 s[2:3], 0, v0
	s_waitcnt vmcnt(0)
	ds_write_b64 v1, v[74:75]
	s_waitcnt lgkmcnt(0)
	; wave barrier
	s_and_saveexec_b64 s[0:1], s[2:3]
	s_cbranch_execz .LBB34_344
; %bb.339:
	s_and_b64 vcc, exec, s[6:7]
	s_cbranch_vccz .LBB34_341
; %bb.340:
	scratch_load_dwordx2 v[74:75], v13, off
	ds_read_b64 v[76:77], v1
	s_waitcnt vmcnt(0) lgkmcnt(0)
	v_mul_f64 v[74:75], v[74:75], v[76:77]
	s_cbranch_execz .LBB34_342
	s_branch .LBB34_343
.LBB34_341:
                                        ; implicit-def: $vgpr74_vgpr75
.LBB34_342:
	ds_read_b64 v[74:75], v1
.LBB34_343:
	v_mov_b32_e32 v76, 0
	ds_read_b64 v[76:77], v76 offset:8
	s_waitcnt lgkmcnt(0)
	v_mul_f64 v[74:75], v[74:75], v[76:77]
	scratch_store_dwordx2 off, v[74:75], off offset:8
.LBB34_344:
	s_or_b64 exec, exec, s[0:1]
	scratch_load_dwordx2 v[74:75], off, off offset:16
	v_cndmask_b32_e64 v76, 0, 1, s[6:7]
	v_cmp_gt_u32_e32 vcc, 2, v0
	v_cmp_ne_u32_e64 s[0:1], 1, v76
	s_waitcnt vmcnt(0)
	ds_write_b64 v1, v[74:75]
	s_waitcnt lgkmcnt(0)
	; wave barrier
	s_and_saveexec_b64 s[4:5], vcc
	s_cbranch_execz .LBB34_350
; %bb.345:
	s_and_b64 vcc, exec, s[0:1]
	s_cbranch_vccnz .LBB34_347
; %bb.346:
	scratch_load_dwordx2 v[74:75], v13, off
	ds_read_b64 v[76:77], v1
	s_waitcnt vmcnt(0) lgkmcnt(0)
	v_mul_f64 v[74:75], v[74:75], v[76:77]
	s_cbranch_execz .LBB34_348
	s_branch .LBB34_349
.LBB34_347:
                                        ; implicit-def: $vgpr74_vgpr75
.LBB34_348:
	ds_read_b64 v[74:75], v1
.LBB34_349:
	scratch_load_dwordx2 v[80:81], off, off offset:8
	v_mov_b32_e32 v76, 0
	ds_read2_b64 v[76:79], v76 offset0:2 offset1:37
	s_waitcnt vmcnt(0) lgkmcnt(0)
	v_fma_f64 v[78:79], v[80:81], v[78:79], v[74:75]
	v_cndmask_b32_e64 v75, v75, v79, s[2:3]
	v_cndmask_b32_e64 v74, v74, v78, s[2:3]
	v_mul_f64 v[74:75], v[74:75], v[76:77]
	scratch_store_dwordx2 off, v[74:75], off offset:16
.LBB34_350:
	s_or_b64 exec, exec, s[4:5]
	scratch_load_dwordx2 v[74:75], off, off offset:24
	v_cmp_gt_u32_e32 vcc, 3, v0
	s_waitcnt vmcnt(0)
	ds_write_b64 v1, v[74:75]
	s_waitcnt lgkmcnt(0)
	; wave barrier
	s_and_saveexec_b64 s[4:5], vcc
	s_cbranch_execz .LBB34_358
; %bb.351:
	s_and_b64 vcc, exec, s[0:1]
	s_cbranch_vccnz .LBB34_353
; %bb.352:
	scratch_load_dwordx2 v[74:75], v13, off
	ds_read_b64 v[76:77], v1
	s_waitcnt vmcnt(0) lgkmcnt(0)
	v_mul_f64 v[74:75], v[74:75], v[76:77]
	s_cbranch_execz .LBB34_354
	s_branch .LBB34_355
.LBB34_353:
                                        ; implicit-def: $vgpr74_vgpr75
.LBB34_354:
	ds_read_b64 v[74:75], v1
.LBB34_355:
	v_cmp_ne_u32_e32 vcc, 2, v0
	s_and_saveexec_b64 s[6:7], vcc
	s_cbranch_execz .LBB34_357
; %bb.356:
	scratch_load_dwordx2 v[76:77], v13, off offset:8
	scratch_load_dwordx2 v[78:79], off, off offset:16
	ds_read_b64 v[80:81], v1 offset:8
	v_mov_b32_e32 v82, 0
	ds_read_b64 v[82:83], v82 offset:304
	s_waitcnt vmcnt(1) lgkmcnt(1)
	v_fmac_f64_e32 v[74:75], v[76:77], v[80:81]
	s_waitcnt vmcnt(0) lgkmcnt(0)
	v_fma_f64 v[76:77], v[78:79], v[82:83], v[74:75]
	v_cndmask_b32_e64 v75, v75, v77, s[2:3]
	v_cndmask_b32_e64 v74, v74, v76, s[2:3]
.LBB34_357:
	s_or_b64 exec, exec, s[6:7]
	v_mov_b32_e32 v76, 0
	ds_read_b64 v[76:77], v76 offset:24
	s_waitcnt lgkmcnt(0)
	v_mul_f64 v[74:75], v[74:75], v[76:77]
	scratch_store_dwordx2 off, v[74:75], off offset:24
.LBB34_358:
	s_or_b64 exec, exec, s[4:5]
	scratch_load_dwordx2 v[74:75], off, off offset:32
	v_cmp_gt_u32_e32 vcc, 4, v0
	s_waitcnt vmcnt(0)
	ds_write_b64 v1, v[74:75]
	s_waitcnt lgkmcnt(0)
	; wave barrier
	s_and_saveexec_b64 s[2:3], vcc
	s_cbranch_execz .LBB34_368
; %bb.359:
	s_and_b64 vcc, exec, s[0:1]
	s_cbranch_vccnz .LBB34_361
; %bb.360:
	scratch_load_dwordx2 v[74:75], v13, off
	ds_read_b64 v[76:77], v1
	s_waitcnt vmcnt(0) lgkmcnt(0)
	v_mul_f64 v[74:75], v[74:75], v[76:77]
	s_cbranch_execz .LBB34_362
	s_branch .LBB34_363
.LBB34_361:
                                        ; implicit-def: $vgpr74_vgpr75
.LBB34_362:
	ds_read_b64 v[74:75], v1
.LBB34_363:
	v_cmp_ne_u32_e32 vcc, 3, v0
	s_and_saveexec_b64 s[4:5], vcc
	s_cbranch_execz .LBB34_367
; %bb.364:
	s_mov_b32 s6, 0
	v_add_u32_e32 v76, 0x128, v12
	v_add3_u32 v77, v12, s6, 8
	s_mov_b64 s[6:7], 0
	v_mov_b32_e32 v78, v0
.LBB34_365:                             ; =>This Inner Loop Header: Depth=1
	scratch_load_dwordx2 v[80:81], v77, off
	ds_read_b64 v[82:83], v76
	v_add_u32_e32 v78, 1, v78
	v_cmp_lt_u32_e32 vcc, 2, v78
	v_add_u32_e32 v76, 8, v76
	v_add_u32_e32 v77, 8, v77
	s_or_b64 s[6:7], vcc, s[6:7]
	s_waitcnt vmcnt(0) lgkmcnt(0)
	v_fmac_f64_e32 v[74:75], v[80:81], v[82:83]
	s_andn2_b64 exec, exec, s[6:7]
	s_cbranch_execnz .LBB34_365
; %bb.366:
	s_or_b64 exec, exec, s[6:7]
.LBB34_367:
	s_or_b64 exec, exec, s[4:5]
	v_mov_b32_e32 v76, 0
	ds_read_b64 v[76:77], v76 offset:32
	s_waitcnt lgkmcnt(0)
	v_mul_f64 v[74:75], v[74:75], v[76:77]
	scratch_store_dwordx2 off, v[74:75], off offset:32
.LBB34_368:
	s_or_b64 exec, exec, s[2:3]
	scratch_load_dwordx2 v[74:75], off, off offset:40
	v_cmp_gt_u32_e32 vcc, 5, v0
	s_waitcnt vmcnt(0)
	ds_write_b64 v1, v[74:75]
	s_waitcnt lgkmcnt(0)
	; wave barrier
	s_and_saveexec_b64 s[2:3], vcc
	s_cbranch_execz .LBB34_378
; %bb.369:
	s_and_b64 vcc, exec, s[0:1]
	s_cbranch_vccnz .LBB34_371
; %bb.370:
	scratch_load_dwordx2 v[74:75], v13, off
	ds_read_b64 v[76:77], v1
	s_waitcnt vmcnt(0) lgkmcnt(0)
	v_mul_f64 v[74:75], v[74:75], v[76:77]
	s_cbranch_execz .LBB34_372
	s_branch .LBB34_373
.LBB34_371:
                                        ; implicit-def: $vgpr74_vgpr75
.LBB34_372:
	ds_read_b64 v[74:75], v1
.LBB34_373:
	v_cmp_ne_u32_e32 vcc, 4, v0
	s_and_saveexec_b64 s[4:5], vcc
	s_cbranch_execz .LBB34_377
; %bb.374:
	s_mov_b32 s6, 0
	v_add_u32_e32 v76, 0x128, v12
	v_add3_u32 v77, v12, s6, 8
	s_mov_b64 s[6:7], 0
	v_mov_b32_e32 v78, v0
.LBB34_375:                             ; =>This Inner Loop Header: Depth=1
	scratch_load_dwordx2 v[80:81], v77, off
	ds_read_b64 v[82:83], v76
	v_add_u32_e32 v78, 1, v78
	v_cmp_lt_u32_e32 vcc, 3, v78
	v_add_u32_e32 v76, 8, v76
	v_add_u32_e32 v77, 8, v77
	s_or_b64 s[6:7], vcc, s[6:7]
	s_waitcnt vmcnt(0) lgkmcnt(0)
	v_fmac_f64_e32 v[74:75], v[80:81], v[82:83]
	s_andn2_b64 exec, exec, s[6:7]
	s_cbranch_execnz .LBB34_375
; %bb.376:
	s_or_b64 exec, exec, s[6:7]
.LBB34_377:
	s_or_b64 exec, exec, s[4:5]
	v_mov_b32_e32 v76, 0
	ds_read_b64 v[76:77], v76 offset:40
	s_waitcnt lgkmcnt(0)
	v_mul_f64 v[74:75], v[74:75], v[76:77]
	scratch_store_dwordx2 off, v[74:75], off offset:40
.LBB34_378:
	s_or_b64 exec, exec, s[2:3]
	scratch_load_dwordx2 v[74:75], off, off offset:48
	v_cmp_gt_u32_e32 vcc, 6, v0
	s_waitcnt vmcnt(0)
	ds_write_b64 v1, v[74:75]
	s_waitcnt lgkmcnt(0)
	; wave barrier
	s_and_saveexec_b64 s[2:3], vcc
	s_cbranch_execz .LBB34_388
; %bb.379:
	s_and_b64 vcc, exec, s[0:1]
	s_cbranch_vccnz .LBB34_381
; %bb.380:
	scratch_load_dwordx2 v[74:75], v13, off
	ds_read_b64 v[76:77], v1
	s_waitcnt vmcnt(0) lgkmcnt(0)
	v_mul_f64 v[74:75], v[74:75], v[76:77]
	s_cbranch_execz .LBB34_382
	s_branch .LBB34_383
.LBB34_381:
                                        ; implicit-def: $vgpr74_vgpr75
.LBB34_382:
	ds_read_b64 v[74:75], v1
.LBB34_383:
	v_cmp_ne_u32_e32 vcc, 5, v0
	s_and_saveexec_b64 s[4:5], vcc
	s_cbranch_execz .LBB34_387
; %bb.384:
	s_mov_b32 s6, 0
	v_add_u32_e32 v76, 0x128, v12
	v_add3_u32 v77, v12, s6, 8
	s_mov_b64 s[6:7], 0
	v_mov_b32_e32 v78, v0
.LBB34_385:                             ; =>This Inner Loop Header: Depth=1
	scratch_load_dwordx2 v[80:81], v77, off
	ds_read_b64 v[82:83], v76
	v_add_u32_e32 v78, 1, v78
	v_cmp_lt_u32_e32 vcc, 4, v78
	v_add_u32_e32 v76, 8, v76
	v_add_u32_e32 v77, 8, v77
	s_or_b64 s[6:7], vcc, s[6:7]
	s_waitcnt vmcnt(0) lgkmcnt(0)
	v_fmac_f64_e32 v[74:75], v[80:81], v[82:83]
	s_andn2_b64 exec, exec, s[6:7]
	s_cbranch_execnz .LBB34_385
; %bb.386:
	s_or_b64 exec, exec, s[6:7]
.LBB34_387:
	s_or_b64 exec, exec, s[4:5]
	v_mov_b32_e32 v76, 0
	ds_read_b64 v[76:77], v76 offset:48
	s_waitcnt lgkmcnt(0)
	v_mul_f64 v[74:75], v[74:75], v[76:77]
	scratch_store_dwordx2 off, v[74:75], off offset:48
.LBB34_388:
	s_or_b64 exec, exec, s[2:3]
	scratch_load_dwordx2 v[74:75], off, off offset:56
	v_cmp_gt_u32_e32 vcc, 7, v0
	s_waitcnt vmcnt(0)
	ds_write_b64 v1, v[74:75]
	s_waitcnt lgkmcnt(0)
	; wave barrier
	s_and_saveexec_b64 s[2:3], vcc
	s_cbranch_execz .LBB34_398
; %bb.389:
	s_and_b64 vcc, exec, s[0:1]
	s_cbranch_vccnz .LBB34_391
; %bb.390:
	scratch_load_dwordx2 v[74:75], v13, off
	ds_read_b64 v[76:77], v1
	s_waitcnt vmcnt(0) lgkmcnt(0)
	v_mul_f64 v[74:75], v[74:75], v[76:77]
	s_cbranch_execz .LBB34_392
	s_branch .LBB34_393
.LBB34_391:
                                        ; implicit-def: $vgpr74_vgpr75
.LBB34_392:
	ds_read_b64 v[74:75], v1
.LBB34_393:
	v_cmp_ne_u32_e32 vcc, 6, v0
	s_and_saveexec_b64 s[4:5], vcc
	s_cbranch_execz .LBB34_397
; %bb.394:
	s_mov_b32 s6, 0
	v_add_u32_e32 v76, 0x128, v12
	v_add3_u32 v77, v12, s6, 8
	s_mov_b64 s[6:7], 0
	v_mov_b32_e32 v78, v0
.LBB34_395:                             ; =>This Inner Loop Header: Depth=1
	scratch_load_dwordx2 v[80:81], v77, off
	ds_read_b64 v[82:83], v76
	v_add_u32_e32 v78, 1, v78
	v_cmp_lt_u32_e32 vcc, 5, v78
	v_add_u32_e32 v76, 8, v76
	v_add_u32_e32 v77, 8, v77
	s_or_b64 s[6:7], vcc, s[6:7]
	s_waitcnt vmcnt(0) lgkmcnt(0)
	v_fmac_f64_e32 v[74:75], v[80:81], v[82:83]
	s_andn2_b64 exec, exec, s[6:7]
	s_cbranch_execnz .LBB34_395
; %bb.396:
	s_or_b64 exec, exec, s[6:7]
.LBB34_397:
	s_or_b64 exec, exec, s[4:5]
	v_mov_b32_e32 v76, 0
	ds_read_b64 v[76:77], v76 offset:56
	s_waitcnt lgkmcnt(0)
	v_mul_f64 v[74:75], v[74:75], v[76:77]
	scratch_store_dwordx2 off, v[74:75], off offset:56
.LBB34_398:
	s_or_b64 exec, exec, s[2:3]
	scratch_load_dwordx2 v[74:75], off, off offset:64
	v_cmp_gt_u32_e32 vcc, 8, v0
	s_waitcnt vmcnt(0)
	ds_write_b64 v1, v[74:75]
	s_waitcnt lgkmcnt(0)
	; wave barrier
	s_and_saveexec_b64 s[2:3], vcc
	s_cbranch_execz .LBB34_408
; %bb.399:
	s_and_b64 vcc, exec, s[0:1]
	s_cbranch_vccnz .LBB34_401
; %bb.400:
	scratch_load_dwordx2 v[74:75], v13, off
	ds_read_b64 v[76:77], v1
	s_waitcnt vmcnt(0) lgkmcnt(0)
	v_mul_f64 v[74:75], v[74:75], v[76:77]
	s_cbranch_execz .LBB34_402
	s_branch .LBB34_403
.LBB34_401:
                                        ; implicit-def: $vgpr74_vgpr75
.LBB34_402:
	ds_read_b64 v[74:75], v1
.LBB34_403:
	v_cmp_ne_u32_e32 vcc, 7, v0
	s_and_saveexec_b64 s[4:5], vcc
	s_cbranch_execz .LBB34_407
; %bb.404:
	s_mov_b32 s6, 0
	v_add_u32_e32 v76, 0x128, v12
	v_add3_u32 v77, v12, s6, 8
	s_mov_b64 s[6:7], 0
	v_mov_b32_e32 v78, v0
.LBB34_405:                             ; =>This Inner Loop Header: Depth=1
	scratch_load_dwordx2 v[80:81], v77, off
	ds_read_b64 v[82:83], v76
	v_add_u32_e32 v78, 1, v78
	v_cmp_lt_u32_e32 vcc, 6, v78
	v_add_u32_e32 v76, 8, v76
	v_add_u32_e32 v77, 8, v77
	s_or_b64 s[6:7], vcc, s[6:7]
	s_waitcnt vmcnt(0) lgkmcnt(0)
	v_fmac_f64_e32 v[74:75], v[80:81], v[82:83]
	s_andn2_b64 exec, exec, s[6:7]
	s_cbranch_execnz .LBB34_405
; %bb.406:
	s_or_b64 exec, exec, s[6:7]
.LBB34_407:
	s_or_b64 exec, exec, s[4:5]
	v_mov_b32_e32 v76, 0
	ds_read_b64 v[76:77], v76 offset:64
	s_waitcnt lgkmcnt(0)
	v_mul_f64 v[74:75], v[74:75], v[76:77]
	scratch_store_dwordx2 off, v[74:75], off offset:64
.LBB34_408:
	s_or_b64 exec, exec, s[2:3]
	scratch_load_dwordx2 v[74:75], off, off offset:72
	v_cmp_gt_u32_e32 vcc, 9, v0
	s_waitcnt vmcnt(0)
	ds_write_b64 v1, v[74:75]
	s_waitcnt lgkmcnt(0)
	; wave barrier
	s_and_saveexec_b64 s[2:3], vcc
	s_cbranch_execz .LBB34_418
; %bb.409:
	s_and_b64 vcc, exec, s[0:1]
	s_cbranch_vccnz .LBB34_411
; %bb.410:
	scratch_load_dwordx2 v[74:75], v13, off
	ds_read_b64 v[76:77], v1
	s_waitcnt vmcnt(0) lgkmcnt(0)
	v_mul_f64 v[74:75], v[74:75], v[76:77]
	s_cbranch_execz .LBB34_412
	s_branch .LBB34_413
.LBB34_411:
                                        ; implicit-def: $vgpr74_vgpr75
.LBB34_412:
	ds_read_b64 v[74:75], v1
.LBB34_413:
	v_cmp_ne_u32_e32 vcc, 8, v0
	s_and_saveexec_b64 s[4:5], vcc
	s_cbranch_execz .LBB34_417
; %bb.414:
	s_mov_b32 s6, 0
	v_add_u32_e32 v76, 0x128, v12
	v_add3_u32 v77, v12, s6, 8
	s_mov_b64 s[6:7], 0
	v_mov_b32_e32 v78, v0
.LBB34_415:                             ; =>This Inner Loop Header: Depth=1
	scratch_load_dwordx2 v[80:81], v77, off
	ds_read_b64 v[82:83], v76
	v_add_u32_e32 v78, 1, v78
	v_cmp_lt_u32_e32 vcc, 7, v78
	v_add_u32_e32 v76, 8, v76
	v_add_u32_e32 v77, 8, v77
	s_or_b64 s[6:7], vcc, s[6:7]
	s_waitcnt vmcnt(0) lgkmcnt(0)
	v_fmac_f64_e32 v[74:75], v[80:81], v[82:83]
	s_andn2_b64 exec, exec, s[6:7]
	s_cbranch_execnz .LBB34_415
; %bb.416:
	s_or_b64 exec, exec, s[6:7]
.LBB34_417:
	s_or_b64 exec, exec, s[4:5]
	v_mov_b32_e32 v76, 0
	ds_read_b64 v[76:77], v76 offset:72
	s_waitcnt lgkmcnt(0)
	v_mul_f64 v[74:75], v[74:75], v[76:77]
	scratch_store_dwordx2 off, v[74:75], off offset:72
.LBB34_418:
	s_or_b64 exec, exec, s[2:3]
	scratch_load_dwordx2 v[74:75], off, off offset:80
	v_cmp_gt_u32_e32 vcc, 10, v0
	s_waitcnt vmcnt(0)
	ds_write_b64 v1, v[74:75]
	s_waitcnt lgkmcnt(0)
	; wave barrier
	s_and_saveexec_b64 s[2:3], vcc
	s_cbranch_execz .LBB34_428
; %bb.419:
	s_and_b64 vcc, exec, s[0:1]
	s_cbranch_vccnz .LBB34_421
; %bb.420:
	scratch_load_dwordx2 v[74:75], v13, off
	ds_read_b64 v[76:77], v1
	s_waitcnt vmcnt(0) lgkmcnt(0)
	v_mul_f64 v[74:75], v[74:75], v[76:77]
	s_cbranch_execz .LBB34_422
	s_branch .LBB34_423
.LBB34_421:
                                        ; implicit-def: $vgpr74_vgpr75
.LBB34_422:
	ds_read_b64 v[74:75], v1
.LBB34_423:
	v_cmp_ne_u32_e32 vcc, 9, v0
	s_and_saveexec_b64 s[4:5], vcc
	s_cbranch_execz .LBB34_427
; %bb.424:
	s_mov_b32 s6, 0
	v_add_u32_e32 v76, 0x128, v12
	v_add3_u32 v77, v12, s6, 8
	s_mov_b64 s[6:7], 0
	v_mov_b32_e32 v78, v0
.LBB34_425:                             ; =>This Inner Loop Header: Depth=1
	scratch_load_dwordx2 v[80:81], v77, off
	ds_read_b64 v[82:83], v76
	v_add_u32_e32 v78, 1, v78
	v_cmp_lt_u32_e32 vcc, 8, v78
	v_add_u32_e32 v76, 8, v76
	v_add_u32_e32 v77, 8, v77
	s_or_b64 s[6:7], vcc, s[6:7]
	s_waitcnt vmcnt(0) lgkmcnt(0)
	v_fmac_f64_e32 v[74:75], v[80:81], v[82:83]
	s_andn2_b64 exec, exec, s[6:7]
	s_cbranch_execnz .LBB34_425
; %bb.426:
	s_or_b64 exec, exec, s[6:7]
.LBB34_427:
	s_or_b64 exec, exec, s[4:5]
	v_mov_b32_e32 v76, 0
	ds_read_b64 v[76:77], v76 offset:80
	s_waitcnt lgkmcnt(0)
	v_mul_f64 v[74:75], v[74:75], v[76:77]
	scratch_store_dwordx2 off, v[74:75], off offset:80
.LBB34_428:
	s_or_b64 exec, exec, s[2:3]
	scratch_load_dwordx2 v[74:75], off, off offset:88
	v_cmp_gt_u32_e32 vcc, 11, v0
	s_waitcnt vmcnt(0)
	ds_write_b64 v1, v[74:75]
	s_waitcnt lgkmcnt(0)
	; wave barrier
	s_and_saveexec_b64 s[2:3], vcc
	s_cbranch_execz .LBB34_438
; %bb.429:
	s_and_b64 vcc, exec, s[0:1]
	s_cbranch_vccnz .LBB34_431
; %bb.430:
	scratch_load_dwordx2 v[74:75], v13, off
	ds_read_b64 v[76:77], v1
	s_waitcnt vmcnt(0) lgkmcnt(0)
	v_mul_f64 v[74:75], v[74:75], v[76:77]
	s_cbranch_execz .LBB34_432
	s_branch .LBB34_433
.LBB34_431:
                                        ; implicit-def: $vgpr74_vgpr75
.LBB34_432:
	ds_read_b64 v[74:75], v1
.LBB34_433:
	v_cmp_ne_u32_e32 vcc, 10, v0
	s_and_saveexec_b64 s[4:5], vcc
	s_cbranch_execz .LBB34_437
; %bb.434:
	s_mov_b32 s6, 0
	v_add_u32_e32 v76, 0x128, v12
	v_add3_u32 v77, v12, s6, 8
	s_mov_b64 s[6:7], 0
	v_mov_b32_e32 v78, v0
.LBB34_435:                             ; =>This Inner Loop Header: Depth=1
	scratch_load_dwordx2 v[80:81], v77, off
	ds_read_b64 v[82:83], v76
	v_add_u32_e32 v78, 1, v78
	v_cmp_lt_u32_e32 vcc, 9, v78
	v_add_u32_e32 v76, 8, v76
	v_add_u32_e32 v77, 8, v77
	s_or_b64 s[6:7], vcc, s[6:7]
	s_waitcnt vmcnt(0) lgkmcnt(0)
	v_fmac_f64_e32 v[74:75], v[80:81], v[82:83]
	s_andn2_b64 exec, exec, s[6:7]
	s_cbranch_execnz .LBB34_435
; %bb.436:
	s_or_b64 exec, exec, s[6:7]
.LBB34_437:
	s_or_b64 exec, exec, s[4:5]
	v_mov_b32_e32 v76, 0
	ds_read_b64 v[76:77], v76 offset:88
	s_waitcnt lgkmcnt(0)
	v_mul_f64 v[74:75], v[74:75], v[76:77]
	scratch_store_dwordx2 off, v[74:75], off offset:88
.LBB34_438:
	s_or_b64 exec, exec, s[2:3]
	scratch_load_dwordx2 v[74:75], off, off offset:96
	v_cmp_gt_u32_e32 vcc, 12, v0
	s_waitcnt vmcnt(0)
	ds_write_b64 v1, v[74:75]
	s_waitcnt lgkmcnt(0)
	; wave barrier
	s_and_saveexec_b64 s[2:3], vcc
	s_cbranch_execz .LBB34_448
; %bb.439:
	s_and_b64 vcc, exec, s[0:1]
	s_cbranch_vccnz .LBB34_441
; %bb.440:
	scratch_load_dwordx2 v[74:75], v13, off
	ds_read_b64 v[76:77], v1
	s_waitcnt vmcnt(0) lgkmcnt(0)
	v_mul_f64 v[74:75], v[74:75], v[76:77]
	s_cbranch_execz .LBB34_442
	s_branch .LBB34_443
.LBB34_441:
                                        ; implicit-def: $vgpr74_vgpr75
.LBB34_442:
	ds_read_b64 v[74:75], v1
.LBB34_443:
	v_cmp_ne_u32_e32 vcc, 11, v0
	s_and_saveexec_b64 s[4:5], vcc
	s_cbranch_execz .LBB34_447
; %bb.444:
	s_mov_b32 s6, 0
	v_add_u32_e32 v76, 0x128, v12
	v_add3_u32 v77, v12, s6, 8
	s_mov_b64 s[6:7], 0
	v_mov_b32_e32 v78, v0
.LBB34_445:                             ; =>This Inner Loop Header: Depth=1
	scratch_load_dwordx2 v[80:81], v77, off
	ds_read_b64 v[82:83], v76
	v_add_u32_e32 v78, 1, v78
	v_cmp_lt_u32_e32 vcc, 10, v78
	v_add_u32_e32 v76, 8, v76
	v_add_u32_e32 v77, 8, v77
	s_or_b64 s[6:7], vcc, s[6:7]
	s_waitcnt vmcnt(0) lgkmcnt(0)
	v_fmac_f64_e32 v[74:75], v[80:81], v[82:83]
	s_andn2_b64 exec, exec, s[6:7]
	s_cbranch_execnz .LBB34_445
; %bb.446:
	s_or_b64 exec, exec, s[6:7]
.LBB34_447:
	s_or_b64 exec, exec, s[4:5]
	v_mov_b32_e32 v76, 0
	ds_read_b64 v[76:77], v76 offset:96
	s_waitcnt lgkmcnt(0)
	v_mul_f64 v[74:75], v[74:75], v[76:77]
	scratch_store_dwordx2 off, v[74:75], off offset:96
.LBB34_448:
	s_or_b64 exec, exec, s[2:3]
	scratch_load_dwordx2 v[74:75], off, off offset:104
	v_cmp_gt_u32_e32 vcc, 13, v0
	s_waitcnt vmcnt(0)
	ds_write_b64 v1, v[74:75]
	s_waitcnt lgkmcnt(0)
	; wave barrier
	s_and_saveexec_b64 s[2:3], vcc
	s_cbranch_execz .LBB34_458
; %bb.449:
	s_and_b64 vcc, exec, s[0:1]
	s_cbranch_vccnz .LBB34_451
; %bb.450:
	scratch_load_dwordx2 v[74:75], v13, off
	ds_read_b64 v[76:77], v1
	s_waitcnt vmcnt(0) lgkmcnt(0)
	v_mul_f64 v[74:75], v[74:75], v[76:77]
	s_cbranch_execz .LBB34_452
	s_branch .LBB34_453
.LBB34_451:
                                        ; implicit-def: $vgpr74_vgpr75
.LBB34_452:
	ds_read_b64 v[74:75], v1
.LBB34_453:
	v_cmp_ne_u32_e32 vcc, 12, v0
	s_and_saveexec_b64 s[4:5], vcc
	s_cbranch_execz .LBB34_457
; %bb.454:
	s_mov_b32 s6, 0
	v_add_u32_e32 v76, 0x128, v12
	v_add3_u32 v77, v12, s6, 8
	s_mov_b64 s[6:7], 0
	v_mov_b32_e32 v78, v0
.LBB34_455:                             ; =>This Inner Loop Header: Depth=1
	scratch_load_dwordx2 v[80:81], v77, off
	ds_read_b64 v[82:83], v76
	v_add_u32_e32 v78, 1, v78
	v_cmp_lt_u32_e32 vcc, 11, v78
	v_add_u32_e32 v76, 8, v76
	v_add_u32_e32 v77, 8, v77
	s_or_b64 s[6:7], vcc, s[6:7]
	s_waitcnt vmcnt(0) lgkmcnt(0)
	v_fmac_f64_e32 v[74:75], v[80:81], v[82:83]
	s_andn2_b64 exec, exec, s[6:7]
	s_cbranch_execnz .LBB34_455
; %bb.456:
	s_or_b64 exec, exec, s[6:7]
.LBB34_457:
	s_or_b64 exec, exec, s[4:5]
	v_mov_b32_e32 v76, 0
	ds_read_b64 v[76:77], v76 offset:104
	s_waitcnt lgkmcnt(0)
	v_mul_f64 v[74:75], v[74:75], v[76:77]
	scratch_store_dwordx2 off, v[74:75], off offset:104
.LBB34_458:
	s_or_b64 exec, exec, s[2:3]
	scratch_load_dwordx2 v[74:75], off, off offset:112
	v_cmp_gt_u32_e32 vcc, 14, v0
	s_waitcnt vmcnt(0)
	ds_write_b64 v1, v[74:75]
	s_waitcnt lgkmcnt(0)
	; wave barrier
	s_and_saveexec_b64 s[2:3], vcc
	s_cbranch_execz .LBB34_468
; %bb.459:
	s_and_b64 vcc, exec, s[0:1]
	s_cbranch_vccnz .LBB34_461
; %bb.460:
	scratch_load_dwordx2 v[74:75], v13, off
	ds_read_b64 v[76:77], v1
	s_waitcnt vmcnt(0) lgkmcnt(0)
	v_mul_f64 v[74:75], v[74:75], v[76:77]
	s_cbranch_execz .LBB34_462
	s_branch .LBB34_463
.LBB34_461:
                                        ; implicit-def: $vgpr74_vgpr75
.LBB34_462:
	ds_read_b64 v[74:75], v1
.LBB34_463:
	v_cmp_ne_u32_e32 vcc, 13, v0
	s_and_saveexec_b64 s[4:5], vcc
	s_cbranch_execz .LBB34_467
; %bb.464:
	s_mov_b32 s6, 0
	v_add_u32_e32 v76, 0x128, v12
	v_add3_u32 v77, v12, s6, 8
	s_mov_b64 s[6:7], 0
	v_mov_b32_e32 v78, v0
.LBB34_465:                             ; =>This Inner Loop Header: Depth=1
	scratch_load_dwordx2 v[80:81], v77, off
	ds_read_b64 v[82:83], v76
	v_add_u32_e32 v78, 1, v78
	v_cmp_lt_u32_e32 vcc, 12, v78
	v_add_u32_e32 v76, 8, v76
	v_add_u32_e32 v77, 8, v77
	s_or_b64 s[6:7], vcc, s[6:7]
	s_waitcnt vmcnt(0) lgkmcnt(0)
	v_fmac_f64_e32 v[74:75], v[80:81], v[82:83]
	s_andn2_b64 exec, exec, s[6:7]
	s_cbranch_execnz .LBB34_465
; %bb.466:
	s_or_b64 exec, exec, s[6:7]
.LBB34_467:
	s_or_b64 exec, exec, s[4:5]
	v_mov_b32_e32 v76, 0
	ds_read_b64 v[76:77], v76 offset:112
	s_waitcnt lgkmcnt(0)
	v_mul_f64 v[74:75], v[74:75], v[76:77]
	scratch_store_dwordx2 off, v[74:75], off offset:112
.LBB34_468:
	s_or_b64 exec, exec, s[2:3]
	scratch_load_dwordx2 v[74:75], off, off offset:120
	v_cmp_gt_u32_e32 vcc, 15, v0
	s_waitcnt vmcnt(0)
	ds_write_b64 v1, v[74:75]
	s_waitcnt lgkmcnt(0)
	; wave barrier
	s_and_saveexec_b64 s[2:3], vcc
	s_cbranch_execz .LBB34_478
; %bb.469:
	s_and_b64 vcc, exec, s[0:1]
	s_cbranch_vccnz .LBB34_471
; %bb.470:
	scratch_load_dwordx2 v[74:75], v13, off
	ds_read_b64 v[76:77], v1
	s_waitcnt vmcnt(0) lgkmcnt(0)
	v_mul_f64 v[74:75], v[74:75], v[76:77]
	s_cbranch_execz .LBB34_472
	s_branch .LBB34_473
.LBB34_471:
                                        ; implicit-def: $vgpr74_vgpr75
.LBB34_472:
	ds_read_b64 v[74:75], v1
.LBB34_473:
	v_cmp_ne_u32_e32 vcc, 14, v0
	s_and_saveexec_b64 s[4:5], vcc
	s_cbranch_execz .LBB34_477
; %bb.474:
	s_mov_b32 s6, 0
	v_add_u32_e32 v76, 0x128, v12
	v_add3_u32 v77, v12, s6, 8
	s_mov_b64 s[6:7], 0
	v_mov_b32_e32 v78, v0
.LBB34_475:                             ; =>This Inner Loop Header: Depth=1
	scratch_load_dwordx2 v[80:81], v77, off
	ds_read_b64 v[82:83], v76
	v_add_u32_e32 v78, 1, v78
	v_cmp_lt_u32_e32 vcc, 13, v78
	v_add_u32_e32 v76, 8, v76
	v_add_u32_e32 v77, 8, v77
	s_or_b64 s[6:7], vcc, s[6:7]
	s_waitcnt vmcnt(0) lgkmcnt(0)
	v_fmac_f64_e32 v[74:75], v[80:81], v[82:83]
	s_andn2_b64 exec, exec, s[6:7]
	s_cbranch_execnz .LBB34_475
; %bb.476:
	s_or_b64 exec, exec, s[6:7]
.LBB34_477:
	s_or_b64 exec, exec, s[4:5]
	v_mov_b32_e32 v76, 0
	ds_read_b64 v[76:77], v76 offset:120
	s_waitcnt lgkmcnt(0)
	v_mul_f64 v[74:75], v[74:75], v[76:77]
	scratch_store_dwordx2 off, v[74:75], off offset:120
.LBB34_478:
	s_or_b64 exec, exec, s[2:3]
	scratch_load_dwordx2 v[74:75], off, off offset:128
	v_cmp_gt_u32_e32 vcc, 16, v0
	s_waitcnt vmcnt(0)
	ds_write_b64 v1, v[74:75]
	s_waitcnt lgkmcnt(0)
	; wave barrier
	s_and_saveexec_b64 s[2:3], vcc
	s_cbranch_execz .LBB34_488
; %bb.479:
	s_and_b64 vcc, exec, s[0:1]
	s_cbranch_vccnz .LBB34_481
; %bb.480:
	scratch_load_dwordx2 v[74:75], v13, off
	ds_read_b64 v[76:77], v1
	s_waitcnt vmcnt(0) lgkmcnt(0)
	v_mul_f64 v[74:75], v[74:75], v[76:77]
	s_cbranch_execz .LBB34_482
	s_branch .LBB34_483
.LBB34_481:
                                        ; implicit-def: $vgpr74_vgpr75
.LBB34_482:
	ds_read_b64 v[74:75], v1
.LBB34_483:
	v_cmp_ne_u32_e32 vcc, 15, v0
	s_and_saveexec_b64 s[4:5], vcc
	s_cbranch_execz .LBB34_487
; %bb.484:
	s_mov_b32 s6, 0
	v_add_u32_e32 v76, 0x128, v12
	v_add3_u32 v77, v12, s6, 8
	s_mov_b64 s[6:7], 0
	v_mov_b32_e32 v78, v0
.LBB34_485:                             ; =>This Inner Loop Header: Depth=1
	scratch_load_dwordx2 v[80:81], v77, off
	ds_read_b64 v[82:83], v76
	v_add_u32_e32 v78, 1, v78
	v_cmp_lt_u32_e32 vcc, 14, v78
	v_add_u32_e32 v76, 8, v76
	v_add_u32_e32 v77, 8, v77
	s_or_b64 s[6:7], vcc, s[6:7]
	s_waitcnt vmcnt(0) lgkmcnt(0)
	v_fmac_f64_e32 v[74:75], v[80:81], v[82:83]
	s_andn2_b64 exec, exec, s[6:7]
	s_cbranch_execnz .LBB34_485
; %bb.486:
	s_or_b64 exec, exec, s[6:7]
.LBB34_487:
	s_or_b64 exec, exec, s[4:5]
	v_mov_b32_e32 v76, 0
	ds_read_b64 v[76:77], v76 offset:128
	s_waitcnt lgkmcnt(0)
	v_mul_f64 v[74:75], v[74:75], v[76:77]
	scratch_store_dwordx2 off, v[74:75], off offset:128
.LBB34_488:
	s_or_b64 exec, exec, s[2:3]
	scratch_load_dwordx2 v[74:75], off, off offset:136
	v_cmp_gt_u32_e32 vcc, 17, v0
	s_waitcnt vmcnt(0)
	ds_write_b64 v1, v[74:75]
	s_waitcnt lgkmcnt(0)
	; wave barrier
	s_and_saveexec_b64 s[2:3], vcc
	s_cbranch_execz .LBB34_498
; %bb.489:
	s_and_b64 vcc, exec, s[0:1]
	s_cbranch_vccnz .LBB34_491
; %bb.490:
	scratch_load_dwordx2 v[74:75], v13, off
	ds_read_b64 v[76:77], v1
	s_waitcnt vmcnt(0) lgkmcnt(0)
	v_mul_f64 v[74:75], v[74:75], v[76:77]
	s_cbranch_execz .LBB34_492
	s_branch .LBB34_493
.LBB34_491:
                                        ; implicit-def: $vgpr74_vgpr75
.LBB34_492:
	ds_read_b64 v[74:75], v1
.LBB34_493:
	v_cmp_ne_u32_e32 vcc, 16, v0
	s_and_saveexec_b64 s[4:5], vcc
	s_cbranch_execz .LBB34_497
; %bb.494:
	s_mov_b32 s6, 0
	v_add_u32_e32 v76, 0x128, v12
	v_add3_u32 v77, v12, s6, 8
	s_mov_b64 s[6:7], 0
	v_mov_b32_e32 v78, v0
.LBB34_495:                             ; =>This Inner Loop Header: Depth=1
	scratch_load_dwordx2 v[80:81], v77, off
	ds_read_b64 v[82:83], v76
	v_add_u32_e32 v78, 1, v78
	v_cmp_lt_u32_e32 vcc, 15, v78
	v_add_u32_e32 v76, 8, v76
	v_add_u32_e32 v77, 8, v77
	s_or_b64 s[6:7], vcc, s[6:7]
	s_waitcnt vmcnt(0) lgkmcnt(0)
	v_fmac_f64_e32 v[74:75], v[80:81], v[82:83]
	s_andn2_b64 exec, exec, s[6:7]
	s_cbranch_execnz .LBB34_495
; %bb.496:
	s_or_b64 exec, exec, s[6:7]
.LBB34_497:
	s_or_b64 exec, exec, s[4:5]
	v_mov_b32_e32 v76, 0
	ds_read_b64 v[76:77], v76 offset:136
	s_waitcnt lgkmcnt(0)
	v_mul_f64 v[74:75], v[74:75], v[76:77]
	scratch_store_dwordx2 off, v[74:75], off offset:136
.LBB34_498:
	s_or_b64 exec, exec, s[2:3]
	scratch_load_dwordx2 v[74:75], off, off offset:144
	v_cmp_gt_u32_e32 vcc, 18, v0
	s_waitcnt vmcnt(0)
	ds_write_b64 v1, v[74:75]
	s_waitcnt lgkmcnt(0)
	; wave barrier
	s_and_saveexec_b64 s[2:3], vcc
	s_cbranch_execz .LBB34_508
; %bb.499:
	s_and_b64 vcc, exec, s[0:1]
	s_cbranch_vccnz .LBB34_501
; %bb.500:
	scratch_load_dwordx2 v[74:75], v13, off
	ds_read_b64 v[76:77], v1
	s_waitcnt vmcnt(0) lgkmcnt(0)
	v_mul_f64 v[74:75], v[74:75], v[76:77]
	s_cbranch_execz .LBB34_502
	s_branch .LBB34_503
.LBB34_501:
                                        ; implicit-def: $vgpr74_vgpr75
.LBB34_502:
	ds_read_b64 v[74:75], v1
.LBB34_503:
	v_cmp_ne_u32_e32 vcc, 17, v0
	s_and_saveexec_b64 s[4:5], vcc
	s_cbranch_execz .LBB34_507
; %bb.504:
	s_mov_b32 s6, 0
	v_add_u32_e32 v76, 0x128, v12
	v_add3_u32 v77, v12, s6, 8
	s_mov_b64 s[6:7], 0
	v_mov_b32_e32 v78, v0
.LBB34_505:                             ; =>This Inner Loop Header: Depth=1
	scratch_load_dwordx2 v[80:81], v77, off
	ds_read_b64 v[82:83], v76
	v_add_u32_e32 v78, 1, v78
	v_cmp_lt_u32_e32 vcc, 16, v78
	v_add_u32_e32 v76, 8, v76
	v_add_u32_e32 v77, 8, v77
	s_or_b64 s[6:7], vcc, s[6:7]
	s_waitcnt vmcnt(0) lgkmcnt(0)
	v_fmac_f64_e32 v[74:75], v[80:81], v[82:83]
	s_andn2_b64 exec, exec, s[6:7]
	s_cbranch_execnz .LBB34_505
; %bb.506:
	s_or_b64 exec, exec, s[6:7]
.LBB34_507:
	s_or_b64 exec, exec, s[4:5]
	v_mov_b32_e32 v76, 0
	ds_read_b64 v[76:77], v76 offset:144
	s_waitcnt lgkmcnt(0)
	v_mul_f64 v[74:75], v[74:75], v[76:77]
	scratch_store_dwordx2 off, v[74:75], off offset:144
.LBB34_508:
	s_or_b64 exec, exec, s[2:3]
	scratch_load_dwordx2 v[74:75], off, off offset:152
	v_cmp_gt_u32_e32 vcc, 19, v0
	s_waitcnt vmcnt(0)
	ds_write_b64 v1, v[74:75]
	s_waitcnt lgkmcnt(0)
	; wave barrier
	s_and_saveexec_b64 s[2:3], vcc
	s_cbranch_execz .LBB34_518
; %bb.509:
	s_and_b64 vcc, exec, s[0:1]
	s_cbranch_vccnz .LBB34_511
; %bb.510:
	scratch_load_dwordx2 v[74:75], v13, off
	ds_read_b64 v[76:77], v1
	s_waitcnt vmcnt(0) lgkmcnt(0)
	v_mul_f64 v[74:75], v[74:75], v[76:77]
	s_cbranch_execz .LBB34_512
	s_branch .LBB34_513
.LBB34_511:
                                        ; implicit-def: $vgpr74_vgpr75
.LBB34_512:
	ds_read_b64 v[74:75], v1
.LBB34_513:
	v_cmp_ne_u32_e32 vcc, 18, v0
	s_and_saveexec_b64 s[4:5], vcc
	s_cbranch_execz .LBB34_517
; %bb.514:
	s_mov_b32 s6, 0
	v_add_u32_e32 v76, 0x128, v12
	v_add3_u32 v77, v12, s6, 8
	s_mov_b64 s[6:7], 0
	v_mov_b32_e32 v78, v0
.LBB34_515:                             ; =>This Inner Loop Header: Depth=1
	scratch_load_dwordx2 v[80:81], v77, off
	ds_read_b64 v[82:83], v76
	v_add_u32_e32 v78, 1, v78
	v_cmp_lt_u32_e32 vcc, 17, v78
	v_add_u32_e32 v76, 8, v76
	v_add_u32_e32 v77, 8, v77
	s_or_b64 s[6:7], vcc, s[6:7]
	s_waitcnt vmcnt(0) lgkmcnt(0)
	v_fmac_f64_e32 v[74:75], v[80:81], v[82:83]
	s_andn2_b64 exec, exec, s[6:7]
	s_cbranch_execnz .LBB34_515
; %bb.516:
	s_or_b64 exec, exec, s[6:7]
.LBB34_517:
	s_or_b64 exec, exec, s[4:5]
	v_mov_b32_e32 v76, 0
	ds_read_b64 v[76:77], v76 offset:152
	s_waitcnt lgkmcnt(0)
	v_mul_f64 v[74:75], v[74:75], v[76:77]
	scratch_store_dwordx2 off, v[74:75], off offset:152
.LBB34_518:
	s_or_b64 exec, exec, s[2:3]
	scratch_load_dwordx2 v[74:75], off, off offset:160
	v_cmp_gt_u32_e32 vcc, 20, v0
	s_waitcnt vmcnt(0)
	ds_write_b64 v1, v[74:75]
	s_waitcnt lgkmcnt(0)
	; wave barrier
	s_and_saveexec_b64 s[2:3], vcc
	s_cbranch_execz .LBB34_528
; %bb.519:
	s_and_b64 vcc, exec, s[0:1]
	s_cbranch_vccnz .LBB34_521
; %bb.520:
	scratch_load_dwordx2 v[74:75], v13, off
	ds_read_b64 v[76:77], v1
	s_waitcnt vmcnt(0) lgkmcnt(0)
	v_mul_f64 v[74:75], v[74:75], v[76:77]
	s_cbranch_execz .LBB34_522
	s_branch .LBB34_523
.LBB34_521:
                                        ; implicit-def: $vgpr74_vgpr75
.LBB34_522:
	ds_read_b64 v[74:75], v1
.LBB34_523:
	v_cmp_ne_u32_e32 vcc, 19, v0
	s_and_saveexec_b64 s[4:5], vcc
	s_cbranch_execz .LBB34_527
; %bb.524:
	s_mov_b32 s6, 0
	v_add_u32_e32 v76, 0x128, v12
	v_add3_u32 v77, v12, s6, 8
	s_mov_b64 s[6:7], 0
	v_mov_b32_e32 v78, v0
.LBB34_525:                             ; =>This Inner Loop Header: Depth=1
	scratch_load_dwordx2 v[80:81], v77, off
	ds_read_b64 v[82:83], v76
	v_add_u32_e32 v78, 1, v78
	v_cmp_lt_u32_e32 vcc, 18, v78
	v_add_u32_e32 v76, 8, v76
	v_add_u32_e32 v77, 8, v77
	s_or_b64 s[6:7], vcc, s[6:7]
	s_waitcnt vmcnt(0) lgkmcnt(0)
	v_fmac_f64_e32 v[74:75], v[80:81], v[82:83]
	s_andn2_b64 exec, exec, s[6:7]
	s_cbranch_execnz .LBB34_525
; %bb.526:
	s_or_b64 exec, exec, s[6:7]
.LBB34_527:
	s_or_b64 exec, exec, s[4:5]
	v_mov_b32_e32 v76, 0
	ds_read_b64 v[76:77], v76 offset:160
	s_waitcnt lgkmcnt(0)
	v_mul_f64 v[74:75], v[74:75], v[76:77]
	scratch_store_dwordx2 off, v[74:75], off offset:160
.LBB34_528:
	s_or_b64 exec, exec, s[2:3]
	scratch_load_dwordx2 v[74:75], off, off offset:168
	v_cmp_gt_u32_e32 vcc, 21, v0
	s_waitcnt vmcnt(0)
	ds_write_b64 v1, v[74:75]
	s_waitcnt lgkmcnt(0)
	; wave barrier
	s_and_saveexec_b64 s[2:3], vcc
	s_cbranch_execz .LBB34_538
; %bb.529:
	s_and_b64 vcc, exec, s[0:1]
	s_cbranch_vccnz .LBB34_531
; %bb.530:
	scratch_load_dwordx2 v[74:75], v13, off
	ds_read_b64 v[76:77], v1
	s_waitcnt vmcnt(0) lgkmcnt(0)
	v_mul_f64 v[74:75], v[74:75], v[76:77]
	s_cbranch_execz .LBB34_532
	s_branch .LBB34_533
.LBB34_531:
                                        ; implicit-def: $vgpr74_vgpr75
.LBB34_532:
	ds_read_b64 v[74:75], v1
.LBB34_533:
	v_cmp_ne_u32_e32 vcc, 20, v0
	s_and_saveexec_b64 s[4:5], vcc
	s_cbranch_execz .LBB34_537
; %bb.534:
	s_mov_b32 s6, 0
	v_add_u32_e32 v76, 0x128, v12
	v_add3_u32 v77, v12, s6, 8
	s_mov_b64 s[6:7], 0
	v_mov_b32_e32 v78, v0
.LBB34_535:                             ; =>This Inner Loop Header: Depth=1
	scratch_load_dwordx2 v[80:81], v77, off
	ds_read_b64 v[82:83], v76
	v_add_u32_e32 v78, 1, v78
	v_cmp_lt_u32_e32 vcc, 19, v78
	v_add_u32_e32 v76, 8, v76
	v_add_u32_e32 v77, 8, v77
	s_or_b64 s[6:7], vcc, s[6:7]
	s_waitcnt vmcnt(0) lgkmcnt(0)
	v_fmac_f64_e32 v[74:75], v[80:81], v[82:83]
	s_andn2_b64 exec, exec, s[6:7]
	s_cbranch_execnz .LBB34_535
; %bb.536:
	s_or_b64 exec, exec, s[6:7]
.LBB34_537:
	s_or_b64 exec, exec, s[4:5]
	v_mov_b32_e32 v76, 0
	ds_read_b64 v[76:77], v76 offset:168
	s_waitcnt lgkmcnt(0)
	v_mul_f64 v[74:75], v[74:75], v[76:77]
	scratch_store_dwordx2 off, v[74:75], off offset:168
.LBB34_538:
	s_or_b64 exec, exec, s[2:3]
	scratch_load_dwordx2 v[74:75], off, off offset:176
	v_cmp_gt_u32_e32 vcc, 22, v0
	s_waitcnt vmcnt(0)
	ds_write_b64 v1, v[74:75]
	s_waitcnt lgkmcnt(0)
	; wave barrier
	s_and_saveexec_b64 s[2:3], vcc
	s_cbranch_execz .LBB34_548
; %bb.539:
	s_and_b64 vcc, exec, s[0:1]
	s_cbranch_vccnz .LBB34_541
; %bb.540:
	scratch_load_dwordx2 v[74:75], v13, off
	ds_read_b64 v[76:77], v1
	s_waitcnt vmcnt(0) lgkmcnt(0)
	v_mul_f64 v[74:75], v[74:75], v[76:77]
	s_cbranch_execz .LBB34_542
	s_branch .LBB34_543
.LBB34_541:
                                        ; implicit-def: $vgpr74_vgpr75
.LBB34_542:
	ds_read_b64 v[74:75], v1
.LBB34_543:
	v_cmp_ne_u32_e32 vcc, 21, v0
	s_and_saveexec_b64 s[4:5], vcc
	s_cbranch_execz .LBB34_547
; %bb.544:
	s_mov_b32 s6, 0
	v_add_u32_e32 v76, 0x128, v12
	v_add3_u32 v77, v12, s6, 8
	s_mov_b64 s[6:7], 0
	v_mov_b32_e32 v78, v0
.LBB34_545:                             ; =>This Inner Loop Header: Depth=1
	scratch_load_dwordx2 v[80:81], v77, off
	ds_read_b64 v[82:83], v76
	v_add_u32_e32 v78, 1, v78
	v_cmp_lt_u32_e32 vcc, 20, v78
	v_add_u32_e32 v76, 8, v76
	v_add_u32_e32 v77, 8, v77
	s_or_b64 s[6:7], vcc, s[6:7]
	s_waitcnt vmcnt(0) lgkmcnt(0)
	v_fmac_f64_e32 v[74:75], v[80:81], v[82:83]
	s_andn2_b64 exec, exec, s[6:7]
	s_cbranch_execnz .LBB34_545
; %bb.546:
	s_or_b64 exec, exec, s[6:7]
.LBB34_547:
	s_or_b64 exec, exec, s[4:5]
	v_mov_b32_e32 v76, 0
	ds_read_b64 v[76:77], v76 offset:176
	s_waitcnt lgkmcnt(0)
	v_mul_f64 v[74:75], v[74:75], v[76:77]
	scratch_store_dwordx2 off, v[74:75], off offset:176
.LBB34_548:
	s_or_b64 exec, exec, s[2:3]
	scratch_load_dwordx2 v[74:75], off, off offset:184
	v_cmp_gt_u32_e32 vcc, 23, v0
	s_waitcnt vmcnt(0)
	ds_write_b64 v1, v[74:75]
	s_waitcnt lgkmcnt(0)
	; wave barrier
	s_and_saveexec_b64 s[2:3], vcc
	s_cbranch_execz .LBB34_558
; %bb.549:
	s_and_b64 vcc, exec, s[0:1]
	s_cbranch_vccnz .LBB34_551
; %bb.550:
	scratch_load_dwordx2 v[74:75], v13, off
	ds_read_b64 v[76:77], v1
	s_waitcnt vmcnt(0) lgkmcnt(0)
	v_mul_f64 v[74:75], v[74:75], v[76:77]
	s_cbranch_execz .LBB34_552
	s_branch .LBB34_553
.LBB34_551:
                                        ; implicit-def: $vgpr74_vgpr75
.LBB34_552:
	ds_read_b64 v[74:75], v1
.LBB34_553:
	v_cmp_ne_u32_e32 vcc, 22, v0
	s_and_saveexec_b64 s[4:5], vcc
	s_cbranch_execz .LBB34_557
; %bb.554:
	s_mov_b32 s6, 0
	v_add_u32_e32 v76, 0x128, v12
	v_add3_u32 v77, v12, s6, 8
	s_mov_b64 s[6:7], 0
	v_mov_b32_e32 v78, v0
.LBB34_555:                             ; =>This Inner Loop Header: Depth=1
	scratch_load_dwordx2 v[80:81], v77, off
	ds_read_b64 v[82:83], v76
	v_add_u32_e32 v78, 1, v78
	v_cmp_lt_u32_e32 vcc, 21, v78
	v_add_u32_e32 v76, 8, v76
	v_add_u32_e32 v77, 8, v77
	s_or_b64 s[6:7], vcc, s[6:7]
	s_waitcnt vmcnt(0) lgkmcnt(0)
	v_fmac_f64_e32 v[74:75], v[80:81], v[82:83]
	s_andn2_b64 exec, exec, s[6:7]
	s_cbranch_execnz .LBB34_555
; %bb.556:
	s_or_b64 exec, exec, s[6:7]
.LBB34_557:
	s_or_b64 exec, exec, s[4:5]
	v_mov_b32_e32 v76, 0
	ds_read_b64 v[76:77], v76 offset:184
	s_waitcnt lgkmcnt(0)
	v_mul_f64 v[74:75], v[74:75], v[76:77]
	scratch_store_dwordx2 off, v[74:75], off offset:184
.LBB34_558:
	s_or_b64 exec, exec, s[2:3]
	scratch_load_dwordx2 v[74:75], off, off offset:192
	v_cmp_gt_u32_e32 vcc, 24, v0
	s_waitcnt vmcnt(0)
	ds_write_b64 v1, v[74:75]
	s_waitcnt lgkmcnt(0)
	; wave barrier
	s_and_saveexec_b64 s[2:3], vcc
	s_cbranch_execz .LBB34_568
; %bb.559:
	s_and_b64 vcc, exec, s[0:1]
	s_cbranch_vccnz .LBB34_561
; %bb.560:
	scratch_load_dwordx2 v[74:75], v13, off
	ds_read_b64 v[76:77], v1
	s_waitcnt vmcnt(0) lgkmcnt(0)
	v_mul_f64 v[74:75], v[74:75], v[76:77]
	s_cbranch_execz .LBB34_562
	s_branch .LBB34_563
.LBB34_561:
                                        ; implicit-def: $vgpr74_vgpr75
.LBB34_562:
	ds_read_b64 v[74:75], v1
.LBB34_563:
	v_cmp_ne_u32_e32 vcc, 23, v0
	s_and_saveexec_b64 s[4:5], vcc
	s_cbranch_execz .LBB34_567
; %bb.564:
	s_mov_b32 s6, 0
	v_add_u32_e32 v76, 0x128, v12
	v_add3_u32 v77, v12, s6, 8
	s_mov_b64 s[6:7], 0
	v_mov_b32_e32 v78, v0
.LBB34_565:                             ; =>This Inner Loop Header: Depth=1
	scratch_load_dwordx2 v[80:81], v77, off
	ds_read_b64 v[82:83], v76
	v_add_u32_e32 v78, 1, v78
	v_cmp_lt_u32_e32 vcc, 22, v78
	v_add_u32_e32 v76, 8, v76
	v_add_u32_e32 v77, 8, v77
	s_or_b64 s[6:7], vcc, s[6:7]
	s_waitcnt vmcnt(0) lgkmcnt(0)
	v_fmac_f64_e32 v[74:75], v[80:81], v[82:83]
	s_andn2_b64 exec, exec, s[6:7]
	s_cbranch_execnz .LBB34_565
; %bb.566:
	s_or_b64 exec, exec, s[6:7]
.LBB34_567:
	s_or_b64 exec, exec, s[4:5]
	v_mov_b32_e32 v76, 0
	ds_read_b64 v[76:77], v76 offset:192
	s_waitcnt lgkmcnt(0)
	v_mul_f64 v[74:75], v[74:75], v[76:77]
	scratch_store_dwordx2 off, v[74:75], off offset:192
.LBB34_568:
	s_or_b64 exec, exec, s[2:3]
	scratch_load_dwordx2 v[74:75], off, off offset:200
	v_cmp_gt_u32_e32 vcc, 25, v0
	s_waitcnt vmcnt(0)
	ds_write_b64 v1, v[74:75]
	s_waitcnt lgkmcnt(0)
	; wave barrier
	s_and_saveexec_b64 s[2:3], vcc
	s_cbranch_execz .LBB34_578
; %bb.569:
	s_and_b64 vcc, exec, s[0:1]
	s_cbranch_vccnz .LBB34_571
; %bb.570:
	scratch_load_dwordx2 v[74:75], v13, off
	ds_read_b64 v[76:77], v1
	s_waitcnt vmcnt(0) lgkmcnt(0)
	v_mul_f64 v[74:75], v[74:75], v[76:77]
	s_cbranch_execz .LBB34_572
	s_branch .LBB34_573
.LBB34_571:
                                        ; implicit-def: $vgpr74_vgpr75
.LBB34_572:
	ds_read_b64 v[74:75], v1
.LBB34_573:
	v_cmp_ne_u32_e32 vcc, 24, v0
	s_and_saveexec_b64 s[4:5], vcc
	s_cbranch_execz .LBB34_577
; %bb.574:
	s_mov_b32 s6, 0
	v_add_u32_e32 v76, 0x128, v12
	v_add3_u32 v77, v12, s6, 8
	s_mov_b64 s[6:7], 0
	v_mov_b32_e32 v78, v0
.LBB34_575:                             ; =>This Inner Loop Header: Depth=1
	scratch_load_dwordx2 v[80:81], v77, off
	ds_read_b64 v[82:83], v76
	v_add_u32_e32 v78, 1, v78
	v_cmp_lt_u32_e32 vcc, 23, v78
	v_add_u32_e32 v76, 8, v76
	v_add_u32_e32 v77, 8, v77
	s_or_b64 s[6:7], vcc, s[6:7]
	s_waitcnt vmcnt(0) lgkmcnt(0)
	v_fmac_f64_e32 v[74:75], v[80:81], v[82:83]
	s_andn2_b64 exec, exec, s[6:7]
	s_cbranch_execnz .LBB34_575
; %bb.576:
	s_or_b64 exec, exec, s[6:7]
.LBB34_577:
	s_or_b64 exec, exec, s[4:5]
	v_mov_b32_e32 v76, 0
	ds_read_b64 v[76:77], v76 offset:200
	s_waitcnt lgkmcnt(0)
	v_mul_f64 v[74:75], v[74:75], v[76:77]
	scratch_store_dwordx2 off, v[74:75], off offset:200
.LBB34_578:
	s_or_b64 exec, exec, s[2:3]
	scratch_load_dwordx2 v[74:75], off, off offset:208
	v_cmp_gt_u32_e32 vcc, 26, v0
	s_waitcnt vmcnt(0)
	ds_write_b64 v1, v[74:75]
	s_waitcnt lgkmcnt(0)
	; wave barrier
	s_and_saveexec_b64 s[2:3], vcc
	s_cbranch_execz .LBB34_588
; %bb.579:
	s_and_b64 vcc, exec, s[0:1]
	s_cbranch_vccnz .LBB34_581
; %bb.580:
	scratch_load_dwordx2 v[74:75], v13, off
	ds_read_b64 v[76:77], v1
	s_waitcnt vmcnt(0) lgkmcnt(0)
	v_mul_f64 v[74:75], v[74:75], v[76:77]
	s_cbranch_execz .LBB34_582
	s_branch .LBB34_583
.LBB34_581:
                                        ; implicit-def: $vgpr74_vgpr75
.LBB34_582:
	ds_read_b64 v[74:75], v1
.LBB34_583:
	v_cmp_ne_u32_e32 vcc, 25, v0
	s_and_saveexec_b64 s[4:5], vcc
	s_cbranch_execz .LBB34_587
; %bb.584:
	s_mov_b32 s6, 0
	v_add_u32_e32 v76, 0x128, v12
	v_add3_u32 v77, v12, s6, 8
	s_mov_b64 s[6:7], 0
	v_mov_b32_e32 v78, v0
.LBB34_585:                             ; =>This Inner Loop Header: Depth=1
	scratch_load_dwordx2 v[80:81], v77, off
	ds_read_b64 v[82:83], v76
	v_add_u32_e32 v78, 1, v78
	v_cmp_lt_u32_e32 vcc, 24, v78
	v_add_u32_e32 v76, 8, v76
	v_add_u32_e32 v77, 8, v77
	s_or_b64 s[6:7], vcc, s[6:7]
	s_waitcnt vmcnt(0) lgkmcnt(0)
	v_fmac_f64_e32 v[74:75], v[80:81], v[82:83]
	s_andn2_b64 exec, exec, s[6:7]
	s_cbranch_execnz .LBB34_585
; %bb.586:
	s_or_b64 exec, exec, s[6:7]
.LBB34_587:
	s_or_b64 exec, exec, s[4:5]
	v_mov_b32_e32 v76, 0
	ds_read_b64 v[76:77], v76 offset:208
	s_waitcnt lgkmcnt(0)
	v_mul_f64 v[74:75], v[74:75], v[76:77]
	scratch_store_dwordx2 off, v[74:75], off offset:208
.LBB34_588:
	s_or_b64 exec, exec, s[2:3]
	scratch_load_dwordx2 v[74:75], off, off offset:216
	v_cmp_gt_u32_e32 vcc, 27, v0
	s_waitcnt vmcnt(0)
	ds_write_b64 v1, v[74:75]
	s_waitcnt lgkmcnt(0)
	; wave barrier
	s_and_saveexec_b64 s[2:3], vcc
	s_cbranch_execz .LBB34_598
; %bb.589:
	s_and_b64 vcc, exec, s[0:1]
	s_cbranch_vccnz .LBB34_591
; %bb.590:
	scratch_load_dwordx2 v[74:75], v13, off
	ds_read_b64 v[76:77], v1
	s_waitcnt vmcnt(0) lgkmcnt(0)
	v_mul_f64 v[74:75], v[74:75], v[76:77]
	s_cbranch_execz .LBB34_592
	s_branch .LBB34_593
.LBB34_591:
                                        ; implicit-def: $vgpr74_vgpr75
.LBB34_592:
	ds_read_b64 v[74:75], v1
.LBB34_593:
	v_cmp_ne_u32_e32 vcc, 26, v0
	s_and_saveexec_b64 s[4:5], vcc
	s_cbranch_execz .LBB34_597
; %bb.594:
	s_mov_b32 s6, 0
	v_add_u32_e32 v76, 0x128, v12
	v_add3_u32 v77, v12, s6, 8
	s_mov_b64 s[6:7], 0
	v_mov_b32_e32 v78, v0
.LBB34_595:                             ; =>This Inner Loop Header: Depth=1
	scratch_load_dwordx2 v[80:81], v77, off
	ds_read_b64 v[82:83], v76
	v_add_u32_e32 v78, 1, v78
	v_cmp_lt_u32_e32 vcc, 25, v78
	v_add_u32_e32 v76, 8, v76
	v_add_u32_e32 v77, 8, v77
	s_or_b64 s[6:7], vcc, s[6:7]
	s_waitcnt vmcnt(0) lgkmcnt(0)
	v_fmac_f64_e32 v[74:75], v[80:81], v[82:83]
	s_andn2_b64 exec, exec, s[6:7]
	s_cbranch_execnz .LBB34_595
; %bb.596:
	s_or_b64 exec, exec, s[6:7]
.LBB34_597:
	s_or_b64 exec, exec, s[4:5]
	v_mov_b32_e32 v76, 0
	ds_read_b64 v[76:77], v76 offset:216
	s_waitcnt lgkmcnt(0)
	v_mul_f64 v[74:75], v[74:75], v[76:77]
	scratch_store_dwordx2 off, v[74:75], off offset:216
.LBB34_598:
	s_or_b64 exec, exec, s[2:3]
	scratch_load_dwordx2 v[74:75], off, off offset:224
	v_cmp_gt_u32_e32 vcc, 28, v0
	s_waitcnt vmcnt(0)
	ds_write_b64 v1, v[74:75]
	s_waitcnt lgkmcnt(0)
	; wave barrier
	s_and_saveexec_b64 s[2:3], vcc
	s_cbranch_execz .LBB34_608
; %bb.599:
	s_and_b64 vcc, exec, s[0:1]
	s_cbranch_vccnz .LBB34_601
; %bb.600:
	scratch_load_dwordx2 v[74:75], v13, off
	ds_read_b64 v[76:77], v1
	s_waitcnt vmcnt(0) lgkmcnt(0)
	v_mul_f64 v[74:75], v[74:75], v[76:77]
	s_cbranch_execz .LBB34_602
	s_branch .LBB34_603
.LBB34_601:
                                        ; implicit-def: $vgpr74_vgpr75
.LBB34_602:
	ds_read_b64 v[74:75], v1
.LBB34_603:
	v_cmp_ne_u32_e32 vcc, 27, v0
	s_and_saveexec_b64 s[4:5], vcc
	s_cbranch_execz .LBB34_607
; %bb.604:
	s_mov_b32 s6, 0
	v_add_u32_e32 v76, 0x128, v12
	v_add3_u32 v77, v12, s6, 8
	s_mov_b64 s[6:7], 0
	v_mov_b32_e32 v78, v0
.LBB34_605:                             ; =>This Inner Loop Header: Depth=1
	scratch_load_dwordx2 v[80:81], v77, off
	ds_read_b64 v[82:83], v76
	v_add_u32_e32 v78, 1, v78
	v_cmp_lt_u32_e32 vcc, 26, v78
	v_add_u32_e32 v76, 8, v76
	v_add_u32_e32 v77, 8, v77
	s_or_b64 s[6:7], vcc, s[6:7]
	s_waitcnt vmcnt(0) lgkmcnt(0)
	v_fmac_f64_e32 v[74:75], v[80:81], v[82:83]
	s_andn2_b64 exec, exec, s[6:7]
	s_cbranch_execnz .LBB34_605
; %bb.606:
	s_or_b64 exec, exec, s[6:7]
.LBB34_607:
	s_or_b64 exec, exec, s[4:5]
	v_mov_b32_e32 v76, 0
	ds_read_b64 v[76:77], v76 offset:224
	s_waitcnt lgkmcnt(0)
	v_mul_f64 v[74:75], v[74:75], v[76:77]
	scratch_store_dwordx2 off, v[74:75], off offset:224
.LBB34_608:
	s_or_b64 exec, exec, s[2:3]
	scratch_load_dwordx2 v[74:75], off, off offset:232
	v_cmp_gt_u32_e32 vcc, 29, v0
	s_waitcnt vmcnt(0)
	ds_write_b64 v1, v[74:75]
	s_waitcnt lgkmcnt(0)
	; wave barrier
	s_and_saveexec_b64 s[2:3], vcc
	s_cbranch_execz .LBB34_618
; %bb.609:
	s_and_b64 vcc, exec, s[0:1]
	s_cbranch_vccnz .LBB34_611
; %bb.610:
	scratch_load_dwordx2 v[74:75], v13, off
	ds_read_b64 v[76:77], v1
	s_waitcnt vmcnt(0) lgkmcnt(0)
	v_mul_f64 v[74:75], v[74:75], v[76:77]
	s_cbranch_execz .LBB34_612
	s_branch .LBB34_613
.LBB34_611:
                                        ; implicit-def: $vgpr74_vgpr75
.LBB34_612:
	ds_read_b64 v[74:75], v1
.LBB34_613:
	v_cmp_ne_u32_e32 vcc, 28, v0
	s_and_saveexec_b64 s[4:5], vcc
	s_cbranch_execz .LBB34_617
; %bb.614:
	s_mov_b32 s6, 0
	v_add_u32_e32 v76, 0x128, v12
	v_add3_u32 v77, v12, s6, 8
	s_mov_b64 s[6:7], 0
	v_mov_b32_e32 v78, v0
.LBB34_615:                             ; =>This Inner Loop Header: Depth=1
	scratch_load_dwordx2 v[80:81], v77, off
	ds_read_b64 v[82:83], v76
	v_add_u32_e32 v78, 1, v78
	v_cmp_lt_u32_e32 vcc, 27, v78
	v_add_u32_e32 v76, 8, v76
	v_add_u32_e32 v77, 8, v77
	s_or_b64 s[6:7], vcc, s[6:7]
	s_waitcnt vmcnt(0) lgkmcnt(0)
	v_fmac_f64_e32 v[74:75], v[80:81], v[82:83]
	s_andn2_b64 exec, exec, s[6:7]
	s_cbranch_execnz .LBB34_615
; %bb.616:
	s_or_b64 exec, exec, s[6:7]
.LBB34_617:
	s_or_b64 exec, exec, s[4:5]
	v_mov_b32_e32 v76, 0
	ds_read_b64 v[76:77], v76 offset:232
	s_waitcnt lgkmcnt(0)
	v_mul_f64 v[74:75], v[74:75], v[76:77]
	scratch_store_dwordx2 off, v[74:75], off offset:232
.LBB34_618:
	s_or_b64 exec, exec, s[2:3]
	scratch_load_dwordx2 v[74:75], off, off offset:240
	v_cmp_gt_u32_e32 vcc, 30, v0
	s_waitcnt vmcnt(0)
	ds_write_b64 v1, v[74:75]
	s_waitcnt lgkmcnt(0)
	; wave barrier
	s_and_saveexec_b64 s[2:3], vcc
	s_cbranch_execz .LBB34_628
; %bb.619:
	s_and_b64 vcc, exec, s[0:1]
	s_cbranch_vccnz .LBB34_621
; %bb.620:
	scratch_load_dwordx2 v[74:75], v13, off
	ds_read_b64 v[76:77], v1
	s_waitcnt vmcnt(0) lgkmcnt(0)
	v_mul_f64 v[74:75], v[74:75], v[76:77]
	s_cbranch_execz .LBB34_622
	s_branch .LBB34_623
.LBB34_621:
                                        ; implicit-def: $vgpr74_vgpr75
.LBB34_622:
	ds_read_b64 v[74:75], v1
.LBB34_623:
	v_cmp_ne_u32_e32 vcc, 29, v0
	s_and_saveexec_b64 s[4:5], vcc
	s_cbranch_execz .LBB34_627
; %bb.624:
	s_mov_b32 s6, 0
	v_add_u32_e32 v76, 0x128, v12
	v_add3_u32 v77, v12, s6, 8
	s_mov_b64 s[6:7], 0
	v_mov_b32_e32 v78, v0
.LBB34_625:                             ; =>This Inner Loop Header: Depth=1
	scratch_load_dwordx2 v[80:81], v77, off
	ds_read_b64 v[82:83], v76
	v_add_u32_e32 v78, 1, v78
	v_cmp_lt_u32_e32 vcc, 28, v78
	v_add_u32_e32 v76, 8, v76
	v_add_u32_e32 v77, 8, v77
	s_or_b64 s[6:7], vcc, s[6:7]
	s_waitcnt vmcnt(0) lgkmcnt(0)
	v_fmac_f64_e32 v[74:75], v[80:81], v[82:83]
	s_andn2_b64 exec, exec, s[6:7]
	s_cbranch_execnz .LBB34_625
; %bb.626:
	s_or_b64 exec, exec, s[6:7]
.LBB34_627:
	s_or_b64 exec, exec, s[4:5]
	v_mov_b32_e32 v76, 0
	ds_read_b64 v[76:77], v76 offset:240
	s_waitcnt lgkmcnt(0)
	v_mul_f64 v[74:75], v[74:75], v[76:77]
	scratch_store_dwordx2 off, v[74:75], off offset:240
.LBB34_628:
	s_or_b64 exec, exec, s[2:3]
	scratch_load_dwordx2 v[74:75], off, off offset:248
	v_cmp_gt_u32_e32 vcc, 31, v0
	s_waitcnt vmcnt(0)
	ds_write_b64 v1, v[74:75]
	s_waitcnt lgkmcnt(0)
	; wave barrier
	s_and_saveexec_b64 s[2:3], vcc
	s_cbranch_execz .LBB34_638
; %bb.629:
	s_and_b64 vcc, exec, s[0:1]
	s_cbranch_vccnz .LBB34_631
; %bb.630:
	scratch_load_dwordx2 v[74:75], v13, off
	ds_read_b64 v[76:77], v1
	s_waitcnt vmcnt(0) lgkmcnt(0)
	v_mul_f64 v[74:75], v[74:75], v[76:77]
	s_cbranch_execz .LBB34_632
	s_branch .LBB34_633
.LBB34_631:
                                        ; implicit-def: $vgpr74_vgpr75
.LBB34_632:
	ds_read_b64 v[74:75], v1
.LBB34_633:
	v_cmp_ne_u32_e32 vcc, 30, v0
	s_and_saveexec_b64 s[4:5], vcc
	s_cbranch_execz .LBB34_637
; %bb.634:
	s_mov_b32 s6, 0
	v_add_u32_e32 v76, 0x128, v12
	v_add3_u32 v77, v12, s6, 8
	s_mov_b64 s[6:7], 0
	v_mov_b32_e32 v78, v0
.LBB34_635:                             ; =>This Inner Loop Header: Depth=1
	scratch_load_dwordx2 v[80:81], v77, off
	ds_read_b64 v[82:83], v76
	v_add_u32_e32 v78, 1, v78
	v_cmp_lt_u32_e32 vcc, 29, v78
	v_add_u32_e32 v76, 8, v76
	v_add_u32_e32 v77, 8, v77
	s_or_b64 s[6:7], vcc, s[6:7]
	s_waitcnt vmcnt(0) lgkmcnt(0)
	v_fmac_f64_e32 v[74:75], v[80:81], v[82:83]
	s_andn2_b64 exec, exec, s[6:7]
	s_cbranch_execnz .LBB34_635
; %bb.636:
	s_or_b64 exec, exec, s[6:7]
.LBB34_637:
	s_or_b64 exec, exec, s[4:5]
	v_mov_b32_e32 v76, 0
	ds_read_b64 v[76:77], v76 offset:248
	s_waitcnt lgkmcnt(0)
	v_mul_f64 v[74:75], v[74:75], v[76:77]
	scratch_store_dwordx2 off, v[74:75], off offset:248
.LBB34_638:
	s_or_b64 exec, exec, s[2:3]
	scratch_load_dwordx2 v[74:75], off, off offset:256
	v_cmp_gt_u32_e32 vcc, 32, v0
	s_waitcnt vmcnt(0)
	ds_write_b64 v1, v[74:75]
	s_waitcnt lgkmcnt(0)
	; wave barrier
	s_and_saveexec_b64 s[2:3], vcc
	s_cbranch_execz .LBB34_648
; %bb.639:
	s_and_b64 vcc, exec, s[0:1]
	s_cbranch_vccnz .LBB34_641
; %bb.640:
	scratch_load_dwordx2 v[74:75], v13, off
	ds_read_b64 v[76:77], v1
	s_waitcnt vmcnt(0) lgkmcnt(0)
	v_mul_f64 v[74:75], v[74:75], v[76:77]
	s_cbranch_execz .LBB34_642
	s_branch .LBB34_643
.LBB34_641:
                                        ; implicit-def: $vgpr74_vgpr75
.LBB34_642:
	ds_read_b64 v[74:75], v1
.LBB34_643:
	v_cmp_ne_u32_e32 vcc, 31, v0
	s_and_saveexec_b64 s[4:5], vcc
	s_cbranch_execz .LBB34_647
; %bb.644:
	s_mov_b32 s6, 0
	v_add_u32_e32 v76, 0x128, v12
	v_add3_u32 v77, v12, s6, 8
	s_mov_b64 s[6:7], 0
	v_mov_b32_e32 v78, v0
.LBB34_645:                             ; =>This Inner Loop Header: Depth=1
	scratch_load_dwordx2 v[80:81], v77, off
	ds_read_b64 v[82:83], v76
	v_add_u32_e32 v78, 1, v78
	v_cmp_lt_u32_e32 vcc, 30, v78
	v_add_u32_e32 v76, 8, v76
	v_add_u32_e32 v77, 8, v77
	s_or_b64 s[6:7], vcc, s[6:7]
	s_waitcnt vmcnt(0) lgkmcnt(0)
	v_fmac_f64_e32 v[74:75], v[80:81], v[82:83]
	s_andn2_b64 exec, exec, s[6:7]
	s_cbranch_execnz .LBB34_645
; %bb.646:
	s_or_b64 exec, exec, s[6:7]
.LBB34_647:
	s_or_b64 exec, exec, s[4:5]
	v_mov_b32_e32 v76, 0
	ds_read_b64 v[76:77], v76 offset:256
	s_waitcnt lgkmcnt(0)
	v_mul_f64 v[74:75], v[74:75], v[76:77]
	scratch_store_dwordx2 off, v[74:75], off offset:256
.LBB34_648:
	s_or_b64 exec, exec, s[2:3]
	scratch_load_dwordx2 v[74:75], off, off offset:264
	v_cmp_gt_u32_e64 s[2:3], 33, v0
	s_waitcnt vmcnt(0)
	ds_write_b64 v1, v[74:75]
	s_waitcnt lgkmcnt(0)
	; wave barrier
	s_and_saveexec_b64 s[4:5], s[2:3]
	s_cbranch_execz .LBB34_658
; %bb.649:
	s_and_b64 vcc, exec, s[0:1]
	s_cbranch_vccnz .LBB34_651
; %bb.650:
	scratch_load_dwordx2 v[74:75], v13, off
	ds_read_b64 v[76:77], v1
	s_waitcnt vmcnt(0) lgkmcnt(0)
	v_mul_f64 v[74:75], v[74:75], v[76:77]
	s_cbranch_execz .LBB34_652
	s_branch .LBB34_653
.LBB34_651:
                                        ; implicit-def: $vgpr74_vgpr75
.LBB34_652:
	ds_read_b64 v[74:75], v1
.LBB34_653:
	v_cmp_ne_u32_e32 vcc, 32, v0
	s_and_saveexec_b64 s[6:7], vcc
	s_cbranch_execz .LBB34_657
; %bb.654:
	s_mov_b32 s8, 0
	v_add_u32_e32 v76, 0x128, v12
	v_add3_u32 v77, v12, s8, 8
	s_mov_b64 s[8:9], 0
	v_mov_b32_e32 v78, v0
.LBB34_655:                             ; =>This Inner Loop Header: Depth=1
	scratch_load_dwordx2 v[80:81], v77, off
	ds_read_b64 v[82:83], v76
	v_add_u32_e32 v78, 1, v78
	v_cmp_lt_u32_e32 vcc, 31, v78
	v_add_u32_e32 v76, 8, v76
	v_add_u32_e32 v77, 8, v77
	s_or_b64 s[8:9], vcc, s[8:9]
	s_waitcnt vmcnt(0) lgkmcnt(0)
	v_fmac_f64_e32 v[74:75], v[80:81], v[82:83]
	s_andn2_b64 exec, exec, s[8:9]
	s_cbranch_execnz .LBB34_655
; %bb.656:
	s_or_b64 exec, exec, s[8:9]
.LBB34_657:
	s_or_b64 exec, exec, s[6:7]
	v_mov_b32_e32 v76, 0
	ds_read_b64 v[76:77], v76 offset:264
	s_waitcnt lgkmcnt(0)
	v_mul_f64 v[74:75], v[74:75], v[76:77]
	scratch_store_dwordx2 off, v[74:75], off offset:264
.LBB34_658:
	s_or_b64 exec, exec, s[4:5]
	scratch_load_dwordx2 v[74:75], off, off offset:272
	v_cmp_ne_u32_e32 vcc, 34, v0
	s_waitcnt vmcnt(0)
	ds_write_b64 v1, v[74:75]
	s_waitcnt lgkmcnt(0)
	; wave barrier
	s_and_saveexec_b64 s[4:5], vcc
	s_cbranch_execz .LBB34_668
; %bb.659:
	s_and_b64 vcc, exec, s[0:1]
	s_cbranch_vccnz .LBB34_661
; %bb.660:
	scratch_load_dwordx2 v[74:75], v13, off
	ds_read_b64 v[76:77], v1
	s_waitcnt vmcnt(0) lgkmcnt(0)
	v_mul_f64 v[74:75], v[74:75], v[76:77]
	s_cbranch_execz .LBB34_662
	s_branch .LBB34_663
.LBB34_661:
                                        ; implicit-def: $vgpr74_vgpr75
.LBB34_662:
	ds_read_b64 v[74:75], v1
.LBB34_663:
	s_and_saveexec_b64 s[0:1], s[2:3]
	s_cbranch_execz .LBB34_667
; %bb.664:
	s_mov_b32 s2, 0
	v_add_u32_e32 v1, 0x128, v12
	v_add3_u32 v12, v12, s2, 8
	s_mov_b64 s[2:3], 0
.LBB34_665:                             ; =>This Inner Loop Header: Depth=1
	scratch_load_dwordx2 v[76:77], v12, off
	ds_read_b64 v[78:79], v1
	v_add_u32_e32 v0, 1, v0
	v_cmp_lt_u32_e32 vcc, 32, v0
	v_add_u32_e32 v1, 8, v1
	v_add_u32_e32 v12, 8, v12
	s_or_b64 s[2:3], vcc, s[2:3]
	s_waitcnt vmcnt(0) lgkmcnt(0)
	v_fmac_f64_e32 v[74:75], v[76:77], v[78:79]
	s_andn2_b64 exec, exec, s[2:3]
	s_cbranch_execnz .LBB34_665
; %bb.666:
	s_or_b64 exec, exec, s[2:3]
.LBB34_667:
	s_or_b64 exec, exec, s[0:1]
	v_mov_b32_e32 v0, 0
	ds_read_b64 v[0:1], v0 offset:272
	s_waitcnt lgkmcnt(0)
	v_mul_f64 v[0:1], v[74:75], v[0:1]
	scratch_store_dwordx2 off, v[0:1], off offset:272
.LBB34_668:
	s_or_b64 exec, exec, s[4:5]
.LBB34_669:
	scratch_load_dwordx4 v[74:77], off, off
	s_waitcnt vmcnt(0)
	global_store_dwordx2 v[2:3], v[74:75], off
	global_store_dwordx2 v[4:5], v[76:77], off
	scratch_load_dwordx4 v[0:3], off, off offset:16
	s_waitcnt vmcnt(0)
	global_store_dwordx2 v[6:7], v[0:1], off
	global_store_dwordx2 v[8:9], v[2:3], off
	scratch_load_dwordx4 v[0:3], off, off offset:32
	s_waitcnt vmcnt(0)
	global_store_dwordx2 v[10:11], v[0:1], off
	global_store_dwordx2 v[14:15], v[2:3], off
	scratch_load_dwordx4 v[0:3], off, off offset:48
	s_waitcnt vmcnt(0)
	global_store_dwordx2 v[16:17], v[0:1], off
	global_store_dwordx2 v[18:19], v[2:3], off
	scratch_load_dwordx4 v[0:3], off, off offset:64
	s_waitcnt vmcnt(0)
	global_store_dwordx2 v[20:21], v[0:1], off
	global_store_dwordx2 v[22:23], v[2:3], off
	scratch_load_dwordx4 v[0:3], off, off offset:80
	s_waitcnt vmcnt(0)
	global_store_dwordx2 v[24:25], v[0:1], off
	global_store_dwordx2 v[26:27], v[2:3], off
	scratch_load_dwordx4 v[0:3], off, off offset:96
	s_waitcnt vmcnt(0)
	global_store_dwordx2 v[28:29], v[0:1], off
	global_store_dwordx2 v[30:31], v[2:3], off
	scratch_load_dwordx4 v[0:3], off, off offset:112
	s_waitcnt vmcnt(0)
	global_store_dwordx2 v[32:33], v[0:1], off
	global_store_dwordx2 v[34:35], v[2:3], off
	scratch_load_dwordx4 v[0:3], off, off offset:128
	s_waitcnt vmcnt(0)
	global_store_dwordx2 v[36:37], v[0:1], off
	global_store_dwordx2 v[38:39], v[2:3], off
	scratch_load_dwordx4 v[0:3], off, off offset:144
	s_waitcnt vmcnt(0)
	global_store_dwordx2 v[40:41], v[0:1], off
	global_store_dwordx2 v[42:43], v[2:3], off
	scratch_load_dwordx4 v[0:3], off, off offset:160
	s_waitcnt vmcnt(0)
	global_store_dwordx2 v[44:45], v[0:1], off
	global_store_dwordx2 v[46:47], v[2:3], off
	scratch_load_dwordx4 v[0:3], off, off offset:176
	s_waitcnt vmcnt(0)
	global_store_dwordx2 v[48:49], v[0:1], off
	global_store_dwordx2 v[50:51], v[2:3], off
	scratch_load_dwordx4 v[0:3], off, off offset:192
	s_waitcnt vmcnt(0)
	global_store_dwordx2 v[52:53], v[0:1], off
	global_store_dwordx2 v[54:55], v[2:3], off
	scratch_load_dwordx4 v[0:3], off, off offset:208
	s_waitcnt vmcnt(0)
	global_store_dwordx2 v[56:57], v[0:1], off
	global_store_dwordx2 v[58:59], v[2:3], off
	scratch_load_dwordx4 v[0:3], off, off offset:224
	s_waitcnt vmcnt(0)
	global_store_dwordx2 v[60:61], v[0:1], off
	global_store_dwordx2 v[62:63], v[2:3], off
	scratch_load_dwordx4 v[0:3], off, off offset:240
	s_waitcnt vmcnt(0)
	global_store_dwordx2 v[64:65], v[0:1], off
	global_store_dwordx2 v[68:69], v[2:3], off
	scratch_load_dwordx4 v[0:3], off, off offset:256
	s_waitcnt vmcnt(0)
	global_store_dwordx2 v[70:71], v[0:1], off
	global_store_dwordx2 v[72:73], v[2:3], off
	scratch_load_dwordx2 v[0:1], off, off offset:272
	s_waitcnt vmcnt(0)
	global_store_dwordx2 v[66:67], v[0:1], off
.LBB34_670:
	s_endpgm
	.section	.rodata,"a",@progbits
	.p2align	6, 0x0
	.amdhsa_kernel _ZN9rocsolver6v33100L18trti2_kernel_smallILi35EdPdEEv13rocblas_fill_17rocblas_diagonal_T1_iil
		.amdhsa_group_segment_fixed_size 568
		.amdhsa_private_segment_fixed_size 288
		.amdhsa_kernarg_size 32
		.amdhsa_user_sgpr_count 2
		.amdhsa_user_sgpr_dispatch_ptr 0
		.amdhsa_user_sgpr_queue_ptr 0
		.amdhsa_user_sgpr_kernarg_segment_ptr 1
		.amdhsa_user_sgpr_dispatch_id 0
		.amdhsa_user_sgpr_kernarg_preload_length 0
		.amdhsa_user_sgpr_kernarg_preload_offset 0
		.amdhsa_user_sgpr_private_segment_size 0
		.amdhsa_uses_dynamic_stack 0
		.amdhsa_enable_private_segment 1
		.amdhsa_system_sgpr_workgroup_id_x 1
		.amdhsa_system_sgpr_workgroup_id_y 0
		.amdhsa_system_sgpr_workgroup_id_z 0
		.amdhsa_system_sgpr_workgroup_info 0
		.amdhsa_system_vgpr_workitem_id 0
		.amdhsa_next_free_vgpr 84
		.amdhsa_next_free_sgpr 27
		.amdhsa_accum_offset 84
		.amdhsa_reserve_vcc 1
		.amdhsa_float_round_mode_32 0
		.amdhsa_float_round_mode_16_64 0
		.amdhsa_float_denorm_mode_32 3
		.amdhsa_float_denorm_mode_16_64 3
		.amdhsa_dx10_clamp 1
		.amdhsa_ieee_mode 1
		.amdhsa_fp16_overflow 0
		.amdhsa_tg_split 0
		.amdhsa_exception_fp_ieee_invalid_op 0
		.amdhsa_exception_fp_denorm_src 0
		.amdhsa_exception_fp_ieee_div_zero 0
		.amdhsa_exception_fp_ieee_overflow 0
		.amdhsa_exception_fp_ieee_underflow 0
		.amdhsa_exception_fp_ieee_inexact 0
		.amdhsa_exception_int_div_zero 0
	.end_amdhsa_kernel
	.section	.text._ZN9rocsolver6v33100L18trti2_kernel_smallILi35EdPdEEv13rocblas_fill_17rocblas_diagonal_T1_iil,"axG",@progbits,_ZN9rocsolver6v33100L18trti2_kernel_smallILi35EdPdEEv13rocblas_fill_17rocblas_diagonal_T1_iil,comdat
.Lfunc_end34:
	.size	_ZN9rocsolver6v33100L18trti2_kernel_smallILi35EdPdEEv13rocblas_fill_17rocblas_diagonal_T1_iil, .Lfunc_end34-_ZN9rocsolver6v33100L18trti2_kernel_smallILi35EdPdEEv13rocblas_fill_17rocblas_diagonal_T1_iil
                                        ; -- End function
	.set _ZN9rocsolver6v33100L18trti2_kernel_smallILi35EdPdEEv13rocblas_fill_17rocblas_diagonal_T1_iil.num_vgpr, 84
	.set _ZN9rocsolver6v33100L18trti2_kernel_smallILi35EdPdEEv13rocblas_fill_17rocblas_diagonal_T1_iil.num_agpr, 0
	.set _ZN9rocsolver6v33100L18trti2_kernel_smallILi35EdPdEEv13rocblas_fill_17rocblas_diagonal_T1_iil.numbered_sgpr, 27
	.set _ZN9rocsolver6v33100L18trti2_kernel_smallILi35EdPdEEv13rocblas_fill_17rocblas_diagonal_T1_iil.num_named_barrier, 0
	.set _ZN9rocsolver6v33100L18trti2_kernel_smallILi35EdPdEEv13rocblas_fill_17rocblas_diagonal_T1_iil.private_seg_size, 288
	.set _ZN9rocsolver6v33100L18trti2_kernel_smallILi35EdPdEEv13rocblas_fill_17rocblas_diagonal_T1_iil.uses_vcc, 1
	.set _ZN9rocsolver6v33100L18trti2_kernel_smallILi35EdPdEEv13rocblas_fill_17rocblas_diagonal_T1_iil.uses_flat_scratch, 0
	.set _ZN9rocsolver6v33100L18trti2_kernel_smallILi35EdPdEEv13rocblas_fill_17rocblas_diagonal_T1_iil.has_dyn_sized_stack, 0
	.set _ZN9rocsolver6v33100L18trti2_kernel_smallILi35EdPdEEv13rocblas_fill_17rocblas_diagonal_T1_iil.has_recursion, 0
	.set _ZN9rocsolver6v33100L18trti2_kernel_smallILi35EdPdEEv13rocblas_fill_17rocblas_diagonal_T1_iil.has_indirect_call, 0
	.section	.AMDGPU.csdata,"",@progbits
; Kernel info:
; codeLenInByte = 16532
; TotalNumSgprs: 33
; NumVgprs: 84
; NumAgprs: 0
; TotalNumVgprs: 84
; ScratchSize: 288
; MemoryBound: 0
; FloatMode: 240
; IeeeMode: 1
; LDSByteSize: 568 bytes/workgroup (compile time only)
; SGPRBlocks: 4
; VGPRBlocks: 10
; NumSGPRsForWavesPerEU: 33
; NumVGPRsForWavesPerEU: 84
; AccumOffset: 84
; Occupancy: 5
; WaveLimiterHint : 0
; COMPUTE_PGM_RSRC2:SCRATCH_EN: 1
; COMPUTE_PGM_RSRC2:USER_SGPR: 2
; COMPUTE_PGM_RSRC2:TRAP_HANDLER: 0
; COMPUTE_PGM_RSRC2:TGID_X_EN: 1
; COMPUTE_PGM_RSRC2:TGID_Y_EN: 0
; COMPUTE_PGM_RSRC2:TGID_Z_EN: 0
; COMPUTE_PGM_RSRC2:TIDIG_COMP_CNT: 0
; COMPUTE_PGM_RSRC3_GFX90A:ACCUM_OFFSET: 20
; COMPUTE_PGM_RSRC3_GFX90A:TG_SPLIT: 0
	.section	.text._ZN9rocsolver6v33100L18trti2_kernel_smallILi36EdPdEEv13rocblas_fill_17rocblas_diagonal_T1_iil,"axG",@progbits,_ZN9rocsolver6v33100L18trti2_kernel_smallILi36EdPdEEv13rocblas_fill_17rocblas_diagonal_T1_iil,comdat
	.globl	_ZN9rocsolver6v33100L18trti2_kernel_smallILi36EdPdEEv13rocblas_fill_17rocblas_diagonal_T1_iil ; -- Begin function _ZN9rocsolver6v33100L18trti2_kernel_smallILi36EdPdEEv13rocblas_fill_17rocblas_diagonal_T1_iil
	.p2align	8
	.type	_ZN9rocsolver6v33100L18trti2_kernel_smallILi36EdPdEEv13rocblas_fill_17rocblas_diagonal_T1_iil,@function
_ZN9rocsolver6v33100L18trti2_kernel_smallILi36EdPdEEv13rocblas_fill_17rocblas_diagonal_T1_iil: ; @_ZN9rocsolver6v33100L18trti2_kernel_smallILi36EdPdEEv13rocblas_fill_17rocblas_diagonal_T1_iil
; %bb.0:
	v_cmp_gt_u32_e32 vcc, 36, v0
	s_and_saveexec_b64 s[4:5], vcc
	s_cbranch_execz .LBB35_690
; %bb.1:
	s_load_dwordx8 s[4:11], s[0:1], 0x0
	s_ashr_i32 s3, s2, 31
	v_lshlrev_b32_e32 v16, 3, v0
	v_mov_b32_e32 v17, 0
	s_waitcnt lgkmcnt(0)
	s_ashr_i32 s1, s8, 31
	s_mov_b32 s0, s8
	s_mul_hi_u32 s8, s10, s2
	s_mul_i32 s3, s10, s3
	s_add_i32 s3, s8, s3
	s_mul_i32 s8, s11, s2
	s_add_i32 s3, s3, s8
	s_mul_i32 s2, s10, s2
	s_lshl_b64 s[2:3], s[2:3], 3
	s_add_u32 s2, s6, s2
	s_addc_u32 s3, s7, s3
	s_lshl_b64 s[0:1], s[0:1], 3
	s_add_u32 s0, s2, s0
	s_addc_u32 s1, s3, s1
	v_lshl_add_u64 v[2:3], s[0:1], 0, v[16:17]
	s_ashr_i32 s3, s9, 31
	s_mov_b32 s2, s9
	v_lshl_add_u64 v[4:5], s[2:3], 3, v[2:3]
	global_load_dwordx2 v[6:7], v16, s[0:1]
	global_load_dwordx2 v[8:9], v[4:5], off
	s_add_i32 s2, s9, s9
	s_cmpk_lg_i32 s5, 0x84
	s_cselect_b64 s[6:7], -1, 0
	s_cmpk_eq_i32 s5, 0x84
	s_waitcnt vmcnt(0)
	scratch_store_dwordx4 off, v[6:9], off
	s_nop 1
	v_add_u32_e32 v8, s2, v0
	v_add_u32_e32 v10, s9, v8
	v_ashrrev_i32_e32 v9, 31, v8
	v_ashrrev_i32_e32 v11, 31, v10
	v_lshl_add_u64 v[6:7], v[8:9], 3, s[0:1]
	v_lshl_add_u64 v[8:9], v[10:11], 3, s[0:1]
	global_load_dwordx2 v[12:13], v[6:7], off
	global_load_dwordx2 v[14:15], v[8:9], off
	s_waitcnt vmcnt(0)
	scratch_store_dwordx4 off, v[12:15], off offset:16
	s_nop 1
	v_add_u32_e32 v12, s9, v10
	v_add_u32_e32 v14, s9, v12
	v_ashrrev_i32_e32 v13, 31, v12
	v_ashrrev_i32_e32 v15, 31, v14
	v_lshl_add_u64 v[10:11], v[12:13], 3, s[0:1]
	v_lshl_add_u64 v[12:13], v[14:15], 3, s[0:1]
	global_load_dwordx2 v[18:19], v[10:11], off
	global_load_dwordx2 v[20:21], v[12:13], off
	s_waitcnt vmcnt(0)
	scratch_store_dwordx4 off, v[18:21], off offset:32
	s_nop 1
	v_add_u32_e32 v18, s9, v14
	v_add_u32_e32 v20, s9, v18
	v_ashrrev_i32_e32 v19, 31, v18
	v_ashrrev_i32_e32 v21, 31, v20
	v_lshl_add_u64 v[14:15], v[18:19], 3, s[0:1]
	v_lshl_add_u64 v[18:19], v[20:21], 3, s[0:1]
	global_load_dwordx2 v[22:23], v[14:15], off
	global_load_dwordx2 v[24:25], v[18:19], off
	s_waitcnt vmcnt(0)
	scratch_store_dwordx4 off, v[22:25], off offset:48
	s_nop 1
	v_add_u32_e32 v22, s9, v20
	v_add_u32_e32 v24, s9, v22
	v_ashrrev_i32_e32 v23, 31, v22
	v_ashrrev_i32_e32 v25, 31, v24
	v_lshl_add_u64 v[20:21], v[22:23], 3, s[0:1]
	v_lshl_add_u64 v[22:23], v[24:25], 3, s[0:1]
	global_load_dwordx2 v[26:27], v[20:21], off
	global_load_dwordx2 v[28:29], v[22:23], off
	s_waitcnt vmcnt(0)
	scratch_store_dwordx4 off, v[26:29], off offset:64
	s_nop 1
	v_add_u32_e32 v26, s9, v24
	v_add_u32_e32 v28, s9, v26
	v_ashrrev_i32_e32 v27, 31, v26
	v_ashrrev_i32_e32 v29, 31, v28
	v_lshl_add_u64 v[24:25], v[26:27], 3, s[0:1]
	v_lshl_add_u64 v[26:27], v[28:29], 3, s[0:1]
	global_load_dwordx2 v[30:31], v[24:25], off
	global_load_dwordx2 v[32:33], v[26:27], off
	s_waitcnt vmcnt(0)
	scratch_store_dwordx4 off, v[30:33], off offset:80
	s_nop 1
	v_add_u32_e32 v30, s9, v28
	v_add_u32_e32 v32, s9, v30
	v_ashrrev_i32_e32 v31, 31, v30
	v_ashrrev_i32_e32 v33, 31, v32
	v_lshl_add_u64 v[28:29], v[30:31], 3, s[0:1]
	v_lshl_add_u64 v[30:31], v[32:33], 3, s[0:1]
	global_load_dwordx2 v[34:35], v[28:29], off
	global_load_dwordx2 v[36:37], v[30:31], off
	s_waitcnt vmcnt(0)
	scratch_store_dwordx4 off, v[34:37], off offset:96
	s_nop 1
	v_add_u32_e32 v34, s9, v32
	v_add_u32_e32 v36, s9, v34
	v_ashrrev_i32_e32 v35, 31, v34
	v_ashrrev_i32_e32 v37, 31, v36
	v_lshl_add_u64 v[32:33], v[34:35], 3, s[0:1]
	v_lshl_add_u64 v[34:35], v[36:37], 3, s[0:1]
	global_load_dwordx2 v[38:39], v[32:33], off
	global_load_dwordx2 v[40:41], v[34:35], off
	s_waitcnt vmcnt(0)
	scratch_store_dwordx4 off, v[38:41], off offset:112
	s_nop 1
	v_add_u32_e32 v38, s9, v36
	v_add_u32_e32 v40, s9, v38
	v_ashrrev_i32_e32 v39, 31, v38
	v_ashrrev_i32_e32 v41, 31, v40
	v_lshl_add_u64 v[36:37], v[38:39], 3, s[0:1]
	v_lshl_add_u64 v[38:39], v[40:41], 3, s[0:1]
	global_load_dwordx2 v[42:43], v[36:37], off
	global_load_dwordx2 v[44:45], v[38:39], off
	s_waitcnt vmcnt(0)
	scratch_store_dwordx4 off, v[42:45], off offset:128
	s_nop 1
	v_add_u32_e32 v42, s9, v40
	v_add_u32_e32 v44, s9, v42
	v_ashrrev_i32_e32 v43, 31, v42
	v_ashrrev_i32_e32 v45, 31, v44
	v_lshl_add_u64 v[40:41], v[42:43], 3, s[0:1]
	v_lshl_add_u64 v[42:43], v[44:45], 3, s[0:1]
	global_load_dwordx2 v[46:47], v[40:41], off
	global_load_dwordx2 v[48:49], v[42:43], off
	s_waitcnt vmcnt(0)
	scratch_store_dwordx4 off, v[46:49], off offset:144
	s_nop 1
	v_add_u32_e32 v46, s9, v44
	v_add_u32_e32 v48, s9, v46
	v_ashrrev_i32_e32 v47, 31, v46
	v_ashrrev_i32_e32 v49, 31, v48
	v_lshl_add_u64 v[44:45], v[46:47], 3, s[0:1]
	v_lshl_add_u64 v[46:47], v[48:49], 3, s[0:1]
	global_load_dwordx2 v[50:51], v[44:45], off
	global_load_dwordx2 v[52:53], v[46:47], off
	s_waitcnt vmcnt(0)
	scratch_store_dwordx4 off, v[50:53], off offset:160
	s_nop 1
	v_add_u32_e32 v50, s9, v48
	v_add_u32_e32 v52, s9, v50
	v_ashrrev_i32_e32 v51, 31, v50
	v_ashrrev_i32_e32 v53, 31, v52
	v_lshl_add_u64 v[48:49], v[50:51], 3, s[0:1]
	v_lshl_add_u64 v[50:51], v[52:53], 3, s[0:1]
	global_load_dwordx2 v[54:55], v[48:49], off
	global_load_dwordx2 v[56:57], v[50:51], off
	s_waitcnt vmcnt(0)
	scratch_store_dwordx4 off, v[54:57], off offset:176
	s_nop 1
	v_add_u32_e32 v54, s9, v52
	v_add_u32_e32 v56, s9, v54
	v_ashrrev_i32_e32 v55, 31, v54
	v_ashrrev_i32_e32 v57, 31, v56
	v_lshl_add_u64 v[52:53], v[54:55], 3, s[0:1]
	v_lshl_add_u64 v[54:55], v[56:57], 3, s[0:1]
	global_load_dwordx2 v[58:59], v[52:53], off
	global_load_dwordx2 v[60:61], v[54:55], off
	s_waitcnt vmcnt(0)
	scratch_store_dwordx4 off, v[58:61], off offset:192
	s_nop 1
	v_add_u32_e32 v58, s9, v56
	v_add_u32_e32 v60, s9, v58
	v_ashrrev_i32_e32 v59, 31, v58
	v_ashrrev_i32_e32 v61, 31, v60
	v_lshl_add_u64 v[56:57], v[58:59], 3, s[0:1]
	v_lshl_add_u64 v[58:59], v[60:61], 3, s[0:1]
	global_load_dwordx2 v[62:63], v[56:57], off
	global_load_dwordx2 v[64:65], v[58:59], off
	s_waitcnt vmcnt(0)
	scratch_store_dwordx4 off, v[62:65], off offset:208
	s_nop 1
	v_add_u32_e32 v62, s9, v60
	v_ashrrev_i32_e32 v63, 31, v62
	v_lshl_add_u64 v[60:61], v[62:63], 3, s[0:1]
	v_add_u32_e32 v62, s9, v62
	v_ashrrev_i32_e32 v63, 31, v62
	v_lshl_add_u64 v[64:65], v[62:63], 3, s[0:1]
	global_load_dwordx2 v[66:67], v[60:61], off
	global_load_dwordx2 v[68:69], v[64:65], off
	v_add_u32_e32 v62, s9, v62
	v_ashrrev_i32_e32 v63, 31, v62
	s_waitcnt vmcnt(0)
	scratch_store_dwordx4 off, v[66:69], off offset:224
	s_nop 1
	v_lshl_add_u64 v[68:69], v[62:63], 3, s[0:1]
	v_add_u32_e32 v62, s9, v62
	v_ashrrev_i32_e32 v63, 31, v62
	v_lshl_add_u64 v[70:71], v[62:63], 3, s[0:1]
	global_load_dwordx2 v[72:73], v[68:69], off
	global_load_dwordx2 v[74:75], v[70:71], off
	v_add_u32_e32 v62, s9, v62
	v_ashrrev_i32_e32 v63, 31, v62
	s_waitcnt vmcnt(0)
	scratch_store_dwordx4 off, v[72:75], off offset:240
	s_nop 1
	v_lshl_add_u64 v[72:73], v[62:63], 3, s[0:1]
	v_add_u32_e32 v62, s9, v62
	v_ashrrev_i32_e32 v63, 31, v62
	v_lshl_add_u64 v[74:75], v[62:63], 3, s[0:1]
	global_load_dwordx2 v[76:77], v[72:73], off
	global_load_dwordx2 v[78:79], v[74:75], off
	v_add_u32_e32 v66, s9, v62
	v_ashrrev_i32_e32 v67, 31, v66
	v_lshl_add_u64 v[62:63], v[66:67], 3, s[0:1]
	v_add_u32_e32 v66, s9, v66
	v_ashrrev_i32_e32 v67, 31, v66
	v_lshl_add_u64 v[66:67], v[66:67], 3, s[0:1]
	s_waitcnt vmcnt(0)
	scratch_store_dwordx4 off, v[76:79], off offset:256
	global_load_dwordx2 v[76:77], v[62:63], off
	s_nop 0
	global_load_dwordx2 v[78:79], v[66:67], off
	s_waitcnt vmcnt(0)
	scratch_store_dwordx4 off, v[76:79], off offset:272
	s_nop 1
	v_mov_b64_e32 v[76:77], -1.0
	s_cbranch_scc1 .LBB35_3
; %bb.2:
	scratch_load_dwordx2 v[76:77], v16, off
	s_waitcnt vmcnt(0)
	v_div_scale_f64 v[78:79], s[0:1], v[76:77], v[76:77], 1.0
	v_rcp_f64_e32 v[80:81], v[78:79]
	v_div_scale_f64 v[82:83], vcc, 1.0, v[76:77], 1.0
	v_fma_f64 v[84:85], -v[78:79], v[80:81], 1.0
	v_fmac_f64_e32 v[80:81], v[80:81], v[84:85]
	v_fma_f64 v[84:85], -v[78:79], v[80:81], 1.0
	v_fmac_f64_e32 v[80:81], v[80:81], v[84:85]
	v_mul_f64 v[84:85], v[82:83], v[80:81]
	v_fma_f64 v[78:79], -v[78:79], v[84:85], v[82:83]
	v_div_fmas_f64 v[78:79], v[78:79], v[80:81], v[84:85]
	v_div_fixup_f64 v[76:77], v[78:79], v[76:77], 1.0
	scratch_store_dwordx2 v16, v[76:77], off
	v_xor_b32_e32 v77, 0x80000000, v77
.LBB35_3:
	s_cmpk_eq_i32 s4, 0x79
	v_add_u32_e32 v1, 0x120, v16
	v_mov_b32_e32 v17, v16
	s_mov_b64 s[0:1], -1
	ds_write_b64 v16, v[76:77]
	s_cbranch_scc1 .LBB35_347
; %bb.4:
	scratch_load_dwordx2 v[76:77], off, off offset:272
	s_movk_i32 s8, 0x50
	s_movk_i32 s9, 0x60
	;; [unrolled: 1-line block ×12, first 2 shown]
	v_cmp_eq_u32_e64 s[0:1], 35, v0
	s_waitcnt vmcnt(0)
	ds_write_b64 v1, v[76:77]
	s_waitcnt lgkmcnt(0)
	; wave barrier
	s_and_saveexec_b64 s[2:3], s[0:1]
	s_cbranch_execz .LBB35_10
; %bb.5:
	s_and_b64 vcc, exec, s[6:7]
	s_cbranch_vccz .LBB35_7
; %bb.6:
	scratch_load_dwordx2 v[76:77], v17, off
	ds_read_b64 v[78:79], v1
	s_waitcnt vmcnt(0) lgkmcnt(0)
	v_mul_f64 v[76:77], v[76:77], v[78:79]
	s_cbranch_execz .LBB35_8
	s_branch .LBB35_9
.LBB35_7:
                                        ; implicit-def: $vgpr76_vgpr77
.LBB35_8:
	ds_read_b64 v[76:77], v1
.LBB35_9:
	v_mov_b32_e32 v78, 0
	ds_read_b64 v[78:79], v78 offset:272
	s_waitcnt lgkmcnt(0)
	v_mul_f64 v[76:77], v[76:77], v[78:79]
	scratch_store_dwordx2 off, v[76:77], off offset:272
.LBB35_10:
	s_or_b64 exec, exec, s[2:3]
	scratch_load_dwordx2 v[76:77], off, off offset:264
	s_mov_b32 s10, 16
	s_mov_b32 s11, 32
	;; [unrolled: 1-line block ×6, first 2 shown]
	v_cmp_lt_u32_e64 s[2:3], 33, v0
	s_waitcnt vmcnt(0)
	ds_write_b64 v1, v[76:77]
	s_waitcnt lgkmcnt(0)
	; wave barrier
	s_and_saveexec_b64 s[4:5], s[2:3]
	s_cbranch_execz .LBB35_16
; %bb.11:
	s_andn2_b64 vcc, exec, s[6:7]
	s_cbranch_vccnz .LBB35_13
; %bb.12:
	scratch_load_dwordx2 v[76:77], v17, off
	ds_read_b64 v[78:79], v1
	s_waitcnt vmcnt(0) lgkmcnt(0)
	v_mul_f64 v[76:77], v[76:77], v[78:79]
	s_cbranch_execz .LBB35_14
	s_branch .LBB35_15
.LBB35_13:
                                        ; implicit-def: $vgpr76_vgpr77
.LBB35_14:
	ds_read_b64 v[76:77], v1
.LBB35_15:
	scratch_load_dwordx2 v[82:83], off, off offset:272
	v_mov_b32_e32 v78, 0
	ds_read2_b64 v[78:81], v78 offset0:33 offset1:70
	s_waitcnt vmcnt(0) lgkmcnt(0)
	v_fma_f64 v[80:81], v[82:83], v[80:81], v[76:77]
	v_cndmask_b32_e64 v77, v77, v81, s[0:1]
	v_cndmask_b32_e64 v76, v76, v80, s[0:1]
	v_mul_f64 v[76:77], v[76:77], v[78:79]
	scratch_store_dwordx2 off, v[76:77], off offset:264
.LBB35_16:
	s_or_b64 exec, exec, s[4:5]
	scratch_load_dwordx2 v[76:77], off, off offset:256
	v_cmp_lt_u32_e64 s[0:1], 32, v0
	s_waitcnt vmcnt(0)
	ds_write_b64 v1, v[76:77]
	s_waitcnt lgkmcnt(0)
	; wave barrier
	s_and_saveexec_b64 s[4:5], s[0:1]
	s_cbranch_execz .LBB35_26
; %bb.17:
	s_andn2_b64 vcc, exec, s[6:7]
	s_cbranch_vccnz .LBB35_19
; %bb.18:
	scratch_load_dwordx2 v[76:77], v17, off
	ds_read_b64 v[78:79], v1
	s_waitcnt vmcnt(0) lgkmcnt(0)
	v_mul_f64 v[76:77], v[76:77], v[78:79]
	s_cbranch_execz .LBB35_20
	s_branch .LBB35_21
.LBB35_19:
                                        ; implicit-def: $vgpr76_vgpr77
.LBB35_20:
	ds_read_b64 v[76:77], v1
.LBB35_21:
	s_and_saveexec_b64 s[8:9], s[2:3]
	s_cbranch_execz .LBB35_25
; %bb.22:
	s_movk_i32 s26, 0x108
	v_subrev_u32_e32 v78, 33, v0
	s_movk_i32 s27, 0x228
	s_mov_b64 s[2:3], 0
.LBB35_23:                              ; =>This Inner Loop Header: Depth=1
	scratch_load_dwordx2 v[80:81], off, s26
	v_mov_b32_e32 v79, s27
	ds_read_b64 v[82:83], v79
	v_add_u32_e32 v78, -1, v78
	s_add_i32 s27, s27, 8
	s_add_i32 s26, s26, 8
	v_cmp_eq_u32_e32 vcc, 0, v78
	s_or_b64 s[2:3], vcc, s[2:3]
	s_waitcnt vmcnt(0) lgkmcnt(0)
	v_fmac_f64_e32 v[76:77], v[80:81], v[82:83]
	s_andn2_b64 exec, exec, s[2:3]
	s_cbranch_execnz .LBB35_23
; %bb.24:
	s_or_b64 exec, exec, s[2:3]
.LBB35_25:
	s_or_b64 exec, exec, s[8:9]
	v_mov_b32_e32 v78, 0
	ds_read_b64 v[78:79], v78 offset:256
	s_waitcnt lgkmcnt(0)
	v_mul_f64 v[76:77], v[76:77], v[78:79]
	scratch_store_dwordx2 off, v[76:77], off offset:256
.LBB35_26:
	s_or_b64 exec, exec, s[4:5]
	scratch_load_dwordx2 v[76:77], off, off offset:248
	v_cmp_lt_u32_e64 s[2:3], 31, v0
	s_waitcnt vmcnt(0)
	ds_write_b64 v1, v[76:77]
	s_waitcnt lgkmcnt(0)
	; wave barrier
	s_and_saveexec_b64 s[4:5], s[2:3]
	s_cbranch_execz .LBB35_36
; %bb.27:
	s_andn2_b64 vcc, exec, s[6:7]
	s_cbranch_vccnz .LBB35_29
; %bb.28:
	scratch_load_dwordx2 v[76:77], v17, off
	ds_read_b64 v[78:79], v1
	s_waitcnt vmcnt(0) lgkmcnt(0)
	v_mul_f64 v[76:77], v[76:77], v[78:79]
	s_cbranch_execz .LBB35_30
	s_branch .LBB35_31
.LBB35_29:
                                        ; implicit-def: $vgpr76_vgpr77
.LBB35_30:
	ds_read_b64 v[76:77], v1
.LBB35_31:
	s_and_saveexec_b64 s[8:9], s[0:1]
	s_cbranch_execz .LBB35_35
; %bb.32:
	v_subrev_u32_e32 v78, 32, v0
	s_movk_i32 s26, 0x220
	s_mov_b64 s[0:1], 0
.LBB35_33:                              ; =>This Inner Loop Header: Depth=1
	scratch_load_dwordx2 v[80:81], off, s25
	v_mov_b32_e32 v79, s26
	ds_read_b64 v[82:83], v79
	v_add_u32_e32 v78, -1, v78
	s_add_i32 s26, s26, 8
	s_add_i32 s25, s25, 8
	v_cmp_eq_u32_e32 vcc, 0, v78
	s_or_b64 s[0:1], vcc, s[0:1]
	s_waitcnt vmcnt(0) lgkmcnt(0)
	v_fmac_f64_e32 v[76:77], v[80:81], v[82:83]
	s_andn2_b64 exec, exec, s[0:1]
	s_cbranch_execnz .LBB35_33
; %bb.34:
	s_or_b64 exec, exec, s[0:1]
.LBB35_35:
	s_or_b64 exec, exec, s[8:9]
	v_mov_b32_e32 v78, 0
	ds_read_b64 v[78:79], v78 offset:248
	s_waitcnt lgkmcnt(0)
	v_mul_f64 v[76:77], v[76:77], v[78:79]
	scratch_store_dwordx2 off, v[76:77], off offset:248
.LBB35_36:
	s_or_b64 exec, exec, s[4:5]
	scratch_load_dwordx2 v[76:77], off, off offset:240
	v_cmp_lt_u32_e64 s[0:1], 30, v0
	s_waitcnt vmcnt(0)
	ds_write_b64 v1, v[76:77]
	s_waitcnt lgkmcnt(0)
	; wave barrier
	s_and_saveexec_b64 s[4:5], s[0:1]
	s_cbranch_execz .LBB35_46
; %bb.37:
	s_andn2_b64 vcc, exec, s[6:7]
	s_cbranch_vccnz .LBB35_39
; %bb.38:
	scratch_load_dwordx2 v[76:77], v17, off
	ds_read_b64 v[78:79], v1
	s_waitcnt vmcnt(0) lgkmcnt(0)
	v_mul_f64 v[76:77], v[76:77], v[78:79]
	s_cbranch_execz .LBB35_40
	s_branch .LBB35_41
.LBB35_39:
                                        ; implicit-def: $vgpr76_vgpr77
.LBB35_40:
	ds_read_b64 v[76:77], v1
.LBB35_41:
	s_and_saveexec_b64 s[8:9], s[2:3]
	s_cbranch_execz .LBB35_45
; %bb.42:
	s_movk_i32 s25, 0xf8
	v_subrev_u32_e32 v78, 31, v0
	s_movk_i32 s26, 0x218
	s_mov_b64 s[2:3], 0
.LBB35_43:                              ; =>This Inner Loop Header: Depth=1
	scratch_load_dwordx2 v[80:81], off, s25
	v_mov_b32_e32 v79, s26
	ds_read_b64 v[82:83], v79
	v_add_u32_e32 v78, -1, v78
	s_add_i32 s26, s26, 8
	s_add_i32 s25, s25, 8
	v_cmp_eq_u32_e32 vcc, 0, v78
	s_or_b64 s[2:3], vcc, s[2:3]
	s_waitcnt vmcnt(0) lgkmcnt(0)
	v_fmac_f64_e32 v[76:77], v[80:81], v[82:83]
	s_andn2_b64 exec, exec, s[2:3]
	s_cbranch_execnz .LBB35_43
; %bb.44:
	s_or_b64 exec, exec, s[2:3]
.LBB35_45:
	s_or_b64 exec, exec, s[8:9]
	v_mov_b32_e32 v78, 0
	ds_read_b64 v[78:79], v78 offset:240
	s_waitcnt lgkmcnt(0)
	v_mul_f64 v[76:77], v[76:77], v[78:79]
	scratch_store_dwordx2 off, v[76:77], off offset:240
.LBB35_46:
	s_or_b64 exec, exec, s[4:5]
	scratch_load_dwordx2 v[76:77], off, off offset:232
	v_cmp_lt_u32_e64 s[2:3], 29, v0
	s_waitcnt vmcnt(0)
	ds_write_b64 v1, v[76:77]
	s_waitcnt lgkmcnt(0)
	; wave barrier
	s_and_saveexec_b64 s[4:5], s[2:3]
	s_cbranch_execz .LBB35_56
; %bb.47:
	s_andn2_b64 vcc, exec, s[6:7]
	s_cbranch_vccnz .LBB35_49
; %bb.48:
	scratch_load_dwordx2 v[76:77], v17, off
	ds_read_b64 v[78:79], v1
	s_waitcnt vmcnt(0) lgkmcnt(0)
	v_mul_f64 v[76:77], v[76:77], v[78:79]
	s_cbranch_execz .LBB35_50
	s_branch .LBB35_51
.LBB35_49:
                                        ; implicit-def: $vgpr76_vgpr77
.LBB35_50:
	ds_read_b64 v[76:77], v1
.LBB35_51:
	s_and_saveexec_b64 s[8:9], s[0:1]
	s_cbranch_execz .LBB35_55
; %bb.52:
	v_subrev_u32_e32 v78, 30, v0
	s_movk_i32 s25, 0x210
	s_mov_b64 s[0:1], 0
.LBB35_53:                              ; =>This Inner Loop Header: Depth=1
	scratch_load_dwordx2 v[80:81], off, s24
	v_mov_b32_e32 v79, s25
	ds_read_b64 v[82:83], v79
	v_add_u32_e32 v78, -1, v78
	s_add_i32 s25, s25, 8
	s_add_i32 s24, s24, 8
	v_cmp_eq_u32_e32 vcc, 0, v78
	s_or_b64 s[0:1], vcc, s[0:1]
	s_waitcnt vmcnt(0) lgkmcnt(0)
	v_fmac_f64_e32 v[76:77], v[80:81], v[82:83]
	s_andn2_b64 exec, exec, s[0:1]
	s_cbranch_execnz .LBB35_53
; %bb.54:
	s_or_b64 exec, exec, s[0:1]
.LBB35_55:
	s_or_b64 exec, exec, s[8:9]
	v_mov_b32_e32 v78, 0
	ds_read_b64 v[78:79], v78 offset:232
	s_waitcnt lgkmcnt(0)
	v_mul_f64 v[76:77], v[76:77], v[78:79]
	scratch_store_dwordx2 off, v[76:77], off offset:232
.LBB35_56:
	s_or_b64 exec, exec, s[4:5]
	scratch_load_dwordx2 v[76:77], off, off offset:224
	v_cmp_lt_u32_e64 s[0:1], 28, v0
	s_waitcnt vmcnt(0)
	ds_write_b64 v1, v[76:77]
	s_waitcnt lgkmcnt(0)
	; wave barrier
	s_and_saveexec_b64 s[4:5], s[0:1]
	s_cbranch_execz .LBB35_66
; %bb.57:
	s_andn2_b64 vcc, exec, s[6:7]
	s_cbranch_vccnz .LBB35_59
; %bb.58:
	scratch_load_dwordx2 v[76:77], v17, off
	ds_read_b64 v[78:79], v1
	s_waitcnt vmcnt(0) lgkmcnt(0)
	v_mul_f64 v[76:77], v[76:77], v[78:79]
	s_cbranch_execz .LBB35_60
	s_branch .LBB35_61
.LBB35_59:
                                        ; implicit-def: $vgpr76_vgpr77
.LBB35_60:
	ds_read_b64 v[76:77], v1
.LBB35_61:
	s_and_saveexec_b64 s[8:9], s[2:3]
	s_cbranch_execz .LBB35_65
; %bb.62:
	s_movk_i32 s24, 0xe8
	v_subrev_u32_e32 v78, 29, v0
	s_movk_i32 s25, 0x208
	s_mov_b64 s[2:3], 0
.LBB35_63:                              ; =>This Inner Loop Header: Depth=1
	scratch_load_dwordx2 v[80:81], off, s24
	v_mov_b32_e32 v79, s25
	ds_read_b64 v[82:83], v79
	v_add_u32_e32 v78, -1, v78
	s_add_i32 s25, s25, 8
	s_add_i32 s24, s24, 8
	v_cmp_eq_u32_e32 vcc, 0, v78
	s_or_b64 s[2:3], vcc, s[2:3]
	s_waitcnt vmcnt(0) lgkmcnt(0)
	v_fmac_f64_e32 v[76:77], v[80:81], v[82:83]
	s_andn2_b64 exec, exec, s[2:3]
	s_cbranch_execnz .LBB35_63
; %bb.64:
	s_or_b64 exec, exec, s[2:3]
.LBB35_65:
	s_or_b64 exec, exec, s[8:9]
	v_mov_b32_e32 v78, 0
	ds_read_b64 v[78:79], v78 offset:224
	s_waitcnt lgkmcnt(0)
	v_mul_f64 v[76:77], v[76:77], v[78:79]
	scratch_store_dwordx2 off, v[76:77], off offset:224
.LBB35_66:
	s_or_b64 exec, exec, s[4:5]
	scratch_load_dwordx2 v[76:77], off, off offset:216
	v_cmp_lt_u32_e64 s[2:3], 27, v0
	s_waitcnt vmcnt(0)
	ds_write_b64 v1, v[76:77]
	s_waitcnt lgkmcnt(0)
	; wave barrier
	s_and_saveexec_b64 s[4:5], s[2:3]
	s_cbranch_execz .LBB35_76
; %bb.67:
	s_andn2_b64 vcc, exec, s[6:7]
	s_cbranch_vccnz .LBB35_69
; %bb.68:
	scratch_load_dwordx2 v[76:77], v17, off
	ds_read_b64 v[78:79], v1
	s_waitcnt vmcnt(0) lgkmcnt(0)
	v_mul_f64 v[76:77], v[76:77], v[78:79]
	s_cbranch_execz .LBB35_70
	s_branch .LBB35_71
.LBB35_69:
                                        ; implicit-def: $vgpr76_vgpr77
.LBB35_70:
	ds_read_b64 v[76:77], v1
.LBB35_71:
	s_and_saveexec_b64 s[8:9], s[0:1]
	s_cbranch_execz .LBB35_75
; %bb.72:
	v_subrev_u32_e32 v78, 28, v0
	s_movk_i32 s24, 0x200
	s_mov_b64 s[0:1], 0
.LBB35_73:                              ; =>This Inner Loop Header: Depth=1
	scratch_load_dwordx2 v[80:81], off, s23
	v_mov_b32_e32 v79, s24
	ds_read_b64 v[82:83], v79
	v_add_u32_e32 v78, -1, v78
	s_add_i32 s24, s24, 8
	s_add_i32 s23, s23, 8
	v_cmp_eq_u32_e32 vcc, 0, v78
	s_or_b64 s[0:1], vcc, s[0:1]
	s_waitcnt vmcnt(0) lgkmcnt(0)
	v_fmac_f64_e32 v[76:77], v[80:81], v[82:83]
	s_andn2_b64 exec, exec, s[0:1]
	s_cbranch_execnz .LBB35_73
; %bb.74:
	s_or_b64 exec, exec, s[0:1]
.LBB35_75:
	s_or_b64 exec, exec, s[8:9]
	v_mov_b32_e32 v78, 0
	ds_read_b64 v[78:79], v78 offset:216
	s_waitcnt lgkmcnt(0)
	v_mul_f64 v[76:77], v[76:77], v[78:79]
	scratch_store_dwordx2 off, v[76:77], off offset:216
.LBB35_76:
	s_or_b64 exec, exec, s[4:5]
	scratch_load_dwordx2 v[76:77], off, off offset:208
	v_cmp_lt_u32_e64 s[0:1], 26, v0
	s_waitcnt vmcnt(0)
	ds_write_b64 v1, v[76:77]
	s_waitcnt lgkmcnt(0)
	; wave barrier
	s_and_saveexec_b64 s[4:5], s[0:1]
	s_cbranch_execz .LBB35_86
; %bb.77:
	s_andn2_b64 vcc, exec, s[6:7]
	s_cbranch_vccnz .LBB35_79
; %bb.78:
	scratch_load_dwordx2 v[76:77], v17, off
	ds_read_b64 v[78:79], v1
	s_waitcnt vmcnt(0) lgkmcnt(0)
	v_mul_f64 v[76:77], v[76:77], v[78:79]
	s_cbranch_execz .LBB35_80
	s_branch .LBB35_81
.LBB35_79:
                                        ; implicit-def: $vgpr76_vgpr77
.LBB35_80:
	ds_read_b64 v[76:77], v1
.LBB35_81:
	s_and_saveexec_b64 s[8:9], s[2:3]
	s_cbranch_execz .LBB35_85
; %bb.82:
	s_movk_i32 s23, 0xd8
	v_subrev_u32_e32 v78, 27, v0
	s_movk_i32 s24, 0x1f8
	s_mov_b64 s[2:3], 0
.LBB35_83:                              ; =>This Inner Loop Header: Depth=1
	scratch_load_dwordx2 v[80:81], off, s23
	v_mov_b32_e32 v79, s24
	ds_read_b64 v[82:83], v79
	v_add_u32_e32 v78, -1, v78
	s_add_i32 s24, s24, 8
	s_add_i32 s23, s23, 8
	v_cmp_eq_u32_e32 vcc, 0, v78
	s_or_b64 s[2:3], vcc, s[2:3]
	s_waitcnt vmcnt(0) lgkmcnt(0)
	v_fmac_f64_e32 v[76:77], v[80:81], v[82:83]
	s_andn2_b64 exec, exec, s[2:3]
	s_cbranch_execnz .LBB35_83
; %bb.84:
	s_or_b64 exec, exec, s[2:3]
.LBB35_85:
	s_or_b64 exec, exec, s[8:9]
	v_mov_b32_e32 v78, 0
	ds_read_b64 v[78:79], v78 offset:208
	s_waitcnt lgkmcnt(0)
	v_mul_f64 v[76:77], v[76:77], v[78:79]
	scratch_store_dwordx2 off, v[76:77], off offset:208
.LBB35_86:
	s_or_b64 exec, exec, s[4:5]
	scratch_load_dwordx2 v[76:77], off, off offset:200
	v_cmp_lt_u32_e64 s[2:3], 25, v0
	s_waitcnt vmcnt(0)
	ds_write_b64 v1, v[76:77]
	s_waitcnt lgkmcnt(0)
	; wave barrier
	s_and_saveexec_b64 s[4:5], s[2:3]
	s_cbranch_execz .LBB35_96
; %bb.87:
	s_andn2_b64 vcc, exec, s[6:7]
	s_cbranch_vccnz .LBB35_89
; %bb.88:
	scratch_load_dwordx2 v[76:77], v17, off
	ds_read_b64 v[78:79], v1
	s_waitcnt vmcnt(0) lgkmcnt(0)
	v_mul_f64 v[76:77], v[76:77], v[78:79]
	s_cbranch_execz .LBB35_90
	s_branch .LBB35_91
.LBB35_89:
                                        ; implicit-def: $vgpr76_vgpr77
.LBB35_90:
	ds_read_b64 v[76:77], v1
.LBB35_91:
	s_and_saveexec_b64 s[8:9], s[0:1]
	s_cbranch_execz .LBB35_95
; %bb.92:
	v_subrev_u32_e32 v78, 26, v0
	s_movk_i32 s23, 0x1f0
	s_mov_b64 s[0:1], 0
.LBB35_93:                              ; =>This Inner Loop Header: Depth=1
	scratch_load_dwordx2 v[80:81], off, s22
	v_mov_b32_e32 v79, s23
	ds_read_b64 v[82:83], v79
	v_add_u32_e32 v78, -1, v78
	s_add_i32 s23, s23, 8
	s_add_i32 s22, s22, 8
	v_cmp_eq_u32_e32 vcc, 0, v78
	s_or_b64 s[0:1], vcc, s[0:1]
	s_waitcnt vmcnt(0) lgkmcnt(0)
	v_fmac_f64_e32 v[76:77], v[80:81], v[82:83]
	s_andn2_b64 exec, exec, s[0:1]
	s_cbranch_execnz .LBB35_93
; %bb.94:
	s_or_b64 exec, exec, s[0:1]
.LBB35_95:
	s_or_b64 exec, exec, s[8:9]
	v_mov_b32_e32 v78, 0
	ds_read_b64 v[78:79], v78 offset:200
	s_waitcnt lgkmcnt(0)
	v_mul_f64 v[76:77], v[76:77], v[78:79]
	scratch_store_dwordx2 off, v[76:77], off offset:200
.LBB35_96:
	s_or_b64 exec, exec, s[4:5]
	scratch_load_dwordx2 v[76:77], off, off offset:192
	v_cmp_lt_u32_e64 s[0:1], 24, v0
	s_waitcnt vmcnt(0)
	ds_write_b64 v1, v[76:77]
	s_waitcnt lgkmcnt(0)
	; wave barrier
	s_and_saveexec_b64 s[4:5], s[0:1]
	s_cbranch_execz .LBB35_106
; %bb.97:
	s_andn2_b64 vcc, exec, s[6:7]
	s_cbranch_vccnz .LBB35_99
; %bb.98:
	scratch_load_dwordx2 v[76:77], v17, off
	ds_read_b64 v[78:79], v1
	s_waitcnt vmcnt(0) lgkmcnt(0)
	v_mul_f64 v[76:77], v[76:77], v[78:79]
	s_cbranch_execz .LBB35_100
	s_branch .LBB35_101
.LBB35_99:
                                        ; implicit-def: $vgpr76_vgpr77
.LBB35_100:
	ds_read_b64 v[76:77], v1
.LBB35_101:
	s_and_saveexec_b64 s[8:9], s[2:3]
	s_cbranch_execz .LBB35_105
; %bb.102:
	s_movk_i32 s22, 0xc8
	v_subrev_u32_e32 v78, 25, v0
	s_movk_i32 s23, 0x1e8
	s_mov_b64 s[2:3], 0
.LBB35_103:                             ; =>This Inner Loop Header: Depth=1
	scratch_load_dwordx2 v[80:81], off, s22
	v_mov_b32_e32 v79, s23
	ds_read_b64 v[82:83], v79
	v_add_u32_e32 v78, -1, v78
	s_add_i32 s23, s23, 8
	s_add_i32 s22, s22, 8
	v_cmp_eq_u32_e32 vcc, 0, v78
	s_or_b64 s[2:3], vcc, s[2:3]
	s_waitcnt vmcnt(0) lgkmcnt(0)
	v_fmac_f64_e32 v[76:77], v[80:81], v[82:83]
	s_andn2_b64 exec, exec, s[2:3]
	s_cbranch_execnz .LBB35_103
; %bb.104:
	s_or_b64 exec, exec, s[2:3]
.LBB35_105:
	s_or_b64 exec, exec, s[8:9]
	v_mov_b32_e32 v78, 0
	ds_read_b64 v[78:79], v78 offset:192
	s_waitcnt lgkmcnt(0)
	v_mul_f64 v[76:77], v[76:77], v[78:79]
	scratch_store_dwordx2 off, v[76:77], off offset:192
.LBB35_106:
	s_or_b64 exec, exec, s[4:5]
	scratch_load_dwordx2 v[76:77], off, off offset:184
	v_cmp_lt_u32_e64 s[2:3], 23, v0
	s_waitcnt vmcnt(0)
	ds_write_b64 v1, v[76:77]
	s_waitcnt lgkmcnt(0)
	; wave barrier
	s_and_saveexec_b64 s[4:5], s[2:3]
	s_cbranch_execz .LBB35_116
; %bb.107:
	s_andn2_b64 vcc, exec, s[6:7]
	s_cbranch_vccnz .LBB35_109
; %bb.108:
	scratch_load_dwordx2 v[76:77], v17, off
	ds_read_b64 v[78:79], v1
	s_waitcnt vmcnt(0) lgkmcnt(0)
	v_mul_f64 v[76:77], v[76:77], v[78:79]
	s_cbranch_execz .LBB35_110
	s_branch .LBB35_111
.LBB35_109:
                                        ; implicit-def: $vgpr76_vgpr77
.LBB35_110:
	ds_read_b64 v[76:77], v1
.LBB35_111:
	s_and_saveexec_b64 s[8:9], s[0:1]
	s_cbranch_execz .LBB35_115
; %bb.112:
	v_subrev_u32_e32 v78, 24, v0
	s_movk_i32 s22, 0x1e0
	s_mov_b64 s[0:1], 0
.LBB35_113:                             ; =>This Inner Loop Header: Depth=1
	scratch_load_dwordx2 v[80:81], off, s21
	v_mov_b32_e32 v79, s22
	ds_read_b64 v[82:83], v79
	v_add_u32_e32 v78, -1, v78
	s_add_i32 s22, s22, 8
	s_add_i32 s21, s21, 8
	v_cmp_eq_u32_e32 vcc, 0, v78
	s_or_b64 s[0:1], vcc, s[0:1]
	s_waitcnt vmcnt(0) lgkmcnt(0)
	v_fmac_f64_e32 v[76:77], v[80:81], v[82:83]
	s_andn2_b64 exec, exec, s[0:1]
	s_cbranch_execnz .LBB35_113
; %bb.114:
	s_or_b64 exec, exec, s[0:1]
.LBB35_115:
	s_or_b64 exec, exec, s[8:9]
	v_mov_b32_e32 v78, 0
	ds_read_b64 v[78:79], v78 offset:184
	s_waitcnt lgkmcnt(0)
	v_mul_f64 v[76:77], v[76:77], v[78:79]
	scratch_store_dwordx2 off, v[76:77], off offset:184
.LBB35_116:
	s_or_b64 exec, exec, s[4:5]
	scratch_load_dwordx2 v[76:77], off, off offset:176
	v_cmp_lt_u32_e64 s[0:1], 22, v0
	s_waitcnt vmcnt(0)
	ds_write_b64 v1, v[76:77]
	s_waitcnt lgkmcnt(0)
	; wave barrier
	s_and_saveexec_b64 s[4:5], s[0:1]
	s_cbranch_execz .LBB35_126
; %bb.117:
	s_andn2_b64 vcc, exec, s[6:7]
	s_cbranch_vccnz .LBB35_119
; %bb.118:
	scratch_load_dwordx2 v[76:77], v17, off
	ds_read_b64 v[78:79], v1
	s_waitcnt vmcnt(0) lgkmcnt(0)
	v_mul_f64 v[76:77], v[76:77], v[78:79]
	s_cbranch_execz .LBB35_120
	s_branch .LBB35_121
.LBB35_119:
                                        ; implicit-def: $vgpr76_vgpr77
.LBB35_120:
	ds_read_b64 v[76:77], v1
.LBB35_121:
	s_and_saveexec_b64 s[8:9], s[2:3]
	s_cbranch_execz .LBB35_125
; %bb.122:
	s_movk_i32 s21, 0xb8
	v_subrev_u32_e32 v78, 23, v0
	s_movk_i32 s22, 0x1d8
	s_mov_b64 s[2:3], 0
.LBB35_123:                             ; =>This Inner Loop Header: Depth=1
	scratch_load_dwordx2 v[80:81], off, s21
	v_mov_b32_e32 v79, s22
	ds_read_b64 v[82:83], v79
	v_add_u32_e32 v78, -1, v78
	s_add_i32 s22, s22, 8
	s_add_i32 s21, s21, 8
	v_cmp_eq_u32_e32 vcc, 0, v78
	s_or_b64 s[2:3], vcc, s[2:3]
	s_waitcnt vmcnt(0) lgkmcnt(0)
	v_fmac_f64_e32 v[76:77], v[80:81], v[82:83]
	s_andn2_b64 exec, exec, s[2:3]
	s_cbranch_execnz .LBB35_123
; %bb.124:
	s_or_b64 exec, exec, s[2:3]
.LBB35_125:
	s_or_b64 exec, exec, s[8:9]
	v_mov_b32_e32 v78, 0
	ds_read_b64 v[78:79], v78 offset:176
	s_waitcnt lgkmcnt(0)
	v_mul_f64 v[76:77], v[76:77], v[78:79]
	scratch_store_dwordx2 off, v[76:77], off offset:176
.LBB35_126:
	s_or_b64 exec, exec, s[4:5]
	scratch_load_dwordx2 v[76:77], off, off offset:168
	v_cmp_lt_u32_e64 s[2:3], 21, v0
	s_waitcnt vmcnt(0)
	ds_write_b64 v1, v[76:77]
	s_waitcnt lgkmcnt(0)
	; wave barrier
	s_and_saveexec_b64 s[4:5], s[2:3]
	s_cbranch_execz .LBB35_136
; %bb.127:
	s_andn2_b64 vcc, exec, s[6:7]
	s_cbranch_vccnz .LBB35_129
; %bb.128:
	scratch_load_dwordx2 v[76:77], v17, off
	ds_read_b64 v[78:79], v1
	s_waitcnt vmcnt(0) lgkmcnt(0)
	v_mul_f64 v[76:77], v[76:77], v[78:79]
	s_cbranch_execz .LBB35_130
	s_branch .LBB35_131
.LBB35_129:
                                        ; implicit-def: $vgpr76_vgpr77
.LBB35_130:
	ds_read_b64 v[76:77], v1
.LBB35_131:
	s_and_saveexec_b64 s[8:9], s[0:1]
	s_cbranch_execz .LBB35_135
; %bb.132:
	v_subrev_u32_e32 v78, 22, v0
	s_movk_i32 s21, 0x1d0
	s_mov_b64 s[0:1], 0
.LBB35_133:                             ; =>This Inner Loop Header: Depth=1
	scratch_load_dwordx2 v[80:81], off, s20
	v_mov_b32_e32 v79, s21
	ds_read_b64 v[82:83], v79
	v_add_u32_e32 v78, -1, v78
	s_add_i32 s21, s21, 8
	s_add_i32 s20, s20, 8
	v_cmp_eq_u32_e32 vcc, 0, v78
	s_or_b64 s[0:1], vcc, s[0:1]
	s_waitcnt vmcnt(0) lgkmcnt(0)
	v_fmac_f64_e32 v[76:77], v[80:81], v[82:83]
	s_andn2_b64 exec, exec, s[0:1]
	s_cbranch_execnz .LBB35_133
; %bb.134:
	s_or_b64 exec, exec, s[0:1]
.LBB35_135:
	s_or_b64 exec, exec, s[8:9]
	v_mov_b32_e32 v78, 0
	ds_read_b64 v[78:79], v78 offset:168
	s_waitcnt lgkmcnt(0)
	v_mul_f64 v[76:77], v[76:77], v[78:79]
	scratch_store_dwordx2 off, v[76:77], off offset:168
.LBB35_136:
	s_or_b64 exec, exec, s[4:5]
	scratch_load_dwordx2 v[76:77], off, off offset:160
	v_cmp_lt_u32_e64 s[0:1], 20, v0
	s_waitcnt vmcnt(0)
	ds_write_b64 v1, v[76:77]
	s_waitcnt lgkmcnt(0)
	; wave barrier
	s_and_saveexec_b64 s[4:5], s[0:1]
	s_cbranch_execz .LBB35_146
; %bb.137:
	s_andn2_b64 vcc, exec, s[6:7]
	s_cbranch_vccnz .LBB35_139
; %bb.138:
	scratch_load_dwordx2 v[76:77], v17, off
	ds_read_b64 v[78:79], v1
	s_waitcnt vmcnt(0) lgkmcnt(0)
	v_mul_f64 v[76:77], v[76:77], v[78:79]
	s_cbranch_execz .LBB35_140
	s_branch .LBB35_141
.LBB35_139:
                                        ; implicit-def: $vgpr76_vgpr77
.LBB35_140:
	ds_read_b64 v[76:77], v1
.LBB35_141:
	s_and_saveexec_b64 s[8:9], s[2:3]
	s_cbranch_execz .LBB35_145
; %bb.142:
	s_movk_i32 s20, 0xa8
	v_subrev_u32_e32 v78, 21, v0
	s_movk_i32 s21, 0x1c8
	s_mov_b64 s[2:3], 0
.LBB35_143:                             ; =>This Inner Loop Header: Depth=1
	scratch_load_dwordx2 v[80:81], off, s20
	v_mov_b32_e32 v79, s21
	ds_read_b64 v[82:83], v79
	v_add_u32_e32 v78, -1, v78
	s_add_i32 s21, s21, 8
	s_add_i32 s20, s20, 8
	v_cmp_eq_u32_e32 vcc, 0, v78
	s_or_b64 s[2:3], vcc, s[2:3]
	s_waitcnt vmcnt(0) lgkmcnt(0)
	v_fmac_f64_e32 v[76:77], v[80:81], v[82:83]
	s_andn2_b64 exec, exec, s[2:3]
	s_cbranch_execnz .LBB35_143
; %bb.144:
	s_or_b64 exec, exec, s[2:3]
.LBB35_145:
	s_or_b64 exec, exec, s[8:9]
	v_mov_b32_e32 v78, 0
	ds_read_b64 v[78:79], v78 offset:160
	s_waitcnt lgkmcnt(0)
	v_mul_f64 v[76:77], v[76:77], v[78:79]
	scratch_store_dwordx2 off, v[76:77], off offset:160
.LBB35_146:
	s_or_b64 exec, exec, s[4:5]
	scratch_load_dwordx2 v[76:77], off, off offset:152
	v_cmp_lt_u32_e64 s[2:3], 19, v0
	s_waitcnt vmcnt(0)
	ds_write_b64 v1, v[76:77]
	s_waitcnt lgkmcnt(0)
	; wave barrier
	s_and_saveexec_b64 s[4:5], s[2:3]
	s_cbranch_execz .LBB35_156
; %bb.147:
	s_andn2_b64 vcc, exec, s[6:7]
	s_cbranch_vccnz .LBB35_149
; %bb.148:
	scratch_load_dwordx2 v[76:77], v17, off
	ds_read_b64 v[78:79], v1
	s_waitcnt vmcnt(0) lgkmcnt(0)
	v_mul_f64 v[76:77], v[76:77], v[78:79]
	s_cbranch_execz .LBB35_150
	s_branch .LBB35_151
.LBB35_149:
                                        ; implicit-def: $vgpr76_vgpr77
.LBB35_150:
	ds_read_b64 v[76:77], v1
.LBB35_151:
	s_and_saveexec_b64 s[8:9], s[0:1]
	s_cbranch_execz .LBB35_155
; %bb.152:
	v_subrev_u32_e32 v78, 20, v0
	s_movk_i32 s20, 0x1c0
	s_mov_b64 s[0:1], 0
.LBB35_153:                             ; =>This Inner Loop Header: Depth=1
	scratch_load_dwordx2 v[80:81], off, s19
	v_mov_b32_e32 v79, s20
	ds_read_b64 v[82:83], v79
	v_add_u32_e32 v78, -1, v78
	s_add_i32 s20, s20, 8
	s_add_i32 s19, s19, 8
	v_cmp_eq_u32_e32 vcc, 0, v78
	s_or_b64 s[0:1], vcc, s[0:1]
	s_waitcnt vmcnt(0) lgkmcnt(0)
	v_fmac_f64_e32 v[76:77], v[80:81], v[82:83]
	s_andn2_b64 exec, exec, s[0:1]
	s_cbranch_execnz .LBB35_153
; %bb.154:
	s_or_b64 exec, exec, s[0:1]
.LBB35_155:
	s_or_b64 exec, exec, s[8:9]
	v_mov_b32_e32 v78, 0
	ds_read_b64 v[78:79], v78 offset:152
	s_waitcnt lgkmcnt(0)
	v_mul_f64 v[76:77], v[76:77], v[78:79]
	scratch_store_dwordx2 off, v[76:77], off offset:152
.LBB35_156:
	s_or_b64 exec, exec, s[4:5]
	scratch_load_dwordx2 v[76:77], off, off offset:144
	v_cmp_lt_u32_e64 s[0:1], 18, v0
	s_waitcnt vmcnt(0)
	ds_write_b64 v1, v[76:77]
	s_waitcnt lgkmcnt(0)
	; wave barrier
	s_and_saveexec_b64 s[4:5], s[0:1]
	s_cbranch_execz .LBB35_166
; %bb.157:
	s_andn2_b64 vcc, exec, s[6:7]
	s_cbranch_vccnz .LBB35_159
; %bb.158:
	scratch_load_dwordx2 v[76:77], v17, off
	ds_read_b64 v[78:79], v1
	s_waitcnt vmcnt(0) lgkmcnt(0)
	v_mul_f64 v[76:77], v[76:77], v[78:79]
	s_cbranch_execz .LBB35_160
	s_branch .LBB35_161
.LBB35_159:
                                        ; implicit-def: $vgpr76_vgpr77
.LBB35_160:
	ds_read_b64 v[76:77], v1
.LBB35_161:
	s_and_saveexec_b64 s[8:9], s[2:3]
	s_cbranch_execz .LBB35_165
; %bb.162:
	s_movk_i32 s19, 0x98
	v_subrev_u32_e32 v78, 19, v0
	s_movk_i32 s20, 0x1b8
	s_mov_b64 s[2:3], 0
.LBB35_163:                             ; =>This Inner Loop Header: Depth=1
	scratch_load_dwordx2 v[80:81], off, s19
	v_mov_b32_e32 v79, s20
	ds_read_b64 v[82:83], v79
	v_add_u32_e32 v78, -1, v78
	s_add_i32 s20, s20, 8
	s_add_i32 s19, s19, 8
	v_cmp_eq_u32_e32 vcc, 0, v78
	s_or_b64 s[2:3], vcc, s[2:3]
	s_waitcnt vmcnt(0) lgkmcnt(0)
	v_fmac_f64_e32 v[76:77], v[80:81], v[82:83]
	s_andn2_b64 exec, exec, s[2:3]
	s_cbranch_execnz .LBB35_163
; %bb.164:
	s_or_b64 exec, exec, s[2:3]
.LBB35_165:
	s_or_b64 exec, exec, s[8:9]
	v_mov_b32_e32 v78, 0
	ds_read_b64 v[78:79], v78 offset:144
	s_waitcnt lgkmcnt(0)
	v_mul_f64 v[76:77], v[76:77], v[78:79]
	scratch_store_dwordx2 off, v[76:77], off offset:144
.LBB35_166:
	s_or_b64 exec, exec, s[4:5]
	scratch_load_dwordx2 v[76:77], off, off offset:136
	v_cmp_lt_u32_e64 s[2:3], 17, v0
	s_waitcnt vmcnt(0)
	ds_write_b64 v1, v[76:77]
	s_waitcnt lgkmcnt(0)
	; wave barrier
	s_and_saveexec_b64 s[4:5], s[2:3]
	s_cbranch_execz .LBB35_176
; %bb.167:
	s_andn2_b64 vcc, exec, s[6:7]
	s_cbranch_vccnz .LBB35_169
; %bb.168:
	scratch_load_dwordx2 v[76:77], v17, off
	ds_read_b64 v[78:79], v1
	s_waitcnt vmcnt(0) lgkmcnt(0)
	v_mul_f64 v[76:77], v[76:77], v[78:79]
	s_cbranch_execz .LBB35_170
	s_branch .LBB35_171
.LBB35_169:
                                        ; implicit-def: $vgpr76_vgpr77
.LBB35_170:
	ds_read_b64 v[76:77], v1
.LBB35_171:
	s_and_saveexec_b64 s[8:9], s[0:1]
	s_cbranch_execz .LBB35_175
; %bb.172:
	v_subrev_u32_e32 v78, 18, v0
	s_movk_i32 s19, 0x1b0
	s_mov_b64 s[0:1], 0
.LBB35_173:                             ; =>This Inner Loop Header: Depth=1
	scratch_load_dwordx2 v[80:81], off, s18
	v_mov_b32_e32 v79, s19
	ds_read_b64 v[82:83], v79
	v_add_u32_e32 v78, -1, v78
	s_add_i32 s19, s19, 8
	s_add_i32 s18, s18, 8
	v_cmp_eq_u32_e32 vcc, 0, v78
	s_or_b64 s[0:1], vcc, s[0:1]
	s_waitcnt vmcnt(0) lgkmcnt(0)
	v_fmac_f64_e32 v[76:77], v[80:81], v[82:83]
	s_andn2_b64 exec, exec, s[0:1]
	s_cbranch_execnz .LBB35_173
; %bb.174:
	s_or_b64 exec, exec, s[0:1]
.LBB35_175:
	s_or_b64 exec, exec, s[8:9]
	v_mov_b32_e32 v78, 0
	ds_read_b64 v[78:79], v78 offset:136
	s_waitcnt lgkmcnt(0)
	v_mul_f64 v[76:77], v[76:77], v[78:79]
	scratch_store_dwordx2 off, v[76:77], off offset:136
.LBB35_176:
	s_or_b64 exec, exec, s[4:5]
	scratch_load_dwordx2 v[76:77], off, off offset:128
	v_cmp_lt_u32_e64 s[0:1], 16, v0
	s_waitcnt vmcnt(0)
	ds_write_b64 v1, v[76:77]
	s_waitcnt lgkmcnt(0)
	; wave barrier
	s_and_saveexec_b64 s[4:5], s[0:1]
	s_cbranch_execz .LBB35_186
; %bb.177:
	s_andn2_b64 vcc, exec, s[6:7]
	s_cbranch_vccnz .LBB35_179
; %bb.178:
	scratch_load_dwordx2 v[76:77], v17, off
	ds_read_b64 v[78:79], v1
	s_waitcnt vmcnt(0) lgkmcnt(0)
	v_mul_f64 v[76:77], v[76:77], v[78:79]
	s_cbranch_execz .LBB35_180
	s_branch .LBB35_181
.LBB35_179:
                                        ; implicit-def: $vgpr76_vgpr77
.LBB35_180:
	ds_read_b64 v[76:77], v1
.LBB35_181:
	s_and_saveexec_b64 s[8:9], s[2:3]
	s_cbranch_execz .LBB35_185
; %bb.182:
	s_movk_i32 s18, 0x88
	v_subrev_u32_e32 v78, 17, v0
	s_movk_i32 s19, 0x1a8
	s_mov_b64 s[2:3], 0
.LBB35_183:                             ; =>This Inner Loop Header: Depth=1
	scratch_load_dwordx2 v[80:81], off, s18
	v_mov_b32_e32 v79, s19
	ds_read_b64 v[82:83], v79
	v_add_u32_e32 v78, -1, v78
	s_add_i32 s19, s19, 8
	s_add_i32 s18, s18, 8
	v_cmp_eq_u32_e32 vcc, 0, v78
	s_or_b64 s[2:3], vcc, s[2:3]
	s_waitcnt vmcnt(0) lgkmcnt(0)
	v_fmac_f64_e32 v[76:77], v[80:81], v[82:83]
	s_andn2_b64 exec, exec, s[2:3]
	s_cbranch_execnz .LBB35_183
; %bb.184:
	s_or_b64 exec, exec, s[2:3]
.LBB35_185:
	s_or_b64 exec, exec, s[8:9]
	v_mov_b32_e32 v78, 0
	ds_read_b64 v[78:79], v78 offset:128
	s_waitcnt lgkmcnt(0)
	v_mul_f64 v[76:77], v[76:77], v[78:79]
	scratch_store_dwordx2 off, v[76:77], off offset:128
.LBB35_186:
	s_or_b64 exec, exec, s[4:5]
	scratch_load_dwordx2 v[76:77], off, off offset:120
	v_cmp_lt_u32_e64 s[2:3], 15, v0
	s_waitcnt vmcnt(0)
	ds_write_b64 v1, v[76:77]
	s_waitcnt lgkmcnt(0)
	; wave barrier
	s_and_saveexec_b64 s[4:5], s[2:3]
	s_cbranch_execz .LBB35_196
; %bb.187:
	s_andn2_b64 vcc, exec, s[6:7]
	s_cbranch_vccnz .LBB35_189
; %bb.188:
	scratch_load_dwordx2 v[76:77], v17, off
	ds_read_b64 v[78:79], v1
	s_waitcnt vmcnt(0) lgkmcnt(0)
	v_mul_f64 v[76:77], v[76:77], v[78:79]
	s_cbranch_execz .LBB35_190
	s_branch .LBB35_191
.LBB35_189:
                                        ; implicit-def: $vgpr76_vgpr77
.LBB35_190:
	ds_read_b64 v[76:77], v1
.LBB35_191:
	s_and_saveexec_b64 s[8:9], s[0:1]
	s_cbranch_execz .LBB35_195
; %bb.192:
	v_add_u32_e32 v78, -16, v0
	s_movk_i32 s18, 0x1a0
	s_mov_b64 s[0:1], 0
.LBB35_193:                             ; =>This Inner Loop Header: Depth=1
	scratch_load_dwordx2 v[80:81], off, s17
	v_mov_b32_e32 v79, s18
	ds_read_b64 v[82:83], v79
	v_add_u32_e32 v78, -1, v78
	s_add_i32 s18, s18, 8
	s_add_i32 s17, s17, 8
	v_cmp_eq_u32_e32 vcc, 0, v78
	s_or_b64 s[0:1], vcc, s[0:1]
	s_waitcnt vmcnt(0) lgkmcnt(0)
	v_fmac_f64_e32 v[76:77], v[80:81], v[82:83]
	s_andn2_b64 exec, exec, s[0:1]
	s_cbranch_execnz .LBB35_193
; %bb.194:
	s_or_b64 exec, exec, s[0:1]
.LBB35_195:
	s_or_b64 exec, exec, s[8:9]
	v_mov_b32_e32 v78, 0
	ds_read_b64 v[78:79], v78 offset:120
	s_waitcnt lgkmcnt(0)
	v_mul_f64 v[76:77], v[76:77], v[78:79]
	scratch_store_dwordx2 off, v[76:77], off offset:120
.LBB35_196:
	s_or_b64 exec, exec, s[4:5]
	scratch_load_dwordx2 v[76:77], off, off offset:112
	v_cmp_lt_u32_e64 s[0:1], 14, v0
	s_waitcnt vmcnt(0)
	ds_write_b64 v1, v[76:77]
	s_waitcnt lgkmcnt(0)
	; wave barrier
	s_and_saveexec_b64 s[4:5], s[0:1]
	s_cbranch_execz .LBB35_206
; %bb.197:
	s_andn2_b64 vcc, exec, s[6:7]
	s_cbranch_vccnz .LBB35_199
; %bb.198:
	scratch_load_dwordx2 v[76:77], v17, off
	ds_read_b64 v[78:79], v1
	s_waitcnt vmcnt(0) lgkmcnt(0)
	v_mul_f64 v[76:77], v[76:77], v[78:79]
	s_cbranch_execz .LBB35_200
	s_branch .LBB35_201
.LBB35_199:
                                        ; implicit-def: $vgpr76_vgpr77
.LBB35_200:
	ds_read_b64 v[76:77], v1
.LBB35_201:
	s_and_saveexec_b64 s[8:9], s[2:3]
	s_cbranch_execz .LBB35_205
; %bb.202:
	s_movk_i32 s17, 0x78
	v_add_u32_e32 v78, -15, v0
	s_movk_i32 s18, 0x198
	s_mov_b64 s[2:3], 0
.LBB35_203:                             ; =>This Inner Loop Header: Depth=1
	scratch_load_dwordx2 v[80:81], off, s17
	v_mov_b32_e32 v79, s18
	ds_read_b64 v[82:83], v79
	v_add_u32_e32 v78, -1, v78
	s_add_i32 s18, s18, 8
	s_add_i32 s17, s17, 8
	v_cmp_eq_u32_e32 vcc, 0, v78
	s_or_b64 s[2:3], vcc, s[2:3]
	s_waitcnt vmcnt(0) lgkmcnt(0)
	v_fmac_f64_e32 v[76:77], v[80:81], v[82:83]
	s_andn2_b64 exec, exec, s[2:3]
	s_cbranch_execnz .LBB35_203
; %bb.204:
	s_or_b64 exec, exec, s[2:3]
.LBB35_205:
	s_or_b64 exec, exec, s[8:9]
	v_mov_b32_e32 v78, 0
	ds_read_b64 v[78:79], v78 offset:112
	s_waitcnt lgkmcnt(0)
	v_mul_f64 v[76:77], v[76:77], v[78:79]
	scratch_store_dwordx2 off, v[76:77], off offset:112
.LBB35_206:
	s_or_b64 exec, exec, s[4:5]
	scratch_load_dwordx2 v[76:77], off, off offset:104
	v_cmp_lt_u32_e64 s[2:3], 13, v0
	s_waitcnt vmcnt(0)
	ds_write_b64 v1, v[76:77]
	s_waitcnt lgkmcnt(0)
	; wave barrier
	s_and_saveexec_b64 s[4:5], s[2:3]
	s_cbranch_execz .LBB35_216
; %bb.207:
	s_andn2_b64 vcc, exec, s[6:7]
	s_cbranch_vccnz .LBB35_209
; %bb.208:
	scratch_load_dwordx2 v[76:77], v17, off
	ds_read_b64 v[78:79], v1
	s_waitcnt vmcnt(0) lgkmcnt(0)
	v_mul_f64 v[76:77], v[76:77], v[78:79]
	s_cbranch_execz .LBB35_210
	s_branch .LBB35_211
.LBB35_209:
                                        ; implicit-def: $vgpr76_vgpr77
.LBB35_210:
	ds_read_b64 v[76:77], v1
.LBB35_211:
	s_and_saveexec_b64 s[8:9], s[0:1]
	s_cbranch_execz .LBB35_215
; %bb.212:
	v_add_u32_e32 v78, -14, v0
	s_movk_i32 s17, 0x190
	s_mov_b64 s[0:1], 0
.LBB35_213:                             ; =>This Inner Loop Header: Depth=1
	scratch_load_dwordx2 v[80:81], off, s16
	v_mov_b32_e32 v79, s17
	ds_read_b64 v[82:83], v79
	v_add_u32_e32 v78, -1, v78
	s_add_i32 s17, s17, 8
	s_add_i32 s16, s16, 8
	v_cmp_eq_u32_e32 vcc, 0, v78
	s_or_b64 s[0:1], vcc, s[0:1]
	s_waitcnt vmcnt(0) lgkmcnt(0)
	v_fmac_f64_e32 v[76:77], v[80:81], v[82:83]
	s_andn2_b64 exec, exec, s[0:1]
	s_cbranch_execnz .LBB35_213
; %bb.214:
	s_or_b64 exec, exec, s[0:1]
.LBB35_215:
	s_or_b64 exec, exec, s[8:9]
	v_mov_b32_e32 v78, 0
	ds_read_b64 v[78:79], v78 offset:104
	s_waitcnt lgkmcnt(0)
	v_mul_f64 v[76:77], v[76:77], v[78:79]
	scratch_store_dwordx2 off, v[76:77], off offset:104
.LBB35_216:
	s_or_b64 exec, exec, s[4:5]
	scratch_load_dwordx2 v[76:77], off, off offset:96
	v_cmp_lt_u32_e64 s[0:1], 12, v0
	s_waitcnt vmcnt(0)
	ds_write_b64 v1, v[76:77]
	s_waitcnt lgkmcnt(0)
	; wave barrier
	s_and_saveexec_b64 s[4:5], s[0:1]
	s_cbranch_execz .LBB35_226
; %bb.217:
	s_andn2_b64 vcc, exec, s[6:7]
	s_cbranch_vccnz .LBB35_219
; %bb.218:
	scratch_load_dwordx2 v[76:77], v17, off
	ds_read_b64 v[78:79], v1
	s_waitcnt vmcnt(0) lgkmcnt(0)
	v_mul_f64 v[76:77], v[76:77], v[78:79]
	s_cbranch_execz .LBB35_220
	s_branch .LBB35_221
.LBB35_219:
                                        ; implicit-def: $vgpr76_vgpr77
.LBB35_220:
	ds_read_b64 v[76:77], v1
.LBB35_221:
	s_and_saveexec_b64 s[8:9], s[2:3]
	s_cbranch_execz .LBB35_225
; %bb.222:
	s_movk_i32 s16, 0x68
	v_add_u32_e32 v78, -13, v0
	s_movk_i32 s17, 0x188
	s_mov_b64 s[2:3], 0
.LBB35_223:                             ; =>This Inner Loop Header: Depth=1
	scratch_load_dwordx2 v[80:81], off, s16
	v_mov_b32_e32 v79, s17
	ds_read_b64 v[82:83], v79
	v_add_u32_e32 v78, -1, v78
	s_add_i32 s17, s17, 8
	s_add_i32 s16, s16, 8
	v_cmp_eq_u32_e32 vcc, 0, v78
	s_or_b64 s[2:3], vcc, s[2:3]
	s_waitcnt vmcnt(0) lgkmcnt(0)
	v_fmac_f64_e32 v[76:77], v[80:81], v[82:83]
	s_andn2_b64 exec, exec, s[2:3]
	s_cbranch_execnz .LBB35_223
; %bb.224:
	s_or_b64 exec, exec, s[2:3]
.LBB35_225:
	s_or_b64 exec, exec, s[8:9]
	v_mov_b32_e32 v78, 0
	ds_read_b64 v[78:79], v78 offset:96
	s_waitcnt lgkmcnt(0)
	v_mul_f64 v[76:77], v[76:77], v[78:79]
	scratch_store_dwordx2 off, v[76:77], off offset:96
.LBB35_226:
	s_or_b64 exec, exec, s[4:5]
	scratch_load_dwordx2 v[76:77], off, off offset:88
	v_cmp_lt_u32_e64 s[2:3], 11, v0
	s_waitcnt vmcnt(0)
	ds_write_b64 v1, v[76:77]
	s_waitcnt lgkmcnt(0)
	; wave barrier
	s_and_saveexec_b64 s[4:5], s[2:3]
	s_cbranch_execz .LBB35_236
; %bb.227:
	s_andn2_b64 vcc, exec, s[6:7]
	s_cbranch_vccnz .LBB35_229
; %bb.228:
	scratch_load_dwordx2 v[76:77], v17, off
	ds_read_b64 v[78:79], v1
	s_waitcnt vmcnt(0) lgkmcnt(0)
	v_mul_f64 v[76:77], v[76:77], v[78:79]
	s_cbranch_execz .LBB35_230
	s_branch .LBB35_231
.LBB35_229:
                                        ; implicit-def: $vgpr76_vgpr77
.LBB35_230:
	ds_read_b64 v[76:77], v1
.LBB35_231:
	s_and_saveexec_b64 s[8:9], s[0:1]
	s_cbranch_execz .LBB35_235
; %bb.232:
	v_add_u32_e32 v78, -12, v0
	s_movk_i32 s16, 0x180
	s_mov_b64 s[0:1], 0
.LBB35_233:                             ; =>This Inner Loop Header: Depth=1
	scratch_load_dwordx2 v[80:81], off, s15
	v_mov_b32_e32 v79, s16
	ds_read_b64 v[82:83], v79
	v_add_u32_e32 v78, -1, v78
	s_add_i32 s16, s16, 8
	s_add_i32 s15, s15, 8
	v_cmp_eq_u32_e32 vcc, 0, v78
	s_or_b64 s[0:1], vcc, s[0:1]
	s_waitcnt vmcnt(0) lgkmcnt(0)
	v_fmac_f64_e32 v[76:77], v[80:81], v[82:83]
	s_andn2_b64 exec, exec, s[0:1]
	s_cbranch_execnz .LBB35_233
; %bb.234:
	s_or_b64 exec, exec, s[0:1]
.LBB35_235:
	s_or_b64 exec, exec, s[8:9]
	v_mov_b32_e32 v78, 0
	ds_read_b64 v[78:79], v78 offset:88
	s_waitcnt lgkmcnt(0)
	v_mul_f64 v[76:77], v[76:77], v[78:79]
	scratch_store_dwordx2 off, v[76:77], off offset:88
.LBB35_236:
	s_or_b64 exec, exec, s[4:5]
	scratch_load_dwordx2 v[76:77], off, off offset:80
	v_cmp_lt_u32_e64 s[0:1], 10, v0
	s_waitcnt vmcnt(0)
	ds_write_b64 v1, v[76:77]
	s_waitcnt lgkmcnt(0)
	; wave barrier
	s_and_saveexec_b64 s[4:5], s[0:1]
	s_cbranch_execz .LBB35_246
; %bb.237:
	s_andn2_b64 vcc, exec, s[6:7]
	s_cbranch_vccnz .LBB35_239
; %bb.238:
	scratch_load_dwordx2 v[76:77], v17, off
	ds_read_b64 v[78:79], v1
	s_waitcnt vmcnt(0) lgkmcnt(0)
	v_mul_f64 v[76:77], v[76:77], v[78:79]
	s_cbranch_execz .LBB35_240
	s_branch .LBB35_241
.LBB35_239:
                                        ; implicit-def: $vgpr76_vgpr77
.LBB35_240:
	ds_read_b64 v[76:77], v1
.LBB35_241:
	s_and_saveexec_b64 s[8:9], s[2:3]
	s_cbranch_execz .LBB35_245
; %bb.242:
	s_movk_i32 s15, 0x58
	v_add_u32_e32 v78, -11, v0
	s_movk_i32 s16, 0x178
	s_mov_b64 s[2:3], 0
.LBB35_243:                             ; =>This Inner Loop Header: Depth=1
	scratch_load_dwordx2 v[80:81], off, s15
	v_mov_b32_e32 v79, s16
	ds_read_b64 v[82:83], v79
	v_add_u32_e32 v78, -1, v78
	s_add_i32 s16, s16, 8
	s_add_i32 s15, s15, 8
	v_cmp_eq_u32_e32 vcc, 0, v78
	s_or_b64 s[2:3], vcc, s[2:3]
	s_waitcnt vmcnt(0) lgkmcnt(0)
	v_fmac_f64_e32 v[76:77], v[80:81], v[82:83]
	s_andn2_b64 exec, exec, s[2:3]
	s_cbranch_execnz .LBB35_243
; %bb.244:
	s_or_b64 exec, exec, s[2:3]
.LBB35_245:
	s_or_b64 exec, exec, s[8:9]
	v_mov_b32_e32 v78, 0
	ds_read_b64 v[78:79], v78 offset:80
	s_waitcnt lgkmcnt(0)
	v_mul_f64 v[76:77], v[76:77], v[78:79]
	scratch_store_dwordx2 off, v[76:77], off offset:80
.LBB35_246:
	s_or_b64 exec, exec, s[4:5]
	scratch_load_dwordx2 v[76:77], off, off offset:72
	v_cmp_lt_u32_e64 s[2:3], 9, v0
	s_waitcnt vmcnt(0)
	ds_write_b64 v1, v[76:77]
	s_waitcnt lgkmcnt(0)
	; wave barrier
	s_and_saveexec_b64 s[4:5], s[2:3]
	s_cbranch_execz .LBB35_256
; %bb.247:
	s_andn2_b64 vcc, exec, s[6:7]
	s_cbranch_vccnz .LBB35_249
; %bb.248:
	scratch_load_dwordx2 v[76:77], v17, off
	ds_read_b64 v[78:79], v1
	s_waitcnt vmcnt(0) lgkmcnt(0)
	v_mul_f64 v[76:77], v[76:77], v[78:79]
	s_cbranch_execz .LBB35_250
	s_branch .LBB35_251
.LBB35_249:
                                        ; implicit-def: $vgpr76_vgpr77
.LBB35_250:
	ds_read_b64 v[76:77], v1
.LBB35_251:
	s_and_saveexec_b64 s[8:9], s[0:1]
	s_cbranch_execz .LBB35_255
; %bb.252:
	v_add_u32_e32 v78, -10, v0
	s_movk_i32 s15, 0x170
	s_mov_b64 s[0:1], 0
.LBB35_253:                             ; =>This Inner Loop Header: Depth=1
	scratch_load_dwordx2 v[80:81], off, s14
	v_mov_b32_e32 v79, s15
	ds_read_b64 v[82:83], v79
	v_add_u32_e32 v78, -1, v78
	s_add_i32 s15, s15, 8
	s_add_i32 s14, s14, 8
	v_cmp_eq_u32_e32 vcc, 0, v78
	s_or_b64 s[0:1], vcc, s[0:1]
	s_waitcnt vmcnt(0) lgkmcnt(0)
	v_fmac_f64_e32 v[76:77], v[80:81], v[82:83]
	s_andn2_b64 exec, exec, s[0:1]
	s_cbranch_execnz .LBB35_253
; %bb.254:
	s_or_b64 exec, exec, s[0:1]
.LBB35_255:
	s_or_b64 exec, exec, s[8:9]
	v_mov_b32_e32 v78, 0
	ds_read_b64 v[78:79], v78 offset:72
	s_waitcnt lgkmcnt(0)
	v_mul_f64 v[76:77], v[76:77], v[78:79]
	scratch_store_dwordx2 off, v[76:77], off offset:72
.LBB35_256:
	s_or_b64 exec, exec, s[4:5]
	scratch_load_dwordx2 v[76:77], off, off offset:64
	v_cmp_lt_u32_e64 s[0:1], 8, v0
	s_waitcnt vmcnt(0)
	ds_write_b64 v1, v[76:77]
	s_waitcnt lgkmcnt(0)
	; wave barrier
	s_and_saveexec_b64 s[4:5], s[0:1]
	s_cbranch_execz .LBB35_266
; %bb.257:
	s_andn2_b64 vcc, exec, s[6:7]
	s_cbranch_vccnz .LBB35_259
; %bb.258:
	scratch_load_dwordx2 v[76:77], v17, off
	ds_read_b64 v[78:79], v1
	s_waitcnt vmcnt(0) lgkmcnt(0)
	v_mul_f64 v[76:77], v[76:77], v[78:79]
	s_cbranch_execz .LBB35_260
	s_branch .LBB35_261
.LBB35_259:
                                        ; implicit-def: $vgpr76_vgpr77
.LBB35_260:
	ds_read_b64 v[76:77], v1
.LBB35_261:
	s_and_saveexec_b64 s[8:9], s[2:3]
	s_cbranch_execz .LBB35_265
; %bb.262:
	s_movk_i32 s14, 0x48
	v_add_u32_e32 v78, -9, v0
	s_movk_i32 s15, 0x168
	s_mov_b64 s[2:3], 0
.LBB35_263:                             ; =>This Inner Loop Header: Depth=1
	scratch_load_dwordx2 v[80:81], off, s14
	v_mov_b32_e32 v79, s15
	ds_read_b64 v[82:83], v79
	v_add_u32_e32 v78, -1, v78
	s_add_i32 s15, s15, 8
	s_add_i32 s14, s14, 8
	v_cmp_eq_u32_e32 vcc, 0, v78
	s_or_b64 s[2:3], vcc, s[2:3]
	s_waitcnt vmcnt(0) lgkmcnt(0)
	v_fmac_f64_e32 v[76:77], v[80:81], v[82:83]
	s_andn2_b64 exec, exec, s[2:3]
	s_cbranch_execnz .LBB35_263
; %bb.264:
	s_or_b64 exec, exec, s[2:3]
.LBB35_265:
	s_or_b64 exec, exec, s[8:9]
	v_mov_b32_e32 v78, 0
	ds_read_b64 v[78:79], v78 offset:64
	s_waitcnt lgkmcnt(0)
	v_mul_f64 v[76:77], v[76:77], v[78:79]
	scratch_store_dwordx2 off, v[76:77], off offset:64
.LBB35_266:
	s_or_b64 exec, exec, s[4:5]
	scratch_load_dwordx2 v[76:77], off, off offset:56
	v_cmp_lt_u32_e64 s[2:3], 7, v0
	s_waitcnt vmcnt(0)
	ds_write_b64 v1, v[76:77]
	s_waitcnt lgkmcnt(0)
	; wave barrier
	s_and_saveexec_b64 s[4:5], s[2:3]
	s_cbranch_execz .LBB35_276
; %bb.267:
	s_andn2_b64 vcc, exec, s[6:7]
	s_cbranch_vccnz .LBB35_269
; %bb.268:
	scratch_load_dwordx2 v[76:77], v17, off
	ds_read_b64 v[78:79], v1
	s_waitcnt vmcnt(0) lgkmcnt(0)
	v_mul_f64 v[76:77], v[76:77], v[78:79]
	s_cbranch_execz .LBB35_270
	s_branch .LBB35_271
.LBB35_269:
                                        ; implicit-def: $vgpr76_vgpr77
.LBB35_270:
	ds_read_b64 v[76:77], v1
.LBB35_271:
	s_and_saveexec_b64 s[8:9], s[0:1]
	s_cbranch_execz .LBB35_275
; %bb.272:
	v_add_u32_e32 v78, -8, v0
	s_movk_i32 s14, 0x160
	s_mov_b64 s[0:1], 0
.LBB35_273:                             ; =>This Inner Loop Header: Depth=1
	scratch_load_dwordx2 v[80:81], off, s13
	v_mov_b32_e32 v79, s14
	ds_read_b64 v[82:83], v79
	v_add_u32_e32 v78, -1, v78
	s_add_i32 s14, s14, 8
	s_add_i32 s13, s13, 8
	v_cmp_eq_u32_e32 vcc, 0, v78
	s_or_b64 s[0:1], vcc, s[0:1]
	s_waitcnt vmcnt(0) lgkmcnt(0)
	v_fmac_f64_e32 v[76:77], v[80:81], v[82:83]
	s_andn2_b64 exec, exec, s[0:1]
	s_cbranch_execnz .LBB35_273
; %bb.274:
	s_or_b64 exec, exec, s[0:1]
.LBB35_275:
	s_or_b64 exec, exec, s[8:9]
	v_mov_b32_e32 v78, 0
	ds_read_b64 v[78:79], v78 offset:56
	s_waitcnt lgkmcnt(0)
	v_mul_f64 v[76:77], v[76:77], v[78:79]
	scratch_store_dwordx2 off, v[76:77], off offset:56
.LBB35_276:
	s_or_b64 exec, exec, s[4:5]
	scratch_load_dwordx2 v[76:77], off, off offset:48
	v_cmp_lt_u32_e64 s[0:1], 6, v0
	s_waitcnt vmcnt(0)
	ds_write_b64 v1, v[76:77]
	s_waitcnt lgkmcnt(0)
	; wave barrier
	s_and_saveexec_b64 s[4:5], s[0:1]
	s_cbranch_execz .LBB35_286
; %bb.277:
	s_andn2_b64 vcc, exec, s[6:7]
	s_cbranch_vccnz .LBB35_279
; %bb.278:
	scratch_load_dwordx2 v[76:77], v17, off
	ds_read_b64 v[78:79], v1
	s_waitcnt vmcnt(0) lgkmcnt(0)
	v_mul_f64 v[76:77], v[76:77], v[78:79]
	s_cbranch_execz .LBB35_280
	s_branch .LBB35_281
.LBB35_279:
                                        ; implicit-def: $vgpr76_vgpr77
.LBB35_280:
	ds_read_b64 v[76:77], v1
.LBB35_281:
	s_and_saveexec_b64 s[8:9], s[2:3]
	s_cbranch_execz .LBB35_285
; %bb.282:
	s_mov_b32 s13, 56
	v_add_u32_e32 v78, -7, v0
	s_movk_i32 s14, 0x158
	s_mov_b64 s[2:3], 0
.LBB35_283:                             ; =>This Inner Loop Header: Depth=1
	scratch_load_dwordx2 v[80:81], off, s13
	v_mov_b32_e32 v79, s14
	ds_read_b64 v[82:83], v79
	v_add_u32_e32 v78, -1, v78
	s_add_i32 s14, s14, 8
	s_add_i32 s13, s13, 8
	v_cmp_eq_u32_e32 vcc, 0, v78
	s_or_b64 s[2:3], vcc, s[2:3]
	s_waitcnt vmcnt(0) lgkmcnt(0)
	v_fmac_f64_e32 v[76:77], v[80:81], v[82:83]
	s_andn2_b64 exec, exec, s[2:3]
	s_cbranch_execnz .LBB35_283
; %bb.284:
	s_or_b64 exec, exec, s[2:3]
.LBB35_285:
	s_or_b64 exec, exec, s[8:9]
	v_mov_b32_e32 v78, 0
	ds_read_b64 v[78:79], v78 offset:48
	s_waitcnt lgkmcnt(0)
	v_mul_f64 v[76:77], v[76:77], v[78:79]
	scratch_store_dwordx2 off, v[76:77], off offset:48
.LBB35_286:
	s_or_b64 exec, exec, s[4:5]
	scratch_load_dwordx2 v[76:77], off, off offset:40
	v_cmp_lt_u32_e64 s[2:3], 5, v0
	s_waitcnt vmcnt(0)
	ds_write_b64 v1, v[76:77]
	s_waitcnt lgkmcnt(0)
	; wave barrier
	s_and_saveexec_b64 s[4:5], s[2:3]
	s_cbranch_execz .LBB35_296
; %bb.287:
	s_andn2_b64 vcc, exec, s[6:7]
	s_cbranch_vccnz .LBB35_289
; %bb.288:
	scratch_load_dwordx2 v[76:77], v17, off
	ds_read_b64 v[78:79], v1
	s_waitcnt vmcnt(0) lgkmcnt(0)
	v_mul_f64 v[76:77], v[76:77], v[78:79]
	s_cbranch_execz .LBB35_290
	s_branch .LBB35_291
.LBB35_289:
                                        ; implicit-def: $vgpr76_vgpr77
.LBB35_290:
	ds_read_b64 v[76:77], v1
.LBB35_291:
	s_and_saveexec_b64 s[8:9], s[0:1]
	s_cbranch_execz .LBB35_295
; %bb.292:
	v_add_u32_e32 v78, -6, v0
	s_movk_i32 s13, 0x150
	s_mov_b64 s[0:1], 0
.LBB35_293:                             ; =>This Inner Loop Header: Depth=1
	scratch_load_dwordx2 v[80:81], off, s12
	v_mov_b32_e32 v79, s13
	ds_read_b64 v[82:83], v79
	v_add_u32_e32 v78, -1, v78
	s_add_i32 s13, s13, 8
	s_add_i32 s12, s12, 8
	v_cmp_eq_u32_e32 vcc, 0, v78
	s_or_b64 s[0:1], vcc, s[0:1]
	s_waitcnt vmcnt(0) lgkmcnt(0)
	v_fmac_f64_e32 v[76:77], v[80:81], v[82:83]
	s_andn2_b64 exec, exec, s[0:1]
	s_cbranch_execnz .LBB35_293
; %bb.294:
	s_or_b64 exec, exec, s[0:1]
.LBB35_295:
	s_or_b64 exec, exec, s[8:9]
	v_mov_b32_e32 v78, 0
	ds_read_b64 v[78:79], v78 offset:40
	s_waitcnt lgkmcnt(0)
	v_mul_f64 v[76:77], v[76:77], v[78:79]
	scratch_store_dwordx2 off, v[76:77], off offset:40
.LBB35_296:
	s_or_b64 exec, exec, s[4:5]
	scratch_load_dwordx2 v[76:77], off, off offset:32
	v_cmp_lt_u32_e64 s[0:1], 4, v0
	s_waitcnt vmcnt(0)
	ds_write_b64 v1, v[76:77]
	s_waitcnt lgkmcnt(0)
	; wave barrier
	s_and_saveexec_b64 s[4:5], s[0:1]
	s_cbranch_execz .LBB35_306
; %bb.297:
	s_andn2_b64 vcc, exec, s[6:7]
	s_cbranch_vccnz .LBB35_299
; %bb.298:
	scratch_load_dwordx2 v[76:77], v17, off
	ds_read_b64 v[78:79], v1
	s_waitcnt vmcnt(0) lgkmcnt(0)
	v_mul_f64 v[76:77], v[76:77], v[78:79]
	s_cbranch_execz .LBB35_300
	s_branch .LBB35_301
.LBB35_299:
                                        ; implicit-def: $vgpr76_vgpr77
.LBB35_300:
	ds_read_b64 v[76:77], v1
.LBB35_301:
	s_and_saveexec_b64 s[8:9], s[2:3]
	s_cbranch_execz .LBB35_305
; %bb.302:
	s_mov_b32 s12, 40
	v_add_u32_e32 v78, -5, v0
	s_movk_i32 s13, 0x148
	s_mov_b64 s[2:3], 0
.LBB35_303:                             ; =>This Inner Loop Header: Depth=1
	scratch_load_dwordx2 v[80:81], off, s12
	v_mov_b32_e32 v79, s13
	ds_read_b64 v[82:83], v79
	v_add_u32_e32 v78, -1, v78
	s_add_i32 s13, s13, 8
	s_add_i32 s12, s12, 8
	v_cmp_eq_u32_e32 vcc, 0, v78
	s_or_b64 s[2:3], vcc, s[2:3]
	s_waitcnt vmcnt(0) lgkmcnt(0)
	v_fmac_f64_e32 v[76:77], v[80:81], v[82:83]
	s_andn2_b64 exec, exec, s[2:3]
	s_cbranch_execnz .LBB35_303
; %bb.304:
	s_or_b64 exec, exec, s[2:3]
.LBB35_305:
	s_or_b64 exec, exec, s[8:9]
	v_mov_b32_e32 v78, 0
	ds_read_b64 v[78:79], v78 offset:32
	s_waitcnt lgkmcnt(0)
	v_mul_f64 v[76:77], v[76:77], v[78:79]
	scratch_store_dwordx2 off, v[76:77], off offset:32
.LBB35_306:
	s_or_b64 exec, exec, s[4:5]
	scratch_load_dwordx2 v[76:77], off, off offset:24
	v_cmp_lt_u32_e64 s[2:3], 3, v0
	s_waitcnt vmcnt(0)
	ds_write_b64 v1, v[76:77]
	s_waitcnt lgkmcnt(0)
	; wave barrier
	s_and_saveexec_b64 s[4:5], s[2:3]
	s_cbranch_execz .LBB35_316
; %bb.307:
	s_andn2_b64 vcc, exec, s[6:7]
	s_cbranch_vccnz .LBB35_309
; %bb.308:
	scratch_load_dwordx2 v[76:77], v17, off
	ds_read_b64 v[78:79], v1
	s_waitcnt vmcnt(0) lgkmcnt(0)
	v_mul_f64 v[76:77], v[76:77], v[78:79]
	s_cbranch_execz .LBB35_310
	s_branch .LBB35_311
.LBB35_309:
                                        ; implicit-def: $vgpr76_vgpr77
.LBB35_310:
	ds_read_b64 v[76:77], v1
.LBB35_311:
	s_and_saveexec_b64 s[8:9], s[0:1]
	s_cbranch_execz .LBB35_315
; %bb.312:
	v_add_u32_e32 v78, -4, v0
	s_movk_i32 s12, 0x140
	s_mov_b64 s[0:1], 0
.LBB35_313:                             ; =>This Inner Loop Header: Depth=1
	scratch_load_dwordx2 v[80:81], off, s11
	v_mov_b32_e32 v79, s12
	ds_read_b64 v[82:83], v79
	v_add_u32_e32 v78, -1, v78
	s_add_i32 s12, s12, 8
	s_add_i32 s11, s11, 8
	v_cmp_eq_u32_e32 vcc, 0, v78
	s_or_b64 s[0:1], vcc, s[0:1]
	s_waitcnt vmcnt(0) lgkmcnt(0)
	v_fmac_f64_e32 v[76:77], v[80:81], v[82:83]
	s_andn2_b64 exec, exec, s[0:1]
	s_cbranch_execnz .LBB35_313
; %bb.314:
	s_or_b64 exec, exec, s[0:1]
.LBB35_315:
	s_or_b64 exec, exec, s[8:9]
	v_mov_b32_e32 v78, 0
	ds_read_b64 v[78:79], v78 offset:24
	s_waitcnt lgkmcnt(0)
	v_mul_f64 v[76:77], v[76:77], v[78:79]
	scratch_store_dwordx2 off, v[76:77], off offset:24
.LBB35_316:
	s_or_b64 exec, exec, s[4:5]
	scratch_load_dwordx2 v[76:77], off, off offset:16
	v_cmp_lt_u32_e64 s[0:1], 2, v0
	s_waitcnt vmcnt(0)
	ds_write_b64 v1, v[76:77]
	s_waitcnt lgkmcnt(0)
	; wave barrier
	s_and_saveexec_b64 s[4:5], s[0:1]
	s_cbranch_execz .LBB35_326
; %bb.317:
	s_andn2_b64 vcc, exec, s[6:7]
	s_cbranch_vccnz .LBB35_319
; %bb.318:
	scratch_load_dwordx2 v[76:77], v17, off
	ds_read_b64 v[78:79], v1
	s_waitcnt vmcnt(0) lgkmcnt(0)
	v_mul_f64 v[76:77], v[76:77], v[78:79]
	s_cbranch_execz .LBB35_320
	s_branch .LBB35_321
.LBB35_319:
                                        ; implicit-def: $vgpr76_vgpr77
.LBB35_320:
	ds_read_b64 v[76:77], v1
.LBB35_321:
	s_and_saveexec_b64 s[8:9], s[2:3]
	s_cbranch_execz .LBB35_325
; %bb.322:
	s_mov_b32 s11, 24
	v_add_u32_e32 v78, -3, v0
	s_movk_i32 s12, 0x138
	s_mov_b64 s[2:3], 0
.LBB35_323:                             ; =>This Inner Loop Header: Depth=1
	scratch_load_dwordx2 v[80:81], off, s11
	v_mov_b32_e32 v79, s12
	ds_read_b64 v[82:83], v79
	v_add_u32_e32 v78, -1, v78
	s_add_i32 s12, s12, 8
	s_add_i32 s11, s11, 8
	v_cmp_eq_u32_e32 vcc, 0, v78
	s_or_b64 s[2:3], vcc, s[2:3]
	s_waitcnt vmcnt(0) lgkmcnt(0)
	v_fmac_f64_e32 v[76:77], v[80:81], v[82:83]
	s_andn2_b64 exec, exec, s[2:3]
	s_cbranch_execnz .LBB35_323
; %bb.324:
	s_or_b64 exec, exec, s[2:3]
.LBB35_325:
	s_or_b64 exec, exec, s[8:9]
	v_mov_b32_e32 v78, 0
	ds_read_b64 v[78:79], v78 offset:16
	s_waitcnt lgkmcnt(0)
	v_mul_f64 v[76:77], v[76:77], v[78:79]
	scratch_store_dwordx2 off, v[76:77], off offset:16
.LBB35_326:
	s_or_b64 exec, exec, s[4:5]
	scratch_load_dwordx2 v[76:77], off, off offset:8
	v_cmp_lt_u32_e64 s[2:3], 1, v0
	s_waitcnt vmcnt(0)
	ds_write_b64 v1, v[76:77]
	s_waitcnt lgkmcnt(0)
	; wave barrier
	s_and_saveexec_b64 s[4:5], s[2:3]
	s_cbranch_execz .LBB35_336
; %bb.327:
	s_andn2_b64 vcc, exec, s[6:7]
	s_cbranch_vccnz .LBB35_329
; %bb.328:
	scratch_load_dwordx2 v[76:77], v17, off
	ds_read_b64 v[78:79], v1
	s_waitcnt vmcnt(0) lgkmcnt(0)
	v_mul_f64 v[76:77], v[76:77], v[78:79]
	s_cbranch_execz .LBB35_330
	s_branch .LBB35_331
.LBB35_329:
                                        ; implicit-def: $vgpr76_vgpr77
.LBB35_330:
	ds_read_b64 v[76:77], v1
.LBB35_331:
	s_and_saveexec_b64 s[8:9], s[0:1]
	s_cbranch_execz .LBB35_335
; %bb.332:
	v_add_u32_e32 v78, -2, v0
	s_movk_i32 s11, 0x130
	s_mov_b64 s[0:1], 0
.LBB35_333:                             ; =>This Inner Loop Header: Depth=1
	scratch_load_dwordx2 v[80:81], off, s10
	v_mov_b32_e32 v79, s11
	ds_read_b64 v[82:83], v79
	v_add_u32_e32 v78, -1, v78
	s_add_i32 s11, s11, 8
	s_add_i32 s10, s10, 8
	v_cmp_eq_u32_e32 vcc, 0, v78
	s_or_b64 s[0:1], vcc, s[0:1]
	s_waitcnt vmcnt(0) lgkmcnt(0)
	v_fmac_f64_e32 v[76:77], v[80:81], v[82:83]
	s_andn2_b64 exec, exec, s[0:1]
	s_cbranch_execnz .LBB35_333
; %bb.334:
	s_or_b64 exec, exec, s[0:1]
.LBB35_335:
	s_or_b64 exec, exec, s[8:9]
	v_mov_b32_e32 v78, 0
	ds_read_b64 v[78:79], v78 offset:8
	s_waitcnt lgkmcnt(0)
	v_mul_f64 v[76:77], v[76:77], v[78:79]
	scratch_store_dwordx2 off, v[76:77], off offset:8
.LBB35_336:
	s_or_b64 exec, exec, s[4:5]
	scratch_load_dwordx2 v[76:77], off, off
	v_cmp_ne_u32_e32 vcc, 0, v0
	s_waitcnt vmcnt(0)
	ds_write_b64 v1, v[76:77]
	s_waitcnt lgkmcnt(0)
	; wave barrier
	s_and_saveexec_b64 s[0:1], vcc
	s_cbranch_execz .LBB35_346
; %bb.337:
	s_andn2_b64 vcc, exec, s[6:7]
	s_cbranch_vccnz .LBB35_339
; %bb.338:
	scratch_load_dwordx2 v[76:77], v17, off
	ds_read_b64 v[78:79], v1
	s_waitcnt vmcnt(0) lgkmcnt(0)
	v_mul_f64 v[76:77], v[76:77], v[78:79]
	s_cbranch_execz .LBB35_340
	s_branch .LBB35_341
.LBB35_339:
                                        ; implicit-def: $vgpr76_vgpr77
.LBB35_340:
	ds_read_b64 v[76:77], v1
.LBB35_341:
	s_and_saveexec_b64 s[4:5], s[2:3]
	s_cbranch_execz .LBB35_345
; %bb.342:
	s_or_b32 s8, 0, 8
	v_add_u32_e32 v78, -1, v0
	s_movk_i32 s9, 0x128
	s_mov_b64 s[2:3], 0
.LBB35_343:                             ; =>This Inner Loop Header: Depth=1
	scratch_load_dwordx2 v[80:81], off, s8
	v_mov_b32_e32 v79, s9
	ds_read_b64 v[82:83], v79
	v_add_u32_e32 v78, -1, v78
	s_add_i32 s9, s9, 8
	s_add_i32 s8, s8, 8
	v_cmp_eq_u32_e32 vcc, 0, v78
	s_or_b64 s[2:3], vcc, s[2:3]
	s_waitcnt vmcnt(0) lgkmcnt(0)
	v_fmac_f64_e32 v[76:77], v[80:81], v[82:83]
	s_andn2_b64 exec, exec, s[2:3]
	s_cbranch_execnz .LBB35_343
; %bb.344:
	s_or_b64 exec, exec, s[2:3]
.LBB35_345:
	s_or_b64 exec, exec, s[4:5]
	v_mov_b32_e32 v78, 0
	ds_read_b64 v[78:79], v78
	s_waitcnt lgkmcnt(0)
	v_mul_f64 v[76:77], v[76:77], v[78:79]
	scratch_store_dwordx2 off, v[76:77], off
.LBB35_346:
	s_or_b64 exec, exec, s[0:1]
	s_mov_b64 s[0:1], 0
.LBB35_347:
	s_and_b64 vcc, exec, s[0:1]
	s_cbranch_vccz .LBB35_689
; %bb.348:
	scratch_load_dwordx2 v[76:77], off, off offset:8
	v_cmp_eq_u32_e64 s[2:3], 0, v0
	s_waitcnt vmcnt(0)
	ds_write_b64 v1, v[76:77]
	s_waitcnt lgkmcnt(0)
	; wave barrier
	s_and_saveexec_b64 s[0:1], s[2:3]
	s_cbranch_execz .LBB35_354
; %bb.349:
	s_and_b64 vcc, exec, s[6:7]
	s_cbranch_vccz .LBB35_351
; %bb.350:
	scratch_load_dwordx2 v[76:77], v17, off
	ds_read_b64 v[78:79], v1
	s_waitcnt vmcnt(0) lgkmcnt(0)
	v_mul_f64 v[76:77], v[76:77], v[78:79]
	s_cbranch_execz .LBB35_352
	s_branch .LBB35_353
.LBB35_351:
                                        ; implicit-def: $vgpr76_vgpr77
.LBB35_352:
	ds_read_b64 v[76:77], v1
.LBB35_353:
	v_mov_b32_e32 v78, 0
	ds_read_b64 v[78:79], v78 offset:8
	s_waitcnt lgkmcnt(0)
	v_mul_f64 v[76:77], v[76:77], v[78:79]
	scratch_store_dwordx2 off, v[76:77], off offset:8
.LBB35_354:
	s_or_b64 exec, exec, s[0:1]
	scratch_load_dwordx2 v[76:77], off, off offset:16
	v_cndmask_b32_e64 v78, 0, 1, s[6:7]
	v_cmp_gt_u32_e32 vcc, 2, v0
	v_cmp_ne_u32_e64 s[0:1], 1, v78
	s_waitcnt vmcnt(0)
	ds_write_b64 v1, v[76:77]
	s_waitcnt lgkmcnt(0)
	; wave barrier
	s_and_saveexec_b64 s[4:5], vcc
	s_cbranch_execz .LBB35_360
; %bb.355:
	s_and_b64 vcc, exec, s[0:1]
	s_cbranch_vccnz .LBB35_357
; %bb.356:
	scratch_load_dwordx2 v[76:77], v17, off
	ds_read_b64 v[78:79], v1
	s_waitcnt vmcnt(0) lgkmcnt(0)
	v_mul_f64 v[76:77], v[76:77], v[78:79]
	s_cbranch_execz .LBB35_358
	s_branch .LBB35_359
.LBB35_357:
                                        ; implicit-def: $vgpr76_vgpr77
.LBB35_358:
	ds_read_b64 v[76:77], v1
.LBB35_359:
	scratch_load_dwordx2 v[82:83], off, off offset:8
	v_mov_b32_e32 v78, 0
	ds_read2_b64 v[78:81], v78 offset0:2 offset1:37
	s_waitcnt vmcnt(0) lgkmcnt(0)
	v_fma_f64 v[80:81], v[82:83], v[80:81], v[76:77]
	v_cndmask_b32_e64 v77, v77, v81, s[2:3]
	v_cndmask_b32_e64 v76, v76, v80, s[2:3]
	v_mul_f64 v[76:77], v[76:77], v[78:79]
	scratch_store_dwordx2 off, v[76:77], off offset:16
.LBB35_360:
	s_or_b64 exec, exec, s[4:5]
	scratch_load_dwordx2 v[76:77], off, off offset:24
	v_cmp_gt_u32_e32 vcc, 3, v0
	s_waitcnt vmcnt(0)
	ds_write_b64 v1, v[76:77]
	s_waitcnt lgkmcnt(0)
	; wave barrier
	s_and_saveexec_b64 s[4:5], vcc
	s_cbranch_execz .LBB35_368
; %bb.361:
	s_and_b64 vcc, exec, s[0:1]
	s_cbranch_vccnz .LBB35_363
; %bb.362:
	scratch_load_dwordx2 v[76:77], v17, off
	ds_read_b64 v[78:79], v1
	s_waitcnt vmcnt(0) lgkmcnt(0)
	v_mul_f64 v[76:77], v[76:77], v[78:79]
	s_cbranch_execz .LBB35_364
	s_branch .LBB35_365
.LBB35_363:
                                        ; implicit-def: $vgpr76_vgpr77
.LBB35_364:
	ds_read_b64 v[76:77], v1
.LBB35_365:
	v_cmp_ne_u32_e32 vcc, 2, v0
	s_and_saveexec_b64 s[6:7], vcc
	s_cbranch_execz .LBB35_367
; %bb.366:
	scratch_load_dwordx2 v[78:79], v17, off offset:8
	scratch_load_dwordx2 v[80:81], off, off offset:16
	ds_read_b64 v[82:83], v1 offset:8
	v_mov_b32_e32 v84, 0
	ds_read_b64 v[84:85], v84 offset:304
	s_waitcnt vmcnt(1) lgkmcnt(1)
	v_fmac_f64_e32 v[76:77], v[78:79], v[82:83]
	s_waitcnt vmcnt(0) lgkmcnt(0)
	v_fma_f64 v[78:79], v[80:81], v[84:85], v[76:77]
	v_cndmask_b32_e64 v77, v77, v79, s[2:3]
	v_cndmask_b32_e64 v76, v76, v78, s[2:3]
.LBB35_367:
	s_or_b64 exec, exec, s[6:7]
	v_mov_b32_e32 v78, 0
	ds_read_b64 v[78:79], v78 offset:24
	s_waitcnt lgkmcnt(0)
	v_mul_f64 v[76:77], v[76:77], v[78:79]
	scratch_store_dwordx2 off, v[76:77], off offset:24
.LBB35_368:
	s_or_b64 exec, exec, s[4:5]
	scratch_load_dwordx2 v[76:77], off, off offset:32
	v_cmp_gt_u32_e32 vcc, 4, v0
	s_waitcnt vmcnt(0)
	ds_write_b64 v1, v[76:77]
	s_waitcnt lgkmcnt(0)
	; wave barrier
	s_and_saveexec_b64 s[2:3], vcc
	s_cbranch_execz .LBB35_378
; %bb.369:
	s_and_b64 vcc, exec, s[0:1]
	s_cbranch_vccnz .LBB35_371
; %bb.370:
	scratch_load_dwordx2 v[76:77], v17, off
	ds_read_b64 v[78:79], v1
	s_waitcnt vmcnt(0) lgkmcnt(0)
	v_mul_f64 v[76:77], v[76:77], v[78:79]
	s_cbranch_execz .LBB35_372
	s_branch .LBB35_373
.LBB35_371:
                                        ; implicit-def: $vgpr76_vgpr77
.LBB35_372:
	ds_read_b64 v[76:77], v1
.LBB35_373:
	v_cmp_ne_u32_e32 vcc, 3, v0
	s_and_saveexec_b64 s[4:5], vcc
	s_cbranch_execz .LBB35_377
; %bb.374:
	s_mov_b32 s6, 0
	v_add_u32_e32 v78, 0x128, v16
	v_add3_u32 v79, v16, s6, 8
	s_mov_b64 s[6:7], 0
	v_mov_b32_e32 v80, v0
.LBB35_375:                             ; =>This Inner Loop Header: Depth=1
	scratch_load_dwordx2 v[82:83], v79, off
	ds_read_b64 v[84:85], v78
	v_add_u32_e32 v80, 1, v80
	v_cmp_lt_u32_e32 vcc, 2, v80
	v_add_u32_e32 v78, 8, v78
	v_add_u32_e32 v79, 8, v79
	s_or_b64 s[6:7], vcc, s[6:7]
	s_waitcnt vmcnt(0) lgkmcnt(0)
	v_fmac_f64_e32 v[76:77], v[82:83], v[84:85]
	s_andn2_b64 exec, exec, s[6:7]
	s_cbranch_execnz .LBB35_375
; %bb.376:
	s_or_b64 exec, exec, s[6:7]
.LBB35_377:
	s_or_b64 exec, exec, s[4:5]
	v_mov_b32_e32 v78, 0
	ds_read_b64 v[78:79], v78 offset:32
	s_waitcnt lgkmcnt(0)
	v_mul_f64 v[76:77], v[76:77], v[78:79]
	scratch_store_dwordx2 off, v[76:77], off offset:32
.LBB35_378:
	s_or_b64 exec, exec, s[2:3]
	scratch_load_dwordx2 v[76:77], off, off offset:40
	v_cmp_gt_u32_e32 vcc, 5, v0
	s_waitcnt vmcnt(0)
	ds_write_b64 v1, v[76:77]
	s_waitcnt lgkmcnt(0)
	; wave barrier
	s_and_saveexec_b64 s[2:3], vcc
	s_cbranch_execz .LBB35_388
; %bb.379:
	s_and_b64 vcc, exec, s[0:1]
	s_cbranch_vccnz .LBB35_381
; %bb.380:
	scratch_load_dwordx2 v[76:77], v17, off
	ds_read_b64 v[78:79], v1
	s_waitcnt vmcnt(0) lgkmcnt(0)
	v_mul_f64 v[76:77], v[76:77], v[78:79]
	s_cbranch_execz .LBB35_382
	s_branch .LBB35_383
.LBB35_381:
                                        ; implicit-def: $vgpr76_vgpr77
.LBB35_382:
	ds_read_b64 v[76:77], v1
.LBB35_383:
	v_cmp_ne_u32_e32 vcc, 4, v0
	s_and_saveexec_b64 s[4:5], vcc
	s_cbranch_execz .LBB35_387
; %bb.384:
	s_mov_b32 s6, 0
	v_add_u32_e32 v78, 0x128, v16
	v_add3_u32 v79, v16, s6, 8
	s_mov_b64 s[6:7], 0
	v_mov_b32_e32 v80, v0
.LBB35_385:                             ; =>This Inner Loop Header: Depth=1
	scratch_load_dwordx2 v[82:83], v79, off
	ds_read_b64 v[84:85], v78
	v_add_u32_e32 v80, 1, v80
	v_cmp_lt_u32_e32 vcc, 3, v80
	v_add_u32_e32 v78, 8, v78
	v_add_u32_e32 v79, 8, v79
	s_or_b64 s[6:7], vcc, s[6:7]
	s_waitcnt vmcnt(0) lgkmcnt(0)
	v_fmac_f64_e32 v[76:77], v[82:83], v[84:85]
	s_andn2_b64 exec, exec, s[6:7]
	s_cbranch_execnz .LBB35_385
; %bb.386:
	s_or_b64 exec, exec, s[6:7]
.LBB35_387:
	s_or_b64 exec, exec, s[4:5]
	v_mov_b32_e32 v78, 0
	ds_read_b64 v[78:79], v78 offset:40
	s_waitcnt lgkmcnt(0)
	v_mul_f64 v[76:77], v[76:77], v[78:79]
	scratch_store_dwordx2 off, v[76:77], off offset:40
.LBB35_388:
	;; [unrolled: 55-line block ×30, first 2 shown]
	s_or_b64 exec, exec, s[2:3]
	scratch_load_dwordx2 v[76:77], off, off offset:272
	v_cmp_gt_u32_e64 s[2:3], 34, v0
	s_waitcnt vmcnt(0)
	ds_write_b64 v1, v[76:77]
	s_waitcnt lgkmcnt(0)
	; wave barrier
	s_and_saveexec_b64 s[4:5], s[2:3]
	s_cbranch_execz .LBB35_678
; %bb.669:
	s_and_b64 vcc, exec, s[0:1]
	s_cbranch_vccnz .LBB35_671
; %bb.670:
	scratch_load_dwordx2 v[76:77], v17, off
	ds_read_b64 v[78:79], v1
	s_waitcnt vmcnt(0) lgkmcnt(0)
	v_mul_f64 v[76:77], v[76:77], v[78:79]
	s_cbranch_execz .LBB35_672
	s_branch .LBB35_673
.LBB35_671:
                                        ; implicit-def: $vgpr76_vgpr77
.LBB35_672:
	ds_read_b64 v[76:77], v1
.LBB35_673:
	v_cmp_ne_u32_e32 vcc, 33, v0
	s_and_saveexec_b64 s[6:7], vcc
	s_cbranch_execz .LBB35_677
; %bb.674:
	s_mov_b32 s8, 0
	v_add_u32_e32 v78, 0x128, v16
	v_add3_u32 v79, v16, s8, 8
	s_mov_b64 s[8:9], 0
	v_mov_b32_e32 v80, v0
.LBB35_675:                             ; =>This Inner Loop Header: Depth=1
	scratch_load_dwordx2 v[82:83], v79, off
	ds_read_b64 v[84:85], v78
	v_add_u32_e32 v80, 1, v80
	v_cmp_lt_u32_e32 vcc, 32, v80
	v_add_u32_e32 v78, 8, v78
	v_add_u32_e32 v79, 8, v79
	s_or_b64 s[8:9], vcc, s[8:9]
	s_waitcnt vmcnt(0) lgkmcnt(0)
	v_fmac_f64_e32 v[76:77], v[82:83], v[84:85]
	s_andn2_b64 exec, exec, s[8:9]
	s_cbranch_execnz .LBB35_675
; %bb.676:
	s_or_b64 exec, exec, s[8:9]
.LBB35_677:
	s_or_b64 exec, exec, s[6:7]
	v_mov_b32_e32 v78, 0
	ds_read_b64 v[78:79], v78 offset:272
	s_waitcnt lgkmcnt(0)
	v_mul_f64 v[76:77], v[76:77], v[78:79]
	scratch_store_dwordx2 off, v[76:77], off offset:272
.LBB35_678:
	s_or_b64 exec, exec, s[4:5]
	scratch_load_dwordx2 v[76:77], off, off offset:280
	v_cmp_ne_u32_e32 vcc, 35, v0
	s_waitcnt vmcnt(0)
	ds_write_b64 v1, v[76:77]
	s_waitcnt lgkmcnt(0)
	; wave barrier
	s_and_saveexec_b64 s[4:5], vcc
	s_cbranch_execz .LBB35_688
; %bb.679:
	s_and_b64 vcc, exec, s[0:1]
	s_cbranch_vccnz .LBB35_681
; %bb.680:
	scratch_load_dwordx2 v[76:77], v17, off
	ds_read_b64 v[78:79], v1
	s_waitcnt vmcnt(0) lgkmcnt(0)
	v_mul_f64 v[76:77], v[76:77], v[78:79]
	s_cbranch_execz .LBB35_682
	s_branch .LBB35_683
.LBB35_681:
                                        ; implicit-def: $vgpr76_vgpr77
.LBB35_682:
	ds_read_b64 v[76:77], v1
.LBB35_683:
	s_and_saveexec_b64 s[0:1], s[2:3]
	s_cbranch_execz .LBB35_687
; %bb.684:
	s_mov_b32 s2, 0
	v_add_u32_e32 v1, 0x128, v16
	v_add3_u32 v16, v16, s2, 8
	s_mov_b64 s[2:3], 0
.LBB35_685:                             ; =>This Inner Loop Header: Depth=1
	scratch_load_dwordx2 v[78:79], v16, off
	ds_read_b64 v[80:81], v1
	v_add_u32_e32 v0, 1, v0
	v_cmp_lt_u32_e32 vcc, 33, v0
	v_add_u32_e32 v1, 8, v1
	v_add_u32_e32 v16, 8, v16
	s_or_b64 s[2:3], vcc, s[2:3]
	s_waitcnt vmcnt(0) lgkmcnt(0)
	v_fmac_f64_e32 v[76:77], v[78:79], v[80:81]
	s_andn2_b64 exec, exec, s[2:3]
	s_cbranch_execnz .LBB35_685
; %bb.686:
	s_or_b64 exec, exec, s[2:3]
.LBB35_687:
	s_or_b64 exec, exec, s[0:1]
	v_mov_b32_e32 v0, 0
	ds_read_b64 v[0:1], v0 offset:280
	s_waitcnt lgkmcnt(0)
	v_mul_f64 v[0:1], v[76:77], v[0:1]
	scratch_store_dwordx2 off, v[0:1], off offset:280
.LBB35_688:
	s_or_b64 exec, exec, s[4:5]
.LBB35_689:
	scratch_load_dwordx4 v[76:79], off, off
	s_waitcnt vmcnt(0)
	global_store_dwordx2 v[2:3], v[76:77], off
	global_store_dwordx2 v[4:5], v[78:79], off
	scratch_load_dwordx4 v[0:3], off, off offset:16
	s_waitcnt vmcnt(0)
	global_store_dwordx2 v[6:7], v[0:1], off
	global_store_dwordx2 v[8:9], v[2:3], off
	scratch_load_dwordx4 v[0:3], off, off offset:32
	;; [unrolled: 4-line block ×17, first 2 shown]
	s_waitcnt vmcnt(0)
	global_store_dwordx2 v[62:63], v[0:1], off
	global_store_dwordx2 v[66:67], v[2:3], off
.LBB35_690:
	s_endpgm
	.section	.rodata,"a",@progbits
	.p2align	6, 0x0
	.amdhsa_kernel _ZN9rocsolver6v33100L18trti2_kernel_smallILi36EdPdEEv13rocblas_fill_17rocblas_diagonal_T1_iil
		.amdhsa_group_segment_fixed_size 576
		.amdhsa_private_segment_fixed_size 304
		.amdhsa_kernarg_size 32
		.amdhsa_user_sgpr_count 2
		.amdhsa_user_sgpr_dispatch_ptr 0
		.amdhsa_user_sgpr_queue_ptr 0
		.amdhsa_user_sgpr_kernarg_segment_ptr 1
		.amdhsa_user_sgpr_dispatch_id 0
		.amdhsa_user_sgpr_kernarg_preload_length 0
		.amdhsa_user_sgpr_kernarg_preload_offset 0
		.amdhsa_user_sgpr_private_segment_size 0
		.amdhsa_uses_dynamic_stack 0
		.amdhsa_enable_private_segment 1
		.amdhsa_system_sgpr_workgroup_id_x 1
		.amdhsa_system_sgpr_workgroup_id_y 0
		.amdhsa_system_sgpr_workgroup_id_z 0
		.amdhsa_system_sgpr_workgroup_info 0
		.amdhsa_system_vgpr_workitem_id 0
		.amdhsa_next_free_vgpr 86
		.amdhsa_next_free_sgpr 28
		.amdhsa_accum_offset 88
		.amdhsa_reserve_vcc 1
		.amdhsa_float_round_mode_32 0
		.amdhsa_float_round_mode_16_64 0
		.amdhsa_float_denorm_mode_32 3
		.amdhsa_float_denorm_mode_16_64 3
		.amdhsa_dx10_clamp 1
		.amdhsa_ieee_mode 1
		.amdhsa_fp16_overflow 0
		.amdhsa_tg_split 0
		.amdhsa_exception_fp_ieee_invalid_op 0
		.amdhsa_exception_fp_denorm_src 0
		.amdhsa_exception_fp_ieee_div_zero 0
		.amdhsa_exception_fp_ieee_overflow 0
		.amdhsa_exception_fp_ieee_underflow 0
		.amdhsa_exception_fp_ieee_inexact 0
		.amdhsa_exception_int_div_zero 0
	.end_amdhsa_kernel
	.section	.text._ZN9rocsolver6v33100L18trti2_kernel_smallILi36EdPdEEv13rocblas_fill_17rocblas_diagonal_T1_iil,"axG",@progbits,_ZN9rocsolver6v33100L18trti2_kernel_smallILi36EdPdEEv13rocblas_fill_17rocblas_diagonal_T1_iil,comdat
.Lfunc_end35:
	.size	_ZN9rocsolver6v33100L18trti2_kernel_smallILi36EdPdEEv13rocblas_fill_17rocblas_diagonal_T1_iil, .Lfunc_end35-_ZN9rocsolver6v33100L18trti2_kernel_smallILi36EdPdEEv13rocblas_fill_17rocblas_diagonal_T1_iil
                                        ; -- End function
	.set _ZN9rocsolver6v33100L18trti2_kernel_smallILi36EdPdEEv13rocblas_fill_17rocblas_diagonal_T1_iil.num_vgpr, 86
	.set _ZN9rocsolver6v33100L18trti2_kernel_smallILi36EdPdEEv13rocblas_fill_17rocblas_diagonal_T1_iil.num_agpr, 0
	.set _ZN9rocsolver6v33100L18trti2_kernel_smallILi36EdPdEEv13rocblas_fill_17rocblas_diagonal_T1_iil.numbered_sgpr, 28
	.set _ZN9rocsolver6v33100L18trti2_kernel_smallILi36EdPdEEv13rocblas_fill_17rocblas_diagonal_T1_iil.num_named_barrier, 0
	.set _ZN9rocsolver6v33100L18trti2_kernel_smallILi36EdPdEEv13rocblas_fill_17rocblas_diagonal_T1_iil.private_seg_size, 304
	.set _ZN9rocsolver6v33100L18trti2_kernel_smallILi36EdPdEEv13rocblas_fill_17rocblas_diagonal_T1_iil.uses_vcc, 1
	.set _ZN9rocsolver6v33100L18trti2_kernel_smallILi36EdPdEEv13rocblas_fill_17rocblas_diagonal_T1_iil.uses_flat_scratch, 0
	.set _ZN9rocsolver6v33100L18trti2_kernel_smallILi36EdPdEEv13rocblas_fill_17rocblas_diagonal_T1_iil.has_dyn_sized_stack, 0
	.set _ZN9rocsolver6v33100L18trti2_kernel_smallILi36EdPdEEv13rocblas_fill_17rocblas_diagonal_T1_iil.has_recursion, 0
	.set _ZN9rocsolver6v33100L18trti2_kernel_smallILi36EdPdEEv13rocblas_fill_17rocblas_diagonal_T1_iil.has_indirect_call, 0
	.section	.AMDGPU.csdata,"",@progbits
; Kernel info:
; codeLenInByte = 17012
; TotalNumSgprs: 34
; NumVgprs: 86
; NumAgprs: 0
; TotalNumVgprs: 86
; ScratchSize: 304
; MemoryBound: 0
; FloatMode: 240
; IeeeMode: 1
; LDSByteSize: 576 bytes/workgroup (compile time only)
; SGPRBlocks: 4
; VGPRBlocks: 10
; NumSGPRsForWavesPerEU: 34
; NumVGPRsForWavesPerEU: 86
; AccumOffset: 88
; Occupancy: 5
; WaveLimiterHint : 0
; COMPUTE_PGM_RSRC2:SCRATCH_EN: 1
; COMPUTE_PGM_RSRC2:USER_SGPR: 2
; COMPUTE_PGM_RSRC2:TRAP_HANDLER: 0
; COMPUTE_PGM_RSRC2:TGID_X_EN: 1
; COMPUTE_PGM_RSRC2:TGID_Y_EN: 0
; COMPUTE_PGM_RSRC2:TGID_Z_EN: 0
; COMPUTE_PGM_RSRC2:TIDIG_COMP_CNT: 0
; COMPUTE_PGM_RSRC3_GFX90A:ACCUM_OFFSET: 21
; COMPUTE_PGM_RSRC3_GFX90A:TG_SPLIT: 0
	.section	.text._ZN9rocsolver6v33100L18trti2_kernel_smallILi37EdPdEEv13rocblas_fill_17rocblas_diagonal_T1_iil,"axG",@progbits,_ZN9rocsolver6v33100L18trti2_kernel_smallILi37EdPdEEv13rocblas_fill_17rocblas_diagonal_T1_iil,comdat
	.globl	_ZN9rocsolver6v33100L18trti2_kernel_smallILi37EdPdEEv13rocblas_fill_17rocblas_diagonal_T1_iil ; -- Begin function _ZN9rocsolver6v33100L18trti2_kernel_smallILi37EdPdEEv13rocblas_fill_17rocblas_diagonal_T1_iil
	.p2align	8
	.type	_ZN9rocsolver6v33100L18trti2_kernel_smallILi37EdPdEEv13rocblas_fill_17rocblas_diagonal_T1_iil,@function
_ZN9rocsolver6v33100L18trti2_kernel_smallILi37EdPdEEv13rocblas_fill_17rocblas_diagonal_T1_iil: ; @_ZN9rocsolver6v33100L18trti2_kernel_smallILi37EdPdEEv13rocblas_fill_17rocblas_diagonal_T1_iil
; %bb.0:
	v_cmp_gt_u32_e32 vcc, 37, v0
	s_and_saveexec_b64 s[4:5], vcc
	s_cbranch_execz .LBB36_710
; %bb.1:
	s_load_dwordx8 s[4:11], s[0:1], 0x0
	s_ashr_i32 s3, s2, 31
	v_lshlrev_b32_e32 v10, 3, v0
	v_mov_b32_e32 v11, 0
	s_waitcnt lgkmcnt(0)
	s_ashr_i32 s1, s8, 31
	s_mov_b32 s0, s8
	s_mul_hi_u32 s8, s10, s2
	s_mul_i32 s3, s10, s3
	s_add_i32 s3, s8, s3
	s_mul_i32 s8, s11, s2
	s_add_i32 s3, s3, s8
	s_mul_i32 s2, s10, s2
	s_lshl_b64 s[2:3], s[2:3], 3
	s_add_u32 s2, s6, s2
	s_addc_u32 s3, s7, s3
	s_lshl_b64 s[0:1], s[0:1], 3
	s_add_u32 s0, s2, s0
	s_addc_u32 s1, s3, s1
	v_lshl_add_u64 v[2:3], s[0:1], 0, v[10:11]
	s_ashr_i32 s3, s9, 31
	s_mov_b32 s2, s9
	v_lshl_add_u64 v[4:5], s[2:3], 3, v[2:3]
	global_load_dwordx2 v[6:7], v10, s[0:1]
	global_load_dwordx2 v[8:9], v[4:5], off
	s_add_i32 s2, s9, s9
	s_cmpk_lg_i32 s5, 0x84
	s_cselect_b64 s[6:7], -1, 0
	s_cmpk_eq_i32 s5, 0x84
	s_waitcnt vmcnt(0)
	scratch_store_dwordx4 off, v[6:9], off
	s_nop 1
	v_add_u32_e32 v8, s2, v0
	v_add_u32_e32 v12, s9, v8
	v_ashrrev_i32_e32 v9, 31, v8
	v_ashrrev_i32_e32 v13, 31, v12
	v_lshl_add_u64 v[6:7], v[8:9], 3, s[0:1]
	v_lshl_add_u64 v[8:9], v[12:13], 3, s[0:1]
	global_load_dwordx2 v[14:15], v[6:7], off
	global_load_dwordx2 v[16:17], v[8:9], off
	s_waitcnt vmcnt(0)
	scratch_store_dwordx4 off, v[14:17], off offset:16
	s_nop 1
	v_add_u32_e32 v14, s9, v12
	v_add_u32_e32 v16, s9, v14
	v_ashrrev_i32_e32 v15, 31, v14
	v_ashrrev_i32_e32 v17, 31, v16
	v_lshl_add_u64 v[12:13], v[14:15], 3, s[0:1]
	v_lshl_add_u64 v[14:15], v[16:17], 3, s[0:1]
	global_load_dwordx2 v[18:19], v[12:13], off
	global_load_dwordx2 v[20:21], v[14:15], off
	s_waitcnt vmcnt(0)
	scratch_store_dwordx4 off, v[18:21], off offset:32
	;; [unrolled: 11-line block ×15, first 2 shown]
	s_nop 1
	v_add_u32_e32 v70, s9, v68
	v_add_u32_e32 v72, s9, v70
	v_ashrrev_i32_e32 v71, 31, v70
	v_ashrrev_i32_e32 v73, 31, v72
	v_lshl_add_u64 v[68:69], v[70:71], 3, s[0:1]
	v_lshl_add_u64 v[70:71], v[72:73], 3, s[0:1]
	global_load_dwordx2 v[74:75], v[68:69], off
	global_load_dwordx2 v[76:77], v[70:71], off
	v_add_u32_e32 v72, s9, v72
	v_ashrrev_i32_e32 v73, 31, v72
	s_waitcnt vmcnt(0)
	scratch_store_dwordx4 off, v[74:77], off offset:256
	s_nop 1
	v_lshl_add_u64 v[74:75], v[72:73], 3, s[0:1]
	v_add_u32_e32 v72, s9, v72
	v_ashrrev_i32_e32 v73, 31, v72
	v_lshl_add_u64 v[76:77], v[72:73], 3, s[0:1]
	global_load_dwordx2 v[78:79], v[74:75], off
	global_load_dwordx2 v[80:81], v[76:77], off
	v_add_u32_e32 v72, s9, v72
	v_ashrrev_i32_e32 v73, 31, v72
	v_lshl_add_u64 v[72:73], v[72:73], 3, s[0:1]
	s_waitcnt vmcnt(0)
	scratch_store_dwordx4 off, v[78:81], off offset:272
	global_load_dwordx2 v[78:79], v[72:73], off
	s_waitcnt vmcnt(0)
	scratch_store_dwordx2 off, v[78:79], off offset:288
	v_mov_b64_e32 v[78:79], -1.0
	s_cbranch_scc1 .LBB36_3
; %bb.2:
	scratch_load_dwordx2 v[78:79], v10, off
	s_waitcnt vmcnt(0)
	v_div_scale_f64 v[80:81], s[0:1], v[78:79], v[78:79], 1.0
	v_rcp_f64_e32 v[82:83], v[80:81]
	v_div_scale_f64 v[84:85], vcc, 1.0, v[78:79], 1.0
	v_fma_f64 v[86:87], -v[80:81], v[82:83], 1.0
	v_fmac_f64_e32 v[82:83], v[82:83], v[86:87]
	v_fma_f64 v[86:87], -v[80:81], v[82:83], 1.0
	v_fmac_f64_e32 v[82:83], v[82:83], v[86:87]
	v_mul_f64 v[86:87], v[84:85], v[82:83]
	v_fma_f64 v[80:81], -v[80:81], v[86:87], v[84:85]
	v_div_fmas_f64 v[80:81], v[80:81], v[82:83], v[86:87]
	v_div_fixup_f64 v[78:79], v[80:81], v[78:79], 1.0
	scratch_store_dwordx2 v10, v[78:79], off
	v_xor_b32_e32 v79, 0x80000000, v79
.LBB36_3:
	s_cmpk_eq_i32 s4, 0x79
	v_add_u32_e32 v1, 0x130, v10
	v_mov_b32_e32 v11, v10
	s_mov_b64 s[0:1], -1
	ds_write_b64 v10, v[78:79]
	s_cbranch_scc1 .LBB36_357
; %bb.4:
	scratch_load_dwordx2 v[78:79], off, off offset:280
	s_movk_i32 s8, 0x50
	s_movk_i32 s9, 0x60
	;; [unrolled: 1-line block ×13, first 2 shown]
	v_cmp_eq_u32_e64 s[0:1], 36, v0
	s_waitcnt vmcnt(0)
	ds_write_b64 v1, v[78:79]
	s_waitcnt lgkmcnt(0)
	; wave barrier
	s_and_saveexec_b64 s[2:3], s[0:1]
	s_cbranch_execz .LBB36_10
; %bb.5:
	s_and_b64 vcc, exec, s[6:7]
	s_cbranch_vccz .LBB36_7
; %bb.6:
	scratch_load_dwordx2 v[78:79], v11, off
	ds_read_b64 v[80:81], v1
	s_waitcnt vmcnt(0) lgkmcnt(0)
	v_mul_f64 v[78:79], v[78:79], v[80:81]
	s_cbranch_execz .LBB36_8
	s_branch .LBB36_9
.LBB36_7:
                                        ; implicit-def: $vgpr78_vgpr79
.LBB36_8:
	ds_read_b64 v[78:79], v1
.LBB36_9:
	v_mov_b32_e32 v80, 0
	ds_read_b64 v[80:81], v80 offset:280
	s_waitcnt lgkmcnt(0)
	v_mul_f64 v[78:79], v[78:79], v[80:81]
	scratch_store_dwordx2 off, v[78:79], off offset:280
.LBB36_10:
	s_or_b64 exec, exec, s[2:3]
	scratch_load_dwordx2 v[78:79], off, off offset:272
	s_mov_b32 s10, 16
	s_mov_b32 s11, 32
	;; [unrolled: 1-line block ×6, first 2 shown]
	v_cmp_lt_u32_e64 s[4:5], 34, v0
	s_waitcnt vmcnt(0)
	ds_write_b64 v1, v[78:79]
	s_waitcnt lgkmcnt(0)
	; wave barrier
	s_and_saveexec_b64 s[2:3], s[4:5]
	s_cbranch_execz .LBB36_16
; %bb.11:
	s_andn2_b64 vcc, exec, s[6:7]
	s_cbranch_vccnz .LBB36_13
; %bb.12:
	scratch_load_dwordx2 v[78:79], v11, off
	ds_read_b64 v[80:81], v1
	s_waitcnt vmcnt(0) lgkmcnt(0)
	v_mul_f64 v[78:79], v[78:79], v[80:81]
	s_cbranch_execz .LBB36_14
	s_branch .LBB36_15
.LBB36_13:
                                        ; implicit-def: $vgpr78_vgpr79
.LBB36_14:
	ds_read_b64 v[78:79], v1
.LBB36_15:
	scratch_load_dwordx2 v[84:85], off, off offset:280
	v_mov_b32_e32 v80, 0
	ds_read2_b64 v[80:83], v80 offset0:34 offset1:73
	s_waitcnt vmcnt(0) lgkmcnt(0)
	v_fma_f64 v[82:83], v[84:85], v[82:83], v[78:79]
	v_cndmask_b32_e64 v79, v79, v83, s[0:1]
	v_cndmask_b32_e64 v78, v78, v82, s[0:1]
	v_mul_f64 v[78:79], v[78:79], v[80:81]
	scratch_store_dwordx2 off, v[78:79], off offset:272
.LBB36_16:
	s_or_b64 exec, exec, s[2:3]
	scratch_load_dwordx2 v[78:79], off, off offset:264
	v_cmp_lt_u32_e64 s[2:3], 33, v0
	s_waitcnt vmcnt(0)
	ds_write_b64 v1, v[78:79]
	s_waitcnt lgkmcnt(0)
	; wave barrier
	s_and_saveexec_b64 s[0:1], s[2:3]
	s_cbranch_execz .LBB36_26
; %bb.17:
	s_andn2_b64 vcc, exec, s[6:7]
	s_cbranch_vccnz .LBB36_19
; %bb.18:
	scratch_load_dwordx2 v[78:79], v11, off
	ds_read_b64 v[80:81], v1
	s_waitcnt vmcnt(0) lgkmcnt(0)
	v_mul_f64 v[78:79], v[78:79], v[80:81]
	s_cbranch_execz .LBB36_20
	s_branch .LBB36_21
.LBB36_19:
                                        ; implicit-def: $vgpr78_vgpr79
.LBB36_20:
	ds_read_b64 v[78:79], v1
.LBB36_21:
	s_and_saveexec_b64 s[8:9], s[4:5]
	s_cbranch_execz .LBB36_25
; %bb.22:
	v_subrev_u32_e32 v80, 34, v0
	s_movk_i32 s27, 0x240
	s_mov_b64 s[4:5], 0
.LBB36_23:                              ; =>This Inner Loop Header: Depth=1
	scratch_load_dwordx2 v[82:83], off, s26
	v_mov_b32_e32 v81, s27
	ds_read_b64 v[84:85], v81
	v_add_u32_e32 v80, -1, v80
	s_add_i32 s27, s27, 8
	s_add_i32 s26, s26, 8
	v_cmp_eq_u32_e32 vcc, 0, v80
	s_or_b64 s[4:5], vcc, s[4:5]
	s_waitcnt vmcnt(0) lgkmcnt(0)
	v_fmac_f64_e32 v[78:79], v[82:83], v[84:85]
	s_andn2_b64 exec, exec, s[4:5]
	s_cbranch_execnz .LBB36_23
; %bb.24:
	s_or_b64 exec, exec, s[4:5]
.LBB36_25:
	s_or_b64 exec, exec, s[8:9]
	v_mov_b32_e32 v80, 0
	ds_read_b64 v[80:81], v80 offset:264
	s_waitcnt lgkmcnt(0)
	v_mul_f64 v[78:79], v[78:79], v[80:81]
	scratch_store_dwordx2 off, v[78:79], off offset:264
.LBB36_26:
	s_or_b64 exec, exec, s[0:1]
	scratch_load_dwordx2 v[78:79], off, off offset:256
	v_cmp_lt_u32_e64 s[0:1], 32, v0
	s_waitcnt vmcnt(0)
	ds_write_b64 v1, v[78:79]
	s_waitcnt lgkmcnt(0)
	; wave barrier
	s_and_saveexec_b64 s[4:5], s[0:1]
	s_cbranch_execz .LBB36_36
; %bb.27:
	s_andn2_b64 vcc, exec, s[6:7]
	s_cbranch_vccnz .LBB36_29
; %bb.28:
	scratch_load_dwordx2 v[78:79], v11, off
	ds_read_b64 v[80:81], v1
	s_waitcnt vmcnt(0) lgkmcnt(0)
	v_mul_f64 v[78:79], v[78:79], v[80:81]
	s_cbranch_execz .LBB36_30
	s_branch .LBB36_31
.LBB36_29:
                                        ; implicit-def: $vgpr78_vgpr79
.LBB36_30:
	ds_read_b64 v[78:79], v1
.LBB36_31:
	s_and_saveexec_b64 s[8:9], s[2:3]
	s_cbranch_execz .LBB36_35
; %bb.32:
	s_movk_i32 s26, 0x108
	v_subrev_u32_e32 v80, 33, v0
	s_movk_i32 s27, 0x238
	s_mov_b64 s[2:3], 0
.LBB36_33:                              ; =>This Inner Loop Header: Depth=1
	scratch_load_dwordx2 v[82:83], off, s26
	v_mov_b32_e32 v81, s27
	ds_read_b64 v[84:85], v81
	v_add_u32_e32 v80, -1, v80
	s_add_i32 s27, s27, 8
	s_add_i32 s26, s26, 8
	v_cmp_eq_u32_e32 vcc, 0, v80
	s_or_b64 s[2:3], vcc, s[2:3]
	s_waitcnt vmcnt(0) lgkmcnt(0)
	v_fmac_f64_e32 v[78:79], v[82:83], v[84:85]
	s_andn2_b64 exec, exec, s[2:3]
	s_cbranch_execnz .LBB36_33
; %bb.34:
	s_or_b64 exec, exec, s[2:3]
.LBB36_35:
	s_or_b64 exec, exec, s[8:9]
	v_mov_b32_e32 v80, 0
	ds_read_b64 v[80:81], v80 offset:256
	s_waitcnt lgkmcnt(0)
	v_mul_f64 v[78:79], v[78:79], v[80:81]
	scratch_store_dwordx2 off, v[78:79], off offset:256
.LBB36_36:
	s_or_b64 exec, exec, s[4:5]
	scratch_load_dwordx2 v[78:79], off, off offset:248
	v_cmp_lt_u32_e64 s[2:3], 31, v0
	s_waitcnt vmcnt(0)
	ds_write_b64 v1, v[78:79]
	s_waitcnt lgkmcnt(0)
	; wave barrier
	s_and_saveexec_b64 s[4:5], s[2:3]
	s_cbranch_execz .LBB36_46
; %bb.37:
	s_andn2_b64 vcc, exec, s[6:7]
	s_cbranch_vccnz .LBB36_39
; %bb.38:
	scratch_load_dwordx2 v[78:79], v11, off
	ds_read_b64 v[80:81], v1
	s_waitcnt vmcnt(0) lgkmcnt(0)
	v_mul_f64 v[78:79], v[78:79], v[80:81]
	s_cbranch_execz .LBB36_40
	s_branch .LBB36_41
.LBB36_39:
                                        ; implicit-def: $vgpr78_vgpr79
.LBB36_40:
	ds_read_b64 v[78:79], v1
.LBB36_41:
	s_and_saveexec_b64 s[8:9], s[0:1]
	s_cbranch_execz .LBB36_45
; %bb.42:
	v_subrev_u32_e32 v80, 32, v0
	s_movk_i32 s26, 0x230
	s_mov_b64 s[0:1], 0
.LBB36_43:                              ; =>This Inner Loop Header: Depth=1
	scratch_load_dwordx2 v[82:83], off, s25
	v_mov_b32_e32 v81, s26
	ds_read_b64 v[84:85], v81
	v_add_u32_e32 v80, -1, v80
	s_add_i32 s26, s26, 8
	s_add_i32 s25, s25, 8
	v_cmp_eq_u32_e32 vcc, 0, v80
	s_or_b64 s[0:1], vcc, s[0:1]
	s_waitcnt vmcnt(0) lgkmcnt(0)
	v_fmac_f64_e32 v[78:79], v[82:83], v[84:85]
	s_andn2_b64 exec, exec, s[0:1]
	s_cbranch_execnz .LBB36_43
; %bb.44:
	s_or_b64 exec, exec, s[0:1]
.LBB36_45:
	s_or_b64 exec, exec, s[8:9]
	v_mov_b32_e32 v80, 0
	ds_read_b64 v[80:81], v80 offset:248
	s_waitcnt lgkmcnt(0)
	v_mul_f64 v[78:79], v[78:79], v[80:81]
	scratch_store_dwordx2 off, v[78:79], off offset:248
.LBB36_46:
	s_or_b64 exec, exec, s[4:5]
	scratch_load_dwordx2 v[78:79], off, off offset:240
	v_cmp_lt_u32_e64 s[0:1], 30, v0
	s_waitcnt vmcnt(0)
	ds_write_b64 v1, v[78:79]
	s_waitcnt lgkmcnt(0)
	; wave barrier
	s_and_saveexec_b64 s[4:5], s[0:1]
	s_cbranch_execz .LBB36_56
; %bb.47:
	s_andn2_b64 vcc, exec, s[6:7]
	s_cbranch_vccnz .LBB36_49
; %bb.48:
	scratch_load_dwordx2 v[78:79], v11, off
	ds_read_b64 v[80:81], v1
	s_waitcnt vmcnt(0) lgkmcnt(0)
	v_mul_f64 v[78:79], v[78:79], v[80:81]
	s_cbranch_execz .LBB36_50
	s_branch .LBB36_51
.LBB36_49:
                                        ; implicit-def: $vgpr78_vgpr79
.LBB36_50:
	ds_read_b64 v[78:79], v1
.LBB36_51:
	s_and_saveexec_b64 s[8:9], s[2:3]
	s_cbranch_execz .LBB36_55
; %bb.52:
	s_movk_i32 s25, 0xf8
	v_subrev_u32_e32 v80, 31, v0
	s_movk_i32 s26, 0x228
	s_mov_b64 s[2:3], 0
.LBB36_53:                              ; =>This Inner Loop Header: Depth=1
	scratch_load_dwordx2 v[82:83], off, s25
	v_mov_b32_e32 v81, s26
	ds_read_b64 v[84:85], v81
	v_add_u32_e32 v80, -1, v80
	s_add_i32 s26, s26, 8
	s_add_i32 s25, s25, 8
	v_cmp_eq_u32_e32 vcc, 0, v80
	s_or_b64 s[2:3], vcc, s[2:3]
	s_waitcnt vmcnt(0) lgkmcnt(0)
	v_fmac_f64_e32 v[78:79], v[82:83], v[84:85]
	s_andn2_b64 exec, exec, s[2:3]
	s_cbranch_execnz .LBB36_53
; %bb.54:
	s_or_b64 exec, exec, s[2:3]
.LBB36_55:
	s_or_b64 exec, exec, s[8:9]
	v_mov_b32_e32 v80, 0
	ds_read_b64 v[80:81], v80 offset:240
	s_waitcnt lgkmcnt(0)
	v_mul_f64 v[78:79], v[78:79], v[80:81]
	scratch_store_dwordx2 off, v[78:79], off offset:240
.LBB36_56:
	s_or_b64 exec, exec, s[4:5]
	scratch_load_dwordx2 v[78:79], off, off offset:232
	v_cmp_lt_u32_e64 s[2:3], 29, v0
	s_waitcnt vmcnt(0)
	ds_write_b64 v1, v[78:79]
	s_waitcnt lgkmcnt(0)
	; wave barrier
	s_and_saveexec_b64 s[4:5], s[2:3]
	s_cbranch_execz .LBB36_66
; %bb.57:
	s_andn2_b64 vcc, exec, s[6:7]
	s_cbranch_vccnz .LBB36_59
; %bb.58:
	scratch_load_dwordx2 v[78:79], v11, off
	ds_read_b64 v[80:81], v1
	s_waitcnt vmcnt(0) lgkmcnt(0)
	v_mul_f64 v[78:79], v[78:79], v[80:81]
	s_cbranch_execz .LBB36_60
	s_branch .LBB36_61
.LBB36_59:
                                        ; implicit-def: $vgpr78_vgpr79
.LBB36_60:
	ds_read_b64 v[78:79], v1
.LBB36_61:
	s_and_saveexec_b64 s[8:9], s[0:1]
	s_cbranch_execz .LBB36_65
; %bb.62:
	v_subrev_u32_e32 v80, 30, v0
	s_movk_i32 s25, 0x220
	s_mov_b64 s[0:1], 0
.LBB36_63:                              ; =>This Inner Loop Header: Depth=1
	scratch_load_dwordx2 v[82:83], off, s24
	v_mov_b32_e32 v81, s25
	ds_read_b64 v[84:85], v81
	v_add_u32_e32 v80, -1, v80
	s_add_i32 s25, s25, 8
	s_add_i32 s24, s24, 8
	v_cmp_eq_u32_e32 vcc, 0, v80
	s_or_b64 s[0:1], vcc, s[0:1]
	s_waitcnt vmcnt(0) lgkmcnt(0)
	v_fmac_f64_e32 v[78:79], v[82:83], v[84:85]
	s_andn2_b64 exec, exec, s[0:1]
	s_cbranch_execnz .LBB36_63
; %bb.64:
	s_or_b64 exec, exec, s[0:1]
.LBB36_65:
	s_or_b64 exec, exec, s[8:9]
	v_mov_b32_e32 v80, 0
	ds_read_b64 v[80:81], v80 offset:232
	s_waitcnt lgkmcnt(0)
	v_mul_f64 v[78:79], v[78:79], v[80:81]
	scratch_store_dwordx2 off, v[78:79], off offset:232
.LBB36_66:
	s_or_b64 exec, exec, s[4:5]
	scratch_load_dwordx2 v[78:79], off, off offset:224
	v_cmp_lt_u32_e64 s[0:1], 28, v0
	s_waitcnt vmcnt(0)
	ds_write_b64 v1, v[78:79]
	s_waitcnt lgkmcnt(0)
	; wave barrier
	s_and_saveexec_b64 s[4:5], s[0:1]
	s_cbranch_execz .LBB36_76
; %bb.67:
	s_andn2_b64 vcc, exec, s[6:7]
	s_cbranch_vccnz .LBB36_69
; %bb.68:
	scratch_load_dwordx2 v[78:79], v11, off
	ds_read_b64 v[80:81], v1
	s_waitcnt vmcnt(0) lgkmcnt(0)
	v_mul_f64 v[78:79], v[78:79], v[80:81]
	s_cbranch_execz .LBB36_70
	s_branch .LBB36_71
.LBB36_69:
                                        ; implicit-def: $vgpr78_vgpr79
.LBB36_70:
	ds_read_b64 v[78:79], v1
.LBB36_71:
	s_and_saveexec_b64 s[8:9], s[2:3]
	s_cbranch_execz .LBB36_75
; %bb.72:
	s_movk_i32 s24, 0xe8
	v_subrev_u32_e32 v80, 29, v0
	s_movk_i32 s25, 0x218
	s_mov_b64 s[2:3], 0
.LBB36_73:                              ; =>This Inner Loop Header: Depth=1
	scratch_load_dwordx2 v[82:83], off, s24
	v_mov_b32_e32 v81, s25
	ds_read_b64 v[84:85], v81
	v_add_u32_e32 v80, -1, v80
	s_add_i32 s25, s25, 8
	s_add_i32 s24, s24, 8
	v_cmp_eq_u32_e32 vcc, 0, v80
	s_or_b64 s[2:3], vcc, s[2:3]
	s_waitcnt vmcnt(0) lgkmcnt(0)
	v_fmac_f64_e32 v[78:79], v[82:83], v[84:85]
	s_andn2_b64 exec, exec, s[2:3]
	s_cbranch_execnz .LBB36_73
; %bb.74:
	s_or_b64 exec, exec, s[2:3]
.LBB36_75:
	s_or_b64 exec, exec, s[8:9]
	v_mov_b32_e32 v80, 0
	ds_read_b64 v[80:81], v80 offset:224
	s_waitcnt lgkmcnt(0)
	v_mul_f64 v[78:79], v[78:79], v[80:81]
	scratch_store_dwordx2 off, v[78:79], off offset:224
.LBB36_76:
	s_or_b64 exec, exec, s[4:5]
	scratch_load_dwordx2 v[78:79], off, off offset:216
	v_cmp_lt_u32_e64 s[2:3], 27, v0
	s_waitcnt vmcnt(0)
	ds_write_b64 v1, v[78:79]
	s_waitcnt lgkmcnt(0)
	; wave barrier
	s_and_saveexec_b64 s[4:5], s[2:3]
	s_cbranch_execz .LBB36_86
; %bb.77:
	s_andn2_b64 vcc, exec, s[6:7]
	s_cbranch_vccnz .LBB36_79
; %bb.78:
	scratch_load_dwordx2 v[78:79], v11, off
	ds_read_b64 v[80:81], v1
	s_waitcnt vmcnt(0) lgkmcnt(0)
	v_mul_f64 v[78:79], v[78:79], v[80:81]
	s_cbranch_execz .LBB36_80
	s_branch .LBB36_81
.LBB36_79:
                                        ; implicit-def: $vgpr78_vgpr79
.LBB36_80:
	ds_read_b64 v[78:79], v1
.LBB36_81:
	s_and_saveexec_b64 s[8:9], s[0:1]
	s_cbranch_execz .LBB36_85
; %bb.82:
	v_subrev_u32_e32 v80, 28, v0
	s_movk_i32 s24, 0x210
	s_mov_b64 s[0:1], 0
.LBB36_83:                              ; =>This Inner Loop Header: Depth=1
	scratch_load_dwordx2 v[82:83], off, s23
	v_mov_b32_e32 v81, s24
	ds_read_b64 v[84:85], v81
	v_add_u32_e32 v80, -1, v80
	s_add_i32 s24, s24, 8
	s_add_i32 s23, s23, 8
	v_cmp_eq_u32_e32 vcc, 0, v80
	s_or_b64 s[0:1], vcc, s[0:1]
	s_waitcnt vmcnt(0) lgkmcnt(0)
	v_fmac_f64_e32 v[78:79], v[82:83], v[84:85]
	s_andn2_b64 exec, exec, s[0:1]
	s_cbranch_execnz .LBB36_83
; %bb.84:
	s_or_b64 exec, exec, s[0:1]
.LBB36_85:
	s_or_b64 exec, exec, s[8:9]
	v_mov_b32_e32 v80, 0
	ds_read_b64 v[80:81], v80 offset:216
	s_waitcnt lgkmcnt(0)
	v_mul_f64 v[78:79], v[78:79], v[80:81]
	scratch_store_dwordx2 off, v[78:79], off offset:216
.LBB36_86:
	s_or_b64 exec, exec, s[4:5]
	scratch_load_dwordx2 v[78:79], off, off offset:208
	v_cmp_lt_u32_e64 s[0:1], 26, v0
	s_waitcnt vmcnt(0)
	ds_write_b64 v1, v[78:79]
	s_waitcnt lgkmcnt(0)
	; wave barrier
	s_and_saveexec_b64 s[4:5], s[0:1]
	s_cbranch_execz .LBB36_96
; %bb.87:
	s_andn2_b64 vcc, exec, s[6:7]
	s_cbranch_vccnz .LBB36_89
; %bb.88:
	scratch_load_dwordx2 v[78:79], v11, off
	ds_read_b64 v[80:81], v1
	s_waitcnt vmcnt(0) lgkmcnt(0)
	v_mul_f64 v[78:79], v[78:79], v[80:81]
	s_cbranch_execz .LBB36_90
	s_branch .LBB36_91
.LBB36_89:
                                        ; implicit-def: $vgpr78_vgpr79
.LBB36_90:
	ds_read_b64 v[78:79], v1
.LBB36_91:
	s_and_saveexec_b64 s[8:9], s[2:3]
	s_cbranch_execz .LBB36_95
; %bb.92:
	s_movk_i32 s23, 0xd8
	v_subrev_u32_e32 v80, 27, v0
	s_movk_i32 s24, 0x208
	s_mov_b64 s[2:3], 0
.LBB36_93:                              ; =>This Inner Loop Header: Depth=1
	scratch_load_dwordx2 v[82:83], off, s23
	v_mov_b32_e32 v81, s24
	ds_read_b64 v[84:85], v81
	v_add_u32_e32 v80, -1, v80
	s_add_i32 s24, s24, 8
	s_add_i32 s23, s23, 8
	v_cmp_eq_u32_e32 vcc, 0, v80
	s_or_b64 s[2:3], vcc, s[2:3]
	s_waitcnt vmcnt(0) lgkmcnt(0)
	v_fmac_f64_e32 v[78:79], v[82:83], v[84:85]
	s_andn2_b64 exec, exec, s[2:3]
	s_cbranch_execnz .LBB36_93
; %bb.94:
	s_or_b64 exec, exec, s[2:3]
.LBB36_95:
	s_or_b64 exec, exec, s[8:9]
	v_mov_b32_e32 v80, 0
	ds_read_b64 v[80:81], v80 offset:208
	s_waitcnt lgkmcnt(0)
	v_mul_f64 v[78:79], v[78:79], v[80:81]
	scratch_store_dwordx2 off, v[78:79], off offset:208
.LBB36_96:
	s_or_b64 exec, exec, s[4:5]
	scratch_load_dwordx2 v[78:79], off, off offset:200
	v_cmp_lt_u32_e64 s[2:3], 25, v0
	s_waitcnt vmcnt(0)
	ds_write_b64 v1, v[78:79]
	s_waitcnt lgkmcnt(0)
	; wave barrier
	s_and_saveexec_b64 s[4:5], s[2:3]
	s_cbranch_execz .LBB36_106
; %bb.97:
	s_andn2_b64 vcc, exec, s[6:7]
	s_cbranch_vccnz .LBB36_99
; %bb.98:
	scratch_load_dwordx2 v[78:79], v11, off
	ds_read_b64 v[80:81], v1
	s_waitcnt vmcnt(0) lgkmcnt(0)
	v_mul_f64 v[78:79], v[78:79], v[80:81]
	s_cbranch_execz .LBB36_100
	s_branch .LBB36_101
.LBB36_99:
                                        ; implicit-def: $vgpr78_vgpr79
.LBB36_100:
	ds_read_b64 v[78:79], v1
.LBB36_101:
	s_and_saveexec_b64 s[8:9], s[0:1]
	s_cbranch_execz .LBB36_105
; %bb.102:
	v_subrev_u32_e32 v80, 26, v0
	s_movk_i32 s23, 0x200
	s_mov_b64 s[0:1], 0
.LBB36_103:                             ; =>This Inner Loop Header: Depth=1
	scratch_load_dwordx2 v[82:83], off, s22
	v_mov_b32_e32 v81, s23
	ds_read_b64 v[84:85], v81
	v_add_u32_e32 v80, -1, v80
	s_add_i32 s23, s23, 8
	s_add_i32 s22, s22, 8
	v_cmp_eq_u32_e32 vcc, 0, v80
	s_or_b64 s[0:1], vcc, s[0:1]
	s_waitcnt vmcnt(0) lgkmcnt(0)
	v_fmac_f64_e32 v[78:79], v[82:83], v[84:85]
	s_andn2_b64 exec, exec, s[0:1]
	s_cbranch_execnz .LBB36_103
; %bb.104:
	s_or_b64 exec, exec, s[0:1]
.LBB36_105:
	s_or_b64 exec, exec, s[8:9]
	v_mov_b32_e32 v80, 0
	ds_read_b64 v[80:81], v80 offset:200
	s_waitcnt lgkmcnt(0)
	v_mul_f64 v[78:79], v[78:79], v[80:81]
	scratch_store_dwordx2 off, v[78:79], off offset:200
.LBB36_106:
	s_or_b64 exec, exec, s[4:5]
	scratch_load_dwordx2 v[78:79], off, off offset:192
	v_cmp_lt_u32_e64 s[0:1], 24, v0
	s_waitcnt vmcnt(0)
	ds_write_b64 v1, v[78:79]
	s_waitcnt lgkmcnt(0)
	; wave barrier
	s_and_saveexec_b64 s[4:5], s[0:1]
	s_cbranch_execz .LBB36_116
; %bb.107:
	s_andn2_b64 vcc, exec, s[6:7]
	s_cbranch_vccnz .LBB36_109
; %bb.108:
	scratch_load_dwordx2 v[78:79], v11, off
	ds_read_b64 v[80:81], v1
	s_waitcnt vmcnt(0) lgkmcnt(0)
	v_mul_f64 v[78:79], v[78:79], v[80:81]
	s_cbranch_execz .LBB36_110
	s_branch .LBB36_111
.LBB36_109:
                                        ; implicit-def: $vgpr78_vgpr79
.LBB36_110:
	ds_read_b64 v[78:79], v1
.LBB36_111:
	s_and_saveexec_b64 s[8:9], s[2:3]
	s_cbranch_execz .LBB36_115
; %bb.112:
	s_movk_i32 s22, 0xc8
	v_subrev_u32_e32 v80, 25, v0
	s_movk_i32 s23, 0x1f8
	s_mov_b64 s[2:3], 0
.LBB36_113:                             ; =>This Inner Loop Header: Depth=1
	scratch_load_dwordx2 v[82:83], off, s22
	v_mov_b32_e32 v81, s23
	ds_read_b64 v[84:85], v81
	v_add_u32_e32 v80, -1, v80
	s_add_i32 s23, s23, 8
	s_add_i32 s22, s22, 8
	v_cmp_eq_u32_e32 vcc, 0, v80
	s_or_b64 s[2:3], vcc, s[2:3]
	s_waitcnt vmcnt(0) lgkmcnt(0)
	v_fmac_f64_e32 v[78:79], v[82:83], v[84:85]
	s_andn2_b64 exec, exec, s[2:3]
	s_cbranch_execnz .LBB36_113
; %bb.114:
	s_or_b64 exec, exec, s[2:3]
.LBB36_115:
	s_or_b64 exec, exec, s[8:9]
	v_mov_b32_e32 v80, 0
	ds_read_b64 v[80:81], v80 offset:192
	s_waitcnt lgkmcnt(0)
	v_mul_f64 v[78:79], v[78:79], v[80:81]
	scratch_store_dwordx2 off, v[78:79], off offset:192
.LBB36_116:
	s_or_b64 exec, exec, s[4:5]
	scratch_load_dwordx2 v[78:79], off, off offset:184
	v_cmp_lt_u32_e64 s[2:3], 23, v0
	s_waitcnt vmcnt(0)
	ds_write_b64 v1, v[78:79]
	s_waitcnt lgkmcnt(0)
	; wave barrier
	s_and_saveexec_b64 s[4:5], s[2:3]
	s_cbranch_execz .LBB36_126
; %bb.117:
	s_andn2_b64 vcc, exec, s[6:7]
	s_cbranch_vccnz .LBB36_119
; %bb.118:
	scratch_load_dwordx2 v[78:79], v11, off
	ds_read_b64 v[80:81], v1
	s_waitcnt vmcnt(0) lgkmcnt(0)
	v_mul_f64 v[78:79], v[78:79], v[80:81]
	s_cbranch_execz .LBB36_120
	s_branch .LBB36_121
.LBB36_119:
                                        ; implicit-def: $vgpr78_vgpr79
.LBB36_120:
	ds_read_b64 v[78:79], v1
.LBB36_121:
	s_and_saveexec_b64 s[8:9], s[0:1]
	s_cbranch_execz .LBB36_125
; %bb.122:
	v_subrev_u32_e32 v80, 24, v0
	s_movk_i32 s22, 0x1f0
	s_mov_b64 s[0:1], 0
.LBB36_123:                             ; =>This Inner Loop Header: Depth=1
	scratch_load_dwordx2 v[82:83], off, s21
	v_mov_b32_e32 v81, s22
	ds_read_b64 v[84:85], v81
	v_add_u32_e32 v80, -1, v80
	s_add_i32 s22, s22, 8
	s_add_i32 s21, s21, 8
	v_cmp_eq_u32_e32 vcc, 0, v80
	s_or_b64 s[0:1], vcc, s[0:1]
	s_waitcnt vmcnt(0) lgkmcnt(0)
	v_fmac_f64_e32 v[78:79], v[82:83], v[84:85]
	s_andn2_b64 exec, exec, s[0:1]
	s_cbranch_execnz .LBB36_123
; %bb.124:
	s_or_b64 exec, exec, s[0:1]
.LBB36_125:
	s_or_b64 exec, exec, s[8:9]
	v_mov_b32_e32 v80, 0
	ds_read_b64 v[80:81], v80 offset:184
	s_waitcnt lgkmcnt(0)
	v_mul_f64 v[78:79], v[78:79], v[80:81]
	scratch_store_dwordx2 off, v[78:79], off offset:184
.LBB36_126:
	s_or_b64 exec, exec, s[4:5]
	scratch_load_dwordx2 v[78:79], off, off offset:176
	v_cmp_lt_u32_e64 s[0:1], 22, v0
	s_waitcnt vmcnt(0)
	ds_write_b64 v1, v[78:79]
	s_waitcnt lgkmcnt(0)
	; wave barrier
	s_and_saveexec_b64 s[4:5], s[0:1]
	s_cbranch_execz .LBB36_136
; %bb.127:
	s_andn2_b64 vcc, exec, s[6:7]
	s_cbranch_vccnz .LBB36_129
; %bb.128:
	scratch_load_dwordx2 v[78:79], v11, off
	ds_read_b64 v[80:81], v1
	s_waitcnt vmcnt(0) lgkmcnt(0)
	v_mul_f64 v[78:79], v[78:79], v[80:81]
	s_cbranch_execz .LBB36_130
	s_branch .LBB36_131
.LBB36_129:
                                        ; implicit-def: $vgpr78_vgpr79
.LBB36_130:
	ds_read_b64 v[78:79], v1
.LBB36_131:
	s_and_saveexec_b64 s[8:9], s[2:3]
	s_cbranch_execz .LBB36_135
; %bb.132:
	s_movk_i32 s21, 0xb8
	v_subrev_u32_e32 v80, 23, v0
	s_movk_i32 s22, 0x1e8
	s_mov_b64 s[2:3], 0
.LBB36_133:                             ; =>This Inner Loop Header: Depth=1
	scratch_load_dwordx2 v[82:83], off, s21
	v_mov_b32_e32 v81, s22
	ds_read_b64 v[84:85], v81
	v_add_u32_e32 v80, -1, v80
	s_add_i32 s22, s22, 8
	s_add_i32 s21, s21, 8
	v_cmp_eq_u32_e32 vcc, 0, v80
	s_or_b64 s[2:3], vcc, s[2:3]
	s_waitcnt vmcnt(0) lgkmcnt(0)
	v_fmac_f64_e32 v[78:79], v[82:83], v[84:85]
	s_andn2_b64 exec, exec, s[2:3]
	s_cbranch_execnz .LBB36_133
; %bb.134:
	s_or_b64 exec, exec, s[2:3]
.LBB36_135:
	s_or_b64 exec, exec, s[8:9]
	v_mov_b32_e32 v80, 0
	ds_read_b64 v[80:81], v80 offset:176
	s_waitcnt lgkmcnt(0)
	v_mul_f64 v[78:79], v[78:79], v[80:81]
	scratch_store_dwordx2 off, v[78:79], off offset:176
.LBB36_136:
	s_or_b64 exec, exec, s[4:5]
	scratch_load_dwordx2 v[78:79], off, off offset:168
	v_cmp_lt_u32_e64 s[2:3], 21, v0
	s_waitcnt vmcnt(0)
	ds_write_b64 v1, v[78:79]
	s_waitcnt lgkmcnt(0)
	; wave barrier
	s_and_saveexec_b64 s[4:5], s[2:3]
	s_cbranch_execz .LBB36_146
; %bb.137:
	s_andn2_b64 vcc, exec, s[6:7]
	s_cbranch_vccnz .LBB36_139
; %bb.138:
	scratch_load_dwordx2 v[78:79], v11, off
	ds_read_b64 v[80:81], v1
	s_waitcnt vmcnt(0) lgkmcnt(0)
	v_mul_f64 v[78:79], v[78:79], v[80:81]
	s_cbranch_execz .LBB36_140
	s_branch .LBB36_141
.LBB36_139:
                                        ; implicit-def: $vgpr78_vgpr79
.LBB36_140:
	ds_read_b64 v[78:79], v1
.LBB36_141:
	s_and_saveexec_b64 s[8:9], s[0:1]
	s_cbranch_execz .LBB36_145
; %bb.142:
	v_subrev_u32_e32 v80, 22, v0
	s_movk_i32 s21, 0x1e0
	s_mov_b64 s[0:1], 0
.LBB36_143:                             ; =>This Inner Loop Header: Depth=1
	scratch_load_dwordx2 v[82:83], off, s20
	v_mov_b32_e32 v81, s21
	ds_read_b64 v[84:85], v81
	v_add_u32_e32 v80, -1, v80
	s_add_i32 s21, s21, 8
	s_add_i32 s20, s20, 8
	v_cmp_eq_u32_e32 vcc, 0, v80
	s_or_b64 s[0:1], vcc, s[0:1]
	s_waitcnt vmcnt(0) lgkmcnt(0)
	v_fmac_f64_e32 v[78:79], v[82:83], v[84:85]
	s_andn2_b64 exec, exec, s[0:1]
	s_cbranch_execnz .LBB36_143
; %bb.144:
	s_or_b64 exec, exec, s[0:1]
.LBB36_145:
	s_or_b64 exec, exec, s[8:9]
	v_mov_b32_e32 v80, 0
	ds_read_b64 v[80:81], v80 offset:168
	s_waitcnt lgkmcnt(0)
	v_mul_f64 v[78:79], v[78:79], v[80:81]
	scratch_store_dwordx2 off, v[78:79], off offset:168
.LBB36_146:
	s_or_b64 exec, exec, s[4:5]
	scratch_load_dwordx2 v[78:79], off, off offset:160
	v_cmp_lt_u32_e64 s[0:1], 20, v0
	s_waitcnt vmcnt(0)
	ds_write_b64 v1, v[78:79]
	s_waitcnt lgkmcnt(0)
	; wave barrier
	s_and_saveexec_b64 s[4:5], s[0:1]
	s_cbranch_execz .LBB36_156
; %bb.147:
	s_andn2_b64 vcc, exec, s[6:7]
	s_cbranch_vccnz .LBB36_149
; %bb.148:
	scratch_load_dwordx2 v[78:79], v11, off
	ds_read_b64 v[80:81], v1
	s_waitcnt vmcnt(0) lgkmcnt(0)
	v_mul_f64 v[78:79], v[78:79], v[80:81]
	s_cbranch_execz .LBB36_150
	s_branch .LBB36_151
.LBB36_149:
                                        ; implicit-def: $vgpr78_vgpr79
.LBB36_150:
	ds_read_b64 v[78:79], v1
.LBB36_151:
	s_and_saveexec_b64 s[8:9], s[2:3]
	s_cbranch_execz .LBB36_155
; %bb.152:
	s_movk_i32 s20, 0xa8
	v_subrev_u32_e32 v80, 21, v0
	s_movk_i32 s21, 0x1d8
	s_mov_b64 s[2:3], 0
.LBB36_153:                             ; =>This Inner Loop Header: Depth=1
	scratch_load_dwordx2 v[82:83], off, s20
	v_mov_b32_e32 v81, s21
	ds_read_b64 v[84:85], v81
	v_add_u32_e32 v80, -1, v80
	s_add_i32 s21, s21, 8
	s_add_i32 s20, s20, 8
	v_cmp_eq_u32_e32 vcc, 0, v80
	s_or_b64 s[2:3], vcc, s[2:3]
	s_waitcnt vmcnt(0) lgkmcnt(0)
	v_fmac_f64_e32 v[78:79], v[82:83], v[84:85]
	s_andn2_b64 exec, exec, s[2:3]
	s_cbranch_execnz .LBB36_153
; %bb.154:
	s_or_b64 exec, exec, s[2:3]
.LBB36_155:
	s_or_b64 exec, exec, s[8:9]
	v_mov_b32_e32 v80, 0
	ds_read_b64 v[80:81], v80 offset:160
	s_waitcnt lgkmcnt(0)
	v_mul_f64 v[78:79], v[78:79], v[80:81]
	scratch_store_dwordx2 off, v[78:79], off offset:160
.LBB36_156:
	s_or_b64 exec, exec, s[4:5]
	scratch_load_dwordx2 v[78:79], off, off offset:152
	v_cmp_lt_u32_e64 s[2:3], 19, v0
	s_waitcnt vmcnt(0)
	ds_write_b64 v1, v[78:79]
	s_waitcnt lgkmcnt(0)
	; wave barrier
	s_and_saveexec_b64 s[4:5], s[2:3]
	s_cbranch_execz .LBB36_166
; %bb.157:
	s_andn2_b64 vcc, exec, s[6:7]
	s_cbranch_vccnz .LBB36_159
; %bb.158:
	scratch_load_dwordx2 v[78:79], v11, off
	ds_read_b64 v[80:81], v1
	s_waitcnt vmcnt(0) lgkmcnt(0)
	v_mul_f64 v[78:79], v[78:79], v[80:81]
	s_cbranch_execz .LBB36_160
	s_branch .LBB36_161
.LBB36_159:
                                        ; implicit-def: $vgpr78_vgpr79
.LBB36_160:
	ds_read_b64 v[78:79], v1
.LBB36_161:
	s_and_saveexec_b64 s[8:9], s[0:1]
	s_cbranch_execz .LBB36_165
; %bb.162:
	v_subrev_u32_e32 v80, 20, v0
	s_movk_i32 s20, 0x1d0
	s_mov_b64 s[0:1], 0
.LBB36_163:                             ; =>This Inner Loop Header: Depth=1
	scratch_load_dwordx2 v[82:83], off, s19
	v_mov_b32_e32 v81, s20
	ds_read_b64 v[84:85], v81
	v_add_u32_e32 v80, -1, v80
	s_add_i32 s20, s20, 8
	s_add_i32 s19, s19, 8
	v_cmp_eq_u32_e32 vcc, 0, v80
	s_or_b64 s[0:1], vcc, s[0:1]
	s_waitcnt vmcnt(0) lgkmcnt(0)
	v_fmac_f64_e32 v[78:79], v[82:83], v[84:85]
	s_andn2_b64 exec, exec, s[0:1]
	s_cbranch_execnz .LBB36_163
; %bb.164:
	s_or_b64 exec, exec, s[0:1]
.LBB36_165:
	s_or_b64 exec, exec, s[8:9]
	v_mov_b32_e32 v80, 0
	ds_read_b64 v[80:81], v80 offset:152
	s_waitcnt lgkmcnt(0)
	v_mul_f64 v[78:79], v[78:79], v[80:81]
	scratch_store_dwordx2 off, v[78:79], off offset:152
.LBB36_166:
	s_or_b64 exec, exec, s[4:5]
	scratch_load_dwordx2 v[78:79], off, off offset:144
	v_cmp_lt_u32_e64 s[0:1], 18, v0
	s_waitcnt vmcnt(0)
	ds_write_b64 v1, v[78:79]
	s_waitcnt lgkmcnt(0)
	; wave barrier
	s_and_saveexec_b64 s[4:5], s[0:1]
	s_cbranch_execz .LBB36_176
; %bb.167:
	s_andn2_b64 vcc, exec, s[6:7]
	s_cbranch_vccnz .LBB36_169
; %bb.168:
	scratch_load_dwordx2 v[78:79], v11, off
	ds_read_b64 v[80:81], v1
	s_waitcnt vmcnt(0) lgkmcnt(0)
	v_mul_f64 v[78:79], v[78:79], v[80:81]
	s_cbranch_execz .LBB36_170
	s_branch .LBB36_171
.LBB36_169:
                                        ; implicit-def: $vgpr78_vgpr79
.LBB36_170:
	ds_read_b64 v[78:79], v1
.LBB36_171:
	s_and_saveexec_b64 s[8:9], s[2:3]
	s_cbranch_execz .LBB36_175
; %bb.172:
	s_movk_i32 s19, 0x98
	v_subrev_u32_e32 v80, 19, v0
	s_movk_i32 s20, 0x1c8
	s_mov_b64 s[2:3], 0
.LBB36_173:                             ; =>This Inner Loop Header: Depth=1
	scratch_load_dwordx2 v[82:83], off, s19
	v_mov_b32_e32 v81, s20
	ds_read_b64 v[84:85], v81
	v_add_u32_e32 v80, -1, v80
	s_add_i32 s20, s20, 8
	s_add_i32 s19, s19, 8
	v_cmp_eq_u32_e32 vcc, 0, v80
	s_or_b64 s[2:3], vcc, s[2:3]
	s_waitcnt vmcnt(0) lgkmcnt(0)
	v_fmac_f64_e32 v[78:79], v[82:83], v[84:85]
	s_andn2_b64 exec, exec, s[2:3]
	s_cbranch_execnz .LBB36_173
; %bb.174:
	s_or_b64 exec, exec, s[2:3]
.LBB36_175:
	s_or_b64 exec, exec, s[8:9]
	v_mov_b32_e32 v80, 0
	ds_read_b64 v[80:81], v80 offset:144
	s_waitcnt lgkmcnt(0)
	v_mul_f64 v[78:79], v[78:79], v[80:81]
	scratch_store_dwordx2 off, v[78:79], off offset:144
.LBB36_176:
	s_or_b64 exec, exec, s[4:5]
	scratch_load_dwordx2 v[78:79], off, off offset:136
	v_cmp_lt_u32_e64 s[2:3], 17, v0
	s_waitcnt vmcnt(0)
	ds_write_b64 v1, v[78:79]
	s_waitcnt lgkmcnt(0)
	; wave barrier
	s_and_saveexec_b64 s[4:5], s[2:3]
	s_cbranch_execz .LBB36_186
; %bb.177:
	s_andn2_b64 vcc, exec, s[6:7]
	s_cbranch_vccnz .LBB36_179
; %bb.178:
	scratch_load_dwordx2 v[78:79], v11, off
	ds_read_b64 v[80:81], v1
	s_waitcnt vmcnt(0) lgkmcnt(0)
	v_mul_f64 v[78:79], v[78:79], v[80:81]
	s_cbranch_execz .LBB36_180
	s_branch .LBB36_181
.LBB36_179:
                                        ; implicit-def: $vgpr78_vgpr79
.LBB36_180:
	ds_read_b64 v[78:79], v1
.LBB36_181:
	s_and_saveexec_b64 s[8:9], s[0:1]
	s_cbranch_execz .LBB36_185
; %bb.182:
	v_subrev_u32_e32 v80, 18, v0
	s_movk_i32 s19, 0x1c0
	s_mov_b64 s[0:1], 0
.LBB36_183:                             ; =>This Inner Loop Header: Depth=1
	scratch_load_dwordx2 v[82:83], off, s18
	v_mov_b32_e32 v81, s19
	ds_read_b64 v[84:85], v81
	v_add_u32_e32 v80, -1, v80
	s_add_i32 s19, s19, 8
	s_add_i32 s18, s18, 8
	v_cmp_eq_u32_e32 vcc, 0, v80
	s_or_b64 s[0:1], vcc, s[0:1]
	s_waitcnt vmcnt(0) lgkmcnt(0)
	v_fmac_f64_e32 v[78:79], v[82:83], v[84:85]
	s_andn2_b64 exec, exec, s[0:1]
	s_cbranch_execnz .LBB36_183
; %bb.184:
	s_or_b64 exec, exec, s[0:1]
.LBB36_185:
	s_or_b64 exec, exec, s[8:9]
	v_mov_b32_e32 v80, 0
	ds_read_b64 v[80:81], v80 offset:136
	s_waitcnt lgkmcnt(0)
	v_mul_f64 v[78:79], v[78:79], v[80:81]
	scratch_store_dwordx2 off, v[78:79], off offset:136
.LBB36_186:
	s_or_b64 exec, exec, s[4:5]
	scratch_load_dwordx2 v[78:79], off, off offset:128
	v_cmp_lt_u32_e64 s[0:1], 16, v0
	s_waitcnt vmcnt(0)
	ds_write_b64 v1, v[78:79]
	s_waitcnt lgkmcnt(0)
	; wave barrier
	s_and_saveexec_b64 s[4:5], s[0:1]
	s_cbranch_execz .LBB36_196
; %bb.187:
	s_andn2_b64 vcc, exec, s[6:7]
	s_cbranch_vccnz .LBB36_189
; %bb.188:
	scratch_load_dwordx2 v[78:79], v11, off
	ds_read_b64 v[80:81], v1
	s_waitcnt vmcnt(0) lgkmcnt(0)
	v_mul_f64 v[78:79], v[78:79], v[80:81]
	s_cbranch_execz .LBB36_190
	s_branch .LBB36_191
.LBB36_189:
                                        ; implicit-def: $vgpr78_vgpr79
.LBB36_190:
	ds_read_b64 v[78:79], v1
.LBB36_191:
	s_and_saveexec_b64 s[8:9], s[2:3]
	s_cbranch_execz .LBB36_195
; %bb.192:
	s_movk_i32 s18, 0x88
	v_subrev_u32_e32 v80, 17, v0
	s_movk_i32 s19, 0x1b8
	s_mov_b64 s[2:3], 0
.LBB36_193:                             ; =>This Inner Loop Header: Depth=1
	scratch_load_dwordx2 v[82:83], off, s18
	v_mov_b32_e32 v81, s19
	ds_read_b64 v[84:85], v81
	v_add_u32_e32 v80, -1, v80
	s_add_i32 s19, s19, 8
	s_add_i32 s18, s18, 8
	v_cmp_eq_u32_e32 vcc, 0, v80
	s_or_b64 s[2:3], vcc, s[2:3]
	s_waitcnt vmcnt(0) lgkmcnt(0)
	v_fmac_f64_e32 v[78:79], v[82:83], v[84:85]
	s_andn2_b64 exec, exec, s[2:3]
	s_cbranch_execnz .LBB36_193
; %bb.194:
	s_or_b64 exec, exec, s[2:3]
.LBB36_195:
	s_or_b64 exec, exec, s[8:9]
	v_mov_b32_e32 v80, 0
	ds_read_b64 v[80:81], v80 offset:128
	s_waitcnt lgkmcnt(0)
	v_mul_f64 v[78:79], v[78:79], v[80:81]
	scratch_store_dwordx2 off, v[78:79], off offset:128
.LBB36_196:
	s_or_b64 exec, exec, s[4:5]
	scratch_load_dwordx2 v[78:79], off, off offset:120
	v_cmp_lt_u32_e64 s[2:3], 15, v0
	s_waitcnt vmcnt(0)
	ds_write_b64 v1, v[78:79]
	s_waitcnt lgkmcnt(0)
	; wave barrier
	s_and_saveexec_b64 s[4:5], s[2:3]
	s_cbranch_execz .LBB36_206
; %bb.197:
	s_andn2_b64 vcc, exec, s[6:7]
	s_cbranch_vccnz .LBB36_199
; %bb.198:
	scratch_load_dwordx2 v[78:79], v11, off
	ds_read_b64 v[80:81], v1
	s_waitcnt vmcnt(0) lgkmcnt(0)
	v_mul_f64 v[78:79], v[78:79], v[80:81]
	s_cbranch_execz .LBB36_200
	s_branch .LBB36_201
.LBB36_199:
                                        ; implicit-def: $vgpr78_vgpr79
.LBB36_200:
	ds_read_b64 v[78:79], v1
.LBB36_201:
	s_and_saveexec_b64 s[8:9], s[0:1]
	s_cbranch_execz .LBB36_205
; %bb.202:
	v_add_u32_e32 v80, -16, v0
	s_movk_i32 s18, 0x1b0
	s_mov_b64 s[0:1], 0
.LBB36_203:                             ; =>This Inner Loop Header: Depth=1
	scratch_load_dwordx2 v[82:83], off, s17
	v_mov_b32_e32 v81, s18
	ds_read_b64 v[84:85], v81
	v_add_u32_e32 v80, -1, v80
	s_add_i32 s18, s18, 8
	s_add_i32 s17, s17, 8
	v_cmp_eq_u32_e32 vcc, 0, v80
	s_or_b64 s[0:1], vcc, s[0:1]
	s_waitcnt vmcnt(0) lgkmcnt(0)
	v_fmac_f64_e32 v[78:79], v[82:83], v[84:85]
	s_andn2_b64 exec, exec, s[0:1]
	s_cbranch_execnz .LBB36_203
; %bb.204:
	s_or_b64 exec, exec, s[0:1]
.LBB36_205:
	s_or_b64 exec, exec, s[8:9]
	v_mov_b32_e32 v80, 0
	ds_read_b64 v[80:81], v80 offset:120
	s_waitcnt lgkmcnt(0)
	v_mul_f64 v[78:79], v[78:79], v[80:81]
	scratch_store_dwordx2 off, v[78:79], off offset:120
.LBB36_206:
	s_or_b64 exec, exec, s[4:5]
	scratch_load_dwordx2 v[78:79], off, off offset:112
	v_cmp_lt_u32_e64 s[0:1], 14, v0
	s_waitcnt vmcnt(0)
	ds_write_b64 v1, v[78:79]
	s_waitcnt lgkmcnt(0)
	; wave barrier
	s_and_saveexec_b64 s[4:5], s[0:1]
	s_cbranch_execz .LBB36_216
; %bb.207:
	s_andn2_b64 vcc, exec, s[6:7]
	s_cbranch_vccnz .LBB36_209
; %bb.208:
	scratch_load_dwordx2 v[78:79], v11, off
	ds_read_b64 v[80:81], v1
	s_waitcnt vmcnt(0) lgkmcnt(0)
	v_mul_f64 v[78:79], v[78:79], v[80:81]
	s_cbranch_execz .LBB36_210
	s_branch .LBB36_211
.LBB36_209:
                                        ; implicit-def: $vgpr78_vgpr79
.LBB36_210:
	ds_read_b64 v[78:79], v1
.LBB36_211:
	s_and_saveexec_b64 s[8:9], s[2:3]
	s_cbranch_execz .LBB36_215
; %bb.212:
	s_movk_i32 s17, 0x78
	v_add_u32_e32 v80, -15, v0
	s_movk_i32 s18, 0x1a8
	s_mov_b64 s[2:3], 0
.LBB36_213:                             ; =>This Inner Loop Header: Depth=1
	scratch_load_dwordx2 v[82:83], off, s17
	v_mov_b32_e32 v81, s18
	ds_read_b64 v[84:85], v81
	v_add_u32_e32 v80, -1, v80
	s_add_i32 s18, s18, 8
	s_add_i32 s17, s17, 8
	v_cmp_eq_u32_e32 vcc, 0, v80
	s_or_b64 s[2:3], vcc, s[2:3]
	s_waitcnt vmcnt(0) lgkmcnt(0)
	v_fmac_f64_e32 v[78:79], v[82:83], v[84:85]
	s_andn2_b64 exec, exec, s[2:3]
	s_cbranch_execnz .LBB36_213
; %bb.214:
	s_or_b64 exec, exec, s[2:3]
.LBB36_215:
	s_or_b64 exec, exec, s[8:9]
	v_mov_b32_e32 v80, 0
	ds_read_b64 v[80:81], v80 offset:112
	s_waitcnt lgkmcnt(0)
	v_mul_f64 v[78:79], v[78:79], v[80:81]
	scratch_store_dwordx2 off, v[78:79], off offset:112
.LBB36_216:
	s_or_b64 exec, exec, s[4:5]
	scratch_load_dwordx2 v[78:79], off, off offset:104
	v_cmp_lt_u32_e64 s[2:3], 13, v0
	s_waitcnt vmcnt(0)
	ds_write_b64 v1, v[78:79]
	s_waitcnt lgkmcnt(0)
	; wave barrier
	s_and_saveexec_b64 s[4:5], s[2:3]
	s_cbranch_execz .LBB36_226
; %bb.217:
	s_andn2_b64 vcc, exec, s[6:7]
	s_cbranch_vccnz .LBB36_219
; %bb.218:
	scratch_load_dwordx2 v[78:79], v11, off
	ds_read_b64 v[80:81], v1
	s_waitcnt vmcnt(0) lgkmcnt(0)
	v_mul_f64 v[78:79], v[78:79], v[80:81]
	s_cbranch_execz .LBB36_220
	s_branch .LBB36_221
.LBB36_219:
                                        ; implicit-def: $vgpr78_vgpr79
.LBB36_220:
	ds_read_b64 v[78:79], v1
.LBB36_221:
	s_and_saveexec_b64 s[8:9], s[0:1]
	s_cbranch_execz .LBB36_225
; %bb.222:
	v_add_u32_e32 v80, -14, v0
	s_movk_i32 s17, 0x1a0
	s_mov_b64 s[0:1], 0
.LBB36_223:                             ; =>This Inner Loop Header: Depth=1
	scratch_load_dwordx2 v[82:83], off, s16
	v_mov_b32_e32 v81, s17
	ds_read_b64 v[84:85], v81
	v_add_u32_e32 v80, -1, v80
	s_add_i32 s17, s17, 8
	s_add_i32 s16, s16, 8
	v_cmp_eq_u32_e32 vcc, 0, v80
	s_or_b64 s[0:1], vcc, s[0:1]
	s_waitcnt vmcnt(0) lgkmcnt(0)
	v_fmac_f64_e32 v[78:79], v[82:83], v[84:85]
	s_andn2_b64 exec, exec, s[0:1]
	s_cbranch_execnz .LBB36_223
; %bb.224:
	s_or_b64 exec, exec, s[0:1]
.LBB36_225:
	s_or_b64 exec, exec, s[8:9]
	v_mov_b32_e32 v80, 0
	ds_read_b64 v[80:81], v80 offset:104
	s_waitcnt lgkmcnt(0)
	v_mul_f64 v[78:79], v[78:79], v[80:81]
	scratch_store_dwordx2 off, v[78:79], off offset:104
.LBB36_226:
	s_or_b64 exec, exec, s[4:5]
	scratch_load_dwordx2 v[78:79], off, off offset:96
	v_cmp_lt_u32_e64 s[0:1], 12, v0
	s_waitcnt vmcnt(0)
	ds_write_b64 v1, v[78:79]
	s_waitcnt lgkmcnt(0)
	; wave barrier
	s_and_saveexec_b64 s[4:5], s[0:1]
	s_cbranch_execz .LBB36_236
; %bb.227:
	s_andn2_b64 vcc, exec, s[6:7]
	s_cbranch_vccnz .LBB36_229
; %bb.228:
	scratch_load_dwordx2 v[78:79], v11, off
	ds_read_b64 v[80:81], v1
	s_waitcnt vmcnt(0) lgkmcnt(0)
	v_mul_f64 v[78:79], v[78:79], v[80:81]
	s_cbranch_execz .LBB36_230
	s_branch .LBB36_231
.LBB36_229:
                                        ; implicit-def: $vgpr78_vgpr79
.LBB36_230:
	ds_read_b64 v[78:79], v1
.LBB36_231:
	s_and_saveexec_b64 s[8:9], s[2:3]
	s_cbranch_execz .LBB36_235
; %bb.232:
	s_movk_i32 s16, 0x68
	v_add_u32_e32 v80, -13, v0
	s_movk_i32 s17, 0x198
	s_mov_b64 s[2:3], 0
.LBB36_233:                             ; =>This Inner Loop Header: Depth=1
	scratch_load_dwordx2 v[82:83], off, s16
	v_mov_b32_e32 v81, s17
	ds_read_b64 v[84:85], v81
	v_add_u32_e32 v80, -1, v80
	s_add_i32 s17, s17, 8
	s_add_i32 s16, s16, 8
	v_cmp_eq_u32_e32 vcc, 0, v80
	s_or_b64 s[2:3], vcc, s[2:3]
	s_waitcnt vmcnt(0) lgkmcnt(0)
	v_fmac_f64_e32 v[78:79], v[82:83], v[84:85]
	s_andn2_b64 exec, exec, s[2:3]
	s_cbranch_execnz .LBB36_233
; %bb.234:
	s_or_b64 exec, exec, s[2:3]
.LBB36_235:
	s_or_b64 exec, exec, s[8:9]
	v_mov_b32_e32 v80, 0
	ds_read_b64 v[80:81], v80 offset:96
	s_waitcnt lgkmcnt(0)
	v_mul_f64 v[78:79], v[78:79], v[80:81]
	scratch_store_dwordx2 off, v[78:79], off offset:96
.LBB36_236:
	s_or_b64 exec, exec, s[4:5]
	scratch_load_dwordx2 v[78:79], off, off offset:88
	v_cmp_lt_u32_e64 s[2:3], 11, v0
	s_waitcnt vmcnt(0)
	ds_write_b64 v1, v[78:79]
	s_waitcnt lgkmcnt(0)
	; wave barrier
	s_and_saveexec_b64 s[4:5], s[2:3]
	s_cbranch_execz .LBB36_246
; %bb.237:
	s_andn2_b64 vcc, exec, s[6:7]
	s_cbranch_vccnz .LBB36_239
; %bb.238:
	scratch_load_dwordx2 v[78:79], v11, off
	ds_read_b64 v[80:81], v1
	s_waitcnt vmcnt(0) lgkmcnt(0)
	v_mul_f64 v[78:79], v[78:79], v[80:81]
	s_cbranch_execz .LBB36_240
	s_branch .LBB36_241
.LBB36_239:
                                        ; implicit-def: $vgpr78_vgpr79
.LBB36_240:
	ds_read_b64 v[78:79], v1
.LBB36_241:
	s_and_saveexec_b64 s[8:9], s[0:1]
	s_cbranch_execz .LBB36_245
; %bb.242:
	v_add_u32_e32 v80, -12, v0
	s_movk_i32 s16, 0x190
	s_mov_b64 s[0:1], 0
.LBB36_243:                             ; =>This Inner Loop Header: Depth=1
	scratch_load_dwordx2 v[82:83], off, s15
	v_mov_b32_e32 v81, s16
	ds_read_b64 v[84:85], v81
	v_add_u32_e32 v80, -1, v80
	s_add_i32 s16, s16, 8
	s_add_i32 s15, s15, 8
	v_cmp_eq_u32_e32 vcc, 0, v80
	s_or_b64 s[0:1], vcc, s[0:1]
	s_waitcnt vmcnt(0) lgkmcnt(0)
	v_fmac_f64_e32 v[78:79], v[82:83], v[84:85]
	s_andn2_b64 exec, exec, s[0:1]
	s_cbranch_execnz .LBB36_243
; %bb.244:
	s_or_b64 exec, exec, s[0:1]
.LBB36_245:
	s_or_b64 exec, exec, s[8:9]
	v_mov_b32_e32 v80, 0
	ds_read_b64 v[80:81], v80 offset:88
	s_waitcnt lgkmcnt(0)
	v_mul_f64 v[78:79], v[78:79], v[80:81]
	scratch_store_dwordx2 off, v[78:79], off offset:88
.LBB36_246:
	s_or_b64 exec, exec, s[4:5]
	scratch_load_dwordx2 v[78:79], off, off offset:80
	v_cmp_lt_u32_e64 s[0:1], 10, v0
	s_waitcnt vmcnt(0)
	ds_write_b64 v1, v[78:79]
	s_waitcnt lgkmcnt(0)
	; wave barrier
	s_and_saveexec_b64 s[4:5], s[0:1]
	s_cbranch_execz .LBB36_256
; %bb.247:
	s_andn2_b64 vcc, exec, s[6:7]
	s_cbranch_vccnz .LBB36_249
; %bb.248:
	scratch_load_dwordx2 v[78:79], v11, off
	ds_read_b64 v[80:81], v1
	s_waitcnt vmcnt(0) lgkmcnt(0)
	v_mul_f64 v[78:79], v[78:79], v[80:81]
	s_cbranch_execz .LBB36_250
	s_branch .LBB36_251
.LBB36_249:
                                        ; implicit-def: $vgpr78_vgpr79
.LBB36_250:
	ds_read_b64 v[78:79], v1
.LBB36_251:
	s_and_saveexec_b64 s[8:9], s[2:3]
	s_cbranch_execz .LBB36_255
; %bb.252:
	s_movk_i32 s15, 0x58
	v_add_u32_e32 v80, -11, v0
	s_movk_i32 s16, 0x188
	s_mov_b64 s[2:3], 0
.LBB36_253:                             ; =>This Inner Loop Header: Depth=1
	scratch_load_dwordx2 v[82:83], off, s15
	v_mov_b32_e32 v81, s16
	ds_read_b64 v[84:85], v81
	v_add_u32_e32 v80, -1, v80
	s_add_i32 s16, s16, 8
	s_add_i32 s15, s15, 8
	v_cmp_eq_u32_e32 vcc, 0, v80
	s_or_b64 s[2:3], vcc, s[2:3]
	s_waitcnt vmcnt(0) lgkmcnt(0)
	v_fmac_f64_e32 v[78:79], v[82:83], v[84:85]
	s_andn2_b64 exec, exec, s[2:3]
	s_cbranch_execnz .LBB36_253
; %bb.254:
	s_or_b64 exec, exec, s[2:3]
.LBB36_255:
	s_or_b64 exec, exec, s[8:9]
	v_mov_b32_e32 v80, 0
	ds_read_b64 v[80:81], v80 offset:80
	s_waitcnt lgkmcnt(0)
	v_mul_f64 v[78:79], v[78:79], v[80:81]
	scratch_store_dwordx2 off, v[78:79], off offset:80
.LBB36_256:
	s_or_b64 exec, exec, s[4:5]
	scratch_load_dwordx2 v[78:79], off, off offset:72
	v_cmp_lt_u32_e64 s[2:3], 9, v0
	s_waitcnt vmcnt(0)
	ds_write_b64 v1, v[78:79]
	s_waitcnt lgkmcnt(0)
	; wave barrier
	s_and_saveexec_b64 s[4:5], s[2:3]
	s_cbranch_execz .LBB36_266
; %bb.257:
	s_andn2_b64 vcc, exec, s[6:7]
	s_cbranch_vccnz .LBB36_259
; %bb.258:
	scratch_load_dwordx2 v[78:79], v11, off
	ds_read_b64 v[80:81], v1
	s_waitcnt vmcnt(0) lgkmcnt(0)
	v_mul_f64 v[78:79], v[78:79], v[80:81]
	s_cbranch_execz .LBB36_260
	s_branch .LBB36_261
.LBB36_259:
                                        ; implicit-def: $vgpr78_vgpr79
.LBB36_260:
	ds_read_b64 v[78:79], v1
.LBB36_261:
	s_and_saveexec_b64 s[8:9], s[0:1]
	s_cbranch_execz .LBB36_265
; %bb.262:
	v_add_u32_e32 v80, -10, v0
	s_movk_i32 s15, 0x180
	s_mov_b64 s[0:1], 0
.LBB36_263:                             ; =>This Inner Loop Header: Depth=1
	scratch_load_dwordx2 v[82:83], off, s14
	v_mov_b32_e32 v81, s15
	ds_read_b64 v[84:85], v81
	v_add_u32_e32 v80, -1, v80
	s_add_i32 s15, s15, 8
	s_add_i32 s14, s14, 8
	v_cmp_eq_u32_e32 vcc, 0, v80
	s_or_b64 s[0:1], vcc, s[0:1]
	s_waitcnt vmcnt(0) lgkmcnt(0)
	v_fmac_f64_e32 v[78:79], v[82:83], v[84:85]
	s_andn2_b64 exec, exec, s[0:1]
	s_cbranch_execnz .LBB36_263
; %bb.264:
	s_or_b64 exec, exec, s[0:1]
.LBB36_265:
	s_or_b64 exec, exec, s[8:9]
	v_mov_b32_e32 v80, 0
	ds_read_b64 v[80:81], v80 offset:72
	s_waitcnt lgkmcnt(0)
	v_mul_f64 v[78:79], v[78:79], v[80:81]
	scratch_store_dwordx2 off, v[78:79], off offset:72
.LBB36_266:
	s_or_b64 exec, exec, s[4:5]
	scratch_load_dwordx2 v[78:79], off, off offset:64
	v_cmp_lt_u32_e64 s[0:1], 8, v0
	s_waitcnt vmcnt(0)
	ds_write_b64 v1, v[78:79]
	s_waitcnt lgkmcnt(0)
	; wave barrier
	s_and_saveexec_b64 s[4:5], s[0:1]
	s_cbranch_execz .LBB36_276
; %bb.267:
	s_andn2_b64 vcc, exec, s[6:7]
	s_cbranch_vccnz .LBB36_269
; %bb.268:
	scratch_load_dwordx2 v[78:79], v11, off
	ds_read_b64 v[80:81], v1
	s_waitcnt vmcnt(0) lgkmcnt(0)
	v_mul_f64 v[78:79], v[78:79], v[80:81]
	s_cbranch_execz .LBB36_270
	s_branch .LBB36_271
.LBB36_269:
                                        ; implicit-def: $vgpr78_vgpr79
.LBB36_270:
	ds_read_b64 v[78:79], v1
.LBB36_271:
	s_and_saveexec_b64 s[8:9], s[2:3]
	s_cbranch_execz .LBB36_275
; %bb.272:
	s_movk_i32 s14, 0x48
	v_add_u32_e32 v80, -9, v0
	s_movk_i32 s15, 0x178
	s_mov_b64 s[2:3], 0
.LBB36_273:                             ; =>This Inner Loop Header: Depth=1
	scratch_load_dwordx2 v[82:83], off, s14
	v_mov_b32_e32 v81, s15
	ds_read_b64 v[84:85], v81
	v_add_u32_e32 v80, -1, v80
	s_add_i32 s15, s15, 8
	s_add_i32 s14, s14, 8
	v_cmp_eq_u32_e32 vcc, 0, v80
	s_or_b64 s[2:3], vcc, s[2:3]
	s_waitcnt vmcnt(0) lgkmcnt(0)
	v_fmac_f64_e32 v[78:79], v[82:83], v[84:85]
	s_andn2_b64 exec, exec, s[2:3]
	s_cbranch_execnz .LBB36_273
; %bb.274:
	s_or_b64 exec, exec, s[2:3]
.LBB36_275:
	s_or_b64 exec, exec, s[8:9]
	v_mov_b32_e32 v80, 0
	ds_read_b64 v[80:81], v80 offset:64
	s_waitcnt lgkmcnt(0)
	v_mul_f64 v[78:79], v[78:79], v[80:81]
	scratch_store_dwordx2 off, v[78:79], off offset:64
.LBB36_276:
	s_or_b64 exec, exec, s[4:5]
	scratch_load_dwordx2 v[78:79], off, off offset:56
	v_cmp_lt_u32_e64 s[2:3], 7, v0
	s_waitcnt vmcnt(0)
	ds_write_b64 v1, v[78:79]
	s_waitcnt lgkmcnt(0)
	; wave barrier
	s_and_saveexec_b64 s[4:5], s[2:3]
	s_cbranch_execz .LBB36_286
; %bb.277:
	s_andn2_b64 vcc, exec, s[6:7]
	s_cbranch_vccnz .LBB36_279
; %bb.278:
	scratch_load_dwordx2 v[78:79], v11, off
	ds_read_b64 v[80:81], v1
	s_waitcnt vmcnt(0) lgkmcnt(0)
	v_mul_f64 v[78:79], v[78:79], v[80:81]
	s_cbranch_execz .LBB36_280
	s_branch .LBB36_281
.LBB36_279:
                                        ; implicit-def: $vgpr78_vgpr79
.LBB36_280:
	ds_read_b64 v[78:79], v1
.LBB36_281:
	s_and_saveexec_b64 s[8:9], s[0:1]
	s_cbranch_execz .LBB36_285
; %bb.282:
	v_add_u32_e32 v80, -8, v0
	s_movk_i32 s14, 0x170
	s_mov_b64 s[0:1], 0
.LBB36_283:                             ; =>This Inner Loop Header: Depth=1
	scratch_load_dwordx2 v[82:83], off, s13
	v_mov_b32_e32 v81, s14
	ds_read_b64 v[84:85], v81
	v_add_u32_e32 v80, -1, v80
	s_add_i32 s14, s14, 8
	s_add_i32 s13, s13, 8
	v_cmp_eq_u32_e32 vcc, 0, v80
	s_or_b64 s[0:1], vcc, s[0:1]
	s_waitcnt vmcnt(0) lgkmcnt(0)
	v_fmac_f64_e32 v[78:79], v[82:83], v[84:85]
	s_andn2_b64 exec, exec, s[0:1]
	s_cbranch_execnz .LBB36_283
; %bb.284:
	s_or_b64 exec, exec, s[0:1]
.LBB36_285:
	s_or_b64 exec, exec, s[8:9]
	v_mov_b32_e32 v80, 0
	ds_read_b64 v[80:81], v80 offset:56
	s_waitcnt lgkmcnt(0)
	v_mul_f64 v[78:79], v[78:79], v[80:81]
	scratch_store_dwordx2 off, v[78:79], off offset:56
.LBB36_286:
	s_or_b64 exec, exec, s[4:5]
	scratch_load_dwordx2 v[78:79], off, off offset:48
	v_cmp_lt_u32_e64 s[0:1], 6, v0
	s_waitcnt vmcnt(0)
	ds_write_b64 v1, v[78:79]
	s_waitcnt lgkmcnt(0)
	; wave barrier
	s_and_saveexec_b64 s[4:5], s[0:1]
	s_cbranch_execz .LBB36_296
; %bb.287:
	s_andn2_b64 vcc, exec, s[6:7]
	s_cbranch_vccnz .LBB36_289
; %bb.288:
	scratch_load_dwordx2 v[78:79], v11, off
	ds_read_b64 v[80:81], v1
	s_waitcnt vmcnt(0) lgkmcnt(0)
	v_mul_f64 v[78:79], v[78:79], v[80:81]
	s_cbranch_execz .LBB36_290
	s_branch .LBB36_291
.LBB36_289:
                                        ; implicit-def: $vgpr78_vgpr79
.LBB36_290:
	ds_read_b64 v[78:79], v1
.LBB36_291:
	s_and_saveexec_b64 s[8:9], s[2:3]
	s_cbranch_execz .LBB36_295
; %bb.292:
	s_mov_b32 s13, 56
	v_add_u32_e32 v80, -7, v0
	s_movk_i32 s14, 0x168
	s_mov_b64 s[2:3], 0
.LBB36_293:                             ; =>This Inner Loop Header: Depth=1
	scratch_load_dwordx2 v[82:83], off, s13
	v_mov_b32_e32 v81, s14
	ds_read_b64 v[84:85], v81
	v_add_u32_e32 v80, -1, v80
	s_add_i32 s14, s14, 8
	s_add_i32 s13, s13, 8
	v_cmp_eq_u32_e32 vcc, 0, v80
	s_or_b64 s[2:3], vcc, s[2:3]
	s_waitcnt vmcnt(0) lgkmcnt(0)
	v_fmac_f64_e32 v[78:79], v[82:83], v[84:85]
	s_andn2_b64 exec, exec, s[2:3]
	s_cbranch_execnz .LBB36_293
; %bb.294:
	s_or_b64 exec, exec, s[2:3]
.LBB36_295:
	s_or_b64 exec, exec, s[8:9]
	v_mov_b32_e32 v80, 0
	ds_read_b64 v[80:81], v80 offset:48
	s_waitcnt lgkmcnt(0)
	v_mul_f64 v[78:79], v[78:79], v[80:81]
	scratch_store_dwordx2 off, v[78:79], off offset:48
.LBB36_296:
	s_or_b64 exec, exec, s[4:5]
	scratch_load_dwordx2 v[78:79], off, off offset:40
	v_cmp_lt_u32_e64 s[2:3], 5, v0
	s_waitcnt vmcnt(0)
	ds_write_b64 v1, v[78:79]
	s_waitcnt lgkmcnt(0)
	; wave barrier
	s_and_saveexec_b64 s[4:5], s[2:3]
	s_cbranch_execz .LBB36_306
; %bb.297:
	s_andn2_b64 vcc, exec, s[6:7]
	s_cbranch_vccnz .LBB36_299
; %bb.298:
	scratch_load_dwordx2 v[78:79], v11, off
	ds_read_b64 v[80:81], v1
	s_waitcnt vmcnt(0) lgkmcnt(0)
	v_mul_f64 v[78:79], v[78:79], v[80:81]
	s_cbranch_execz .LBB36_300
	s_branch .LBB36_301
.LBB36_299:
                                        ; implicit-def: $vgpr78_vgpr79
.LBB36_300:
	ds_read_b64 v[78:79], v1
.LBB36_301:
	s_and_saveexec_b64 s[8:9], s[0:1]
	s_cbranch_execz .LBB36_305
; %bb.302:
	v_add_u32_e32 v80, -6, v0
	s_movk_i32 s13, 0x160
	s_mov_b64 s[0:1], 0
.LBB36_303:                             ; =>This Inner Loop Header: Depth=1
	scratch_load_dwordx2 v[82:83], off, s12
	v_mov_b32_e32 v81, s13
	ds_read_b64 v[84:85], v81
	v_add_u32_e32 v80, -1, v80
	s_add_i32 s13, s13, 8
	s_add_i32 s12, s12, 8
	v_cmp_eq_u32_e32 vcc, 0, v80
	s_or_b64 s[0:1], vcc, s[0:1]
	s_waitcnt vmcnt(0) lgkmcnt(0)
	v_fmac_f64_e32 v[78:79], v[82:83], v[84:85]
	s_andn2_b64 exec, exec, s[0:1]
	s_cbranch_execnz .LBB36_303
; %bb.304:
	s_or_b64 exec, exec, s[0:1]
.LBB36_305:
	s_or_b64 exec, exec, s[8:9]
	v_mov_b32_e32 v80, 0
	ds_read_b64 v[80:81], v80 offset:40
	s_waitcnt lgkmcnt(0)
	v_mul_f64 v[78:79], v[78:79], v[80:81]
	scratch_store_dwordx2 off, v[78:79], off offset:40
.LBB36_306:
	s_or_b64 exec, exec, s[4:5]
	scratch_load_dwordx2 v[78:79], off, off offset:32
	v_cmp_lt_u32_e64 s[0:1], 4, v0
	s_waitcnt vmcnt(0)
	ds_write_b64 v1, v[78:79]
	s_waitcnt lgkmcnt(0)
	; wave barrier
	s_and_saveexec_b64 s[4:5], s[0:1]
	s_cbranch_execz .LBB36_316
; %bb.307:
	s_andn2_b64 vcc, exec, s[6:7]
	s_cbranch_vccnz .LBB36_309
; %bb.308:
	scratch_load_dwordx2 v[78:79], v11, off
	ds_read_b64 v[80:81], v1
	s_waitcnt vmcnt(0) lgkmcnt(0)
	v_mul_f64 v[78:79], v[78:79], v[80:81]
	s_cbranch_execz .LBB36_310
	s_branch .LBB36_311
.LBB36_309:
                                        ; implicit-def: $vgpr78_vgpr79
.LBB36_310:
	ds_read_b64 v[78:79], v1
.LBB36_311:
	s_and_saveexec_b64 s[8:9], s[2:3]
	s_cbranch_execz .LBB36_315
; %bb.312:
	s_mov_b32 s12, 40
	v_add_u32_e32 v80, -5, v0
	s_movk_i32 s13, 0x158
	s_mov_b64 s[2:3], 0
.LBB36_313:                             ; =>This Inner Loop Header: Depth=1
	scratch_load_dwordx2 v[82:83], off, s12
	v_mov_b32_e32 v81, s13
	ds_read_b64 v[84:85], v81
	v_add_u32_e32 v80, -1, v80
	s_add_i32 s13, s13, 8
	s_add_i32 s12, s12, 8
	v_cmp_eq_u32_e32 vcc, 0, v80
	s_or_b64 s[2:3], vcc, s[2:3]
	s_waitcnt vmcnt(0) lgkmcnt(0)
	v_fmac_f64_e32 v[78:79], v[82:83], v[84:85]
	s_andn2_b64 exec, exec, s[2:3]
	s_cbranch_execnz .LBB36_313
; %bb.314:
	s_or_b64 exec, exec, s[2:3]
.LBB36_315:
	s_or_b64 exec, exec, s[8:9]
	v_mov_b32_e32 v80, 0
	ds_read_b64 v[80:81], v80 offset:32
	s_waitcnt lgkmcnt(0)
	v_mul_f64 v[78:79], v[78:79], v[80:81]
	scratch_store_dwordx2 off, v[78:79], off offset:32
.LBB36_316:
	s_or_b64 exec, exec, s[4:5]
	scratch_load_dwordx2 v[78:79], off, off offset:24
	v_cmp_lt_u32_e64 s[2:3], 3, v0
	s_waitcnt vmcnt(0)
	ds_write_b64 v1, v[78:79]
	s_waitcnt lgkmcnt(0)
	; wave barrier
	s_and_saveexec_b64 s[4:5], s[2:3]
	s_cbranch_execz .LBB36_326
; %bb.317:
	s_andn2_b64 vcc, exec, s[6:7]
	s_cbranch_vccnz .LBB36_319
; %bb.318:
	scratch_load_dwordx2 v[78:79], v11, off
	ds_read_b64 v[80:81], v1
	s_waitcnt vmcnt(0) lgkmcnt(0)
	v_mul_f64 v[78:79], v[78:79], v[80:81]
	s_cbranch_execz .LBB36_320
	s_branch .LBB36_321
.LBB36_319:
                                        ; implicit-def: $vgpr78_vgpr79
.LBB36_320:
	ds_read_b64 v[78:79], v1
.LBB36_321:
	s_and_saveexec_b64 s[8:9], s[0:1]
	s_cbranch_execz .LBB36_325
; %bb.322:
	v_add_u32_e32 v80, -4, v0
	s_movk_i32 s12, 0x150
	s_mov_b64 s[0:1], 0
.LBB36_323:                             ; =>This Inner Loop Header: Depth=1
	scratch_load_dwordx2 v[82:83], off, s11
	v_mov_b32_e32 v81, s12
	ds_read_b64 v[84:85], v81
	v_add_u32_e32 v80, -1, v80
	s_add_i32 s12, s12, 8
	s_add_i32 s11, s11, 8
	v_cmp_eq_u32_e32 vcc, 0, v80
	s_or_b64 s[0:1], vcc, s[0:1]
	s_waitcnt vmcnt(0) lgkmcnt(0)
	v_fmac_f64_e32 v[78:79], v[82:83], v[84:85]
	s_andn2_b64 exec, exec, s[0:1]
	s_cbranch_execnz .LBB36_323
; %bb.324:
	s_or_b64 exec, exec, s[0:1]
.LBB36_325:
	s_or_b64 exec, exec, s[8:9]
	v_mov_b32_e32 v80, 0
	ds_read_b64 v[80:81], v80 offset:24
	s_waitcnt lgkmcnt(0)
	v_mul_f64 v[78:79], v[78:79], v[80:81]
	scratch_store_dwordx2 off, v[78:79], off offset:24
.LBB36_326:
	s_or_b64 exec, exec, s[4:5]
	scratch_load_dwordx2 v[78:79], off, off offset:16
	v_cmp_lt_u32_e64 s[0:1], 2, v0
	s_waitcnt vmcnt(0)
	ds_write_b64 v1, v[78:79]
	s_waitcnt lgkmcnt(0)
	; wave barrier
	s_and_saveexec_b64 s[4:5], s[0:1]
	s_cbranch_execz .LBB36_336
; %bb.327:
	s_andn2_b64 vcc, exec, s[6:7]
	s_cbranch_vccnz .LBB36_329
; %bb.328:
	scratch_load_dwordx2 v[78:79], v11, off
	ds_read_b64 v[80:81], v1
	s_waitcnt vmcnt(0) lgkmcnt(0)
	v_mul_f64 v[78:79], v[78:79], v[80:81]
	s_cbranch_execz .LBB36_330
	s_branch .LBB36_331
.LBB36_329:
                                        ; implicit-def: $vgpr78_vgpr79
.LBB36_330:
	ds_read_b64 v[78:79], v1
.LBB36_331:
	s_and_saveexec_b64 s[8:9], s[2:3]
	s_cbranch_execz .LBB36_335
; %bb.332:
	s_mov_b32 s11, 24
	v_add_u32_e32 v80, -3, v0
	s_movk_i32 s12, 0x148
	s_mov_b64 s[2:3], 0
.LBB36_333:                             ; =>This Inner Loop Header: Depth=1
	scratch_load_dwordx2 v[82:83], off, s11
	v_mov_b32_e32 v81, s12
	ds_read_b64 v[84:85], v81
	v_add_u32_e32 v80, -1, v80
	s_add_i32 s12, s12, 8
	s_add_i32 s11, s11, 8
	v_cmp_eq_u32_e32 vcc, 0, v80
	s_or_b64 s[2:3], vcc, s[2:3]
	s_waitcnt vmcnt(0) lgkmcnt(0)
	v_fmac_f64_e32 v[78:79], v[82:83], v[84:85]
	s_andn2_b64 exec, exec, s[2:3]
	s_cbranch_execnz .LBB36_333
; %bb.334:
	s_or_b64 exec, exec, s[2:3]
.LBB36_335:
	s_or_b64 exec, exec, s[8:9]
	v_mov_b32_e32 v80, 0
	ds_read_b64 v[80:81], v80 offset:16
	s_waitcnt lgkmcnt(0)
	v_mul_f64 v[78:79], v[78:79], v[80:81]
	scratch_store_dwordx2 off, v[78:79], off offset:16
.LBB36_336:
	s_or_b64 exec, exec, s[4:5]
	scratch_load_dwordx2 v[78:79], off, off offset:8
	v_cmp_lt_u32_e64 s[2:3], 1, v0
	s_waitcnt vmcnt(0)
	ds_write_b64 v1, v[78:79]
	s_waitcnt lgkmcnt(0)
	; wave barrier
	s_and_saveexec_b64 s[4:5], s[2:3]
	s_cbranch_execz .LBB36_346
; %bb.337:
	s_andn2_b64 vcc, exec, s[6:7]
	s_cbranch_vccnz .LBB36_339
; %bb.338:
	scratch_load_dwordx2 v[78:79], v11, off
	ds_read_b64 v[80:81], v1
	s_waitcnt vmcnt(0) lgkmcnt(0)
	v_mul_f64 v[78:79], v[78:79], v[80:81]
	s_cbranch_execz .LBB36_340
	s_branch .LBB36_341
.LBB36_339:
                                        ; implicit-def: $vgpr78_vgpr79
.LBB36_340:
	ds_read_b64 v[78:79], v1
.LBB36_341:
	s_and_saveexec_b64 s[8:9], s[0:1]
	s_cbranch_execz .LBB36_345
; %bb.342:
	v_add_u32_e32 v80, -2, v0
	s_movk_i32 s11, 0x140
	s_mov_b64 s[0:1], 0
.LBB36_343:                             ; =>This Inner Loop Header: Depth=1
	scratch_load_dwordx2 v[82:83], off, s10
	v_mov_b32_e32 v81, s11
	ds_read_b64 v[84:85], v81
	v_add_u32_e32 v80, -1, v80
	s_add_i32 s11, s11, 8
	s_add_i32 s10, s10, 8
	v_cmp_eq_u32_e32 vcc, 0, v80
	s_or_b64 s[0:1], vcc, s[0:1]
	s_waitcnt vmcnt(0) lgkmcnt(0)
	v_fmac_f64_e32 v[78:79], v[82:83], v[84:85]
	s_andn2_b64 exec, exec, s[0:1]
	s_cbranch_execnz .LBB36_343
; %bb.344:
	s_or_b64 exec, exec, s[0:1]
.LBB36_345:
	s_or_b64 exec, exec, s[8:9]
	v_mov_b32_e32 v80, 0
	ds_read_b64 v[80:81], v80 offset:8
	s_waitcnt lgkmcnt(0)
	v_mul_f64 v[78:79], v[78:79], v[80:81]
	scratch_store_dwordx2 off, v[78:79], off offset:8
.LBB36_346:
	s_or_b64 exec, exec, s[4:5]
	scratch_load_dwordx2 v[78:79], off, off
	v_cmp_ne_u32_e32 vcc, 0, v0
	s_waitcnt vmcnt(0)
	ds_write_b64 v1, v[78:79]
	s_waitcnt lgkmcnt(0)
	; wave barrier
	s_and_saveexec_b64 s[0:1], vcc
	s_cbranch_execz .LBB36_356
; %bb.347:
	s_andn2_b64 vcc, exec, s[6:7]
	s_cbranch_vccnz .LBB36_349
; %bb.348:
	scratch_load_dwordx2 v[78:79], v11, off
	ds_read_b64 v[80:81], v1
	s_waitcnt vmcnt(0) lgkmcnt(0)
	v_mul_f64 v[78:79], v[78:79], v[80:81]
	s_cbranch_execz .LBB36_350
	s_branch .LBB36_351
.LBB36_349:
                                        ; implicit-def: $vgpr78_vgpr79
.LBB36_350:
	ds_read_b64 v[78:79], v1
.LBB36_351:
	s_and_saveexec_b64 s[4:5], s[2:3]
	s_cbranch_execz .LBB36_355
; %bb.352:
	s_or_b32 s8, 0, 8
	v_add_u32_e32 v80, -1, v0
	s_movk_i32 s9, 0x138
	s_mov_b64 s[2:3], 0
.LBB36_353:                             ; =>This Inner Loop Header: Depth=1
	scratch_load_dwordx2 v[82:83], off, s8
	v_mov_b32_e32 v81, s9
	ds_read_b64 v[84:85], v81
	v_add_u32_e32 v80, -1, v80
	s_add_i32 s9, s9, 8
	s_add_i32 s8, s8, 8
	v_cmp_eq_u32_e32 vcc, 0, v80
	s_or_b64 s[2:3], vcc, s[2:3]
	s_waitcnt vmcnt(0) lgkmcnt(0)
	v_fmac_f64_e32 v[78:79], v[82:83], v[84:85]
	s_andn2_b64 exec, exec, s[2:3]
	s_cbranch_execnz .LBB36_353
; %bb.354:
	s_or_b64 exec, exec, s[2:3]
.LBB36_355:
	s_or_b64 exec, exec, s[4:5]
	v_mov_b32_e32 v80, 0
	ds_read_b64 v[80:81], v80
	s_waitcnt lgkmcnt(0)
	v_mul_f64 v[78:79], v[78:79], v[80:81]
	scratch_store_dwordx2 off, v[78:79], off
.LBB36_356:
	s_or_b64 exec, exec, s[0:1]
	s_mov_b64 s[0:1], 0
.LBB36_357:
	s_and_b64 vcc, exec, s[0:1]
	s_cbranch_vccz .LBB36_709
; %bb.358:
	scratch_load_dwordx2 v[78:79], off, off offset:8
	v_cmp_eq_u32_e64 s[2:3], 0, v0
	s_waitcnt vmcnt(0)
	ds_write_b64 v1, v[78:79]
	s_waitcnt lgkmcnt(0)
	; wave barrier
	s_and_saveexec_b64 s[0:1], s[2:3]
	s_cbranch_execz .LBB36_364
; %bb.359:
	s_and_b64 vcc, exec, s[6:7]
	s_cbranch_vccz .LBB36_361
; %bb.360:
	scratch_load_dwordx2 v[78:79], v11, off
	ds_read_b64 v[80:81], v1
	s_waitcnt vmcnt(0) lgkmcnt(0)
	v_mul_f64 v[78:79], v[78:79], v[80:81]
	s_cbranch_execz .LBB36_362
	s_branch .LBB36_363
.LBB36_361:
                                        ; implicit-def: $vgpr78_vgpr79
.LBB36_362:
	ds_read_b64 v[78:79], v1
.LBB36_363:
	v_mov_b32_e32 v80, 0
	ds_read_b64 v[80:81], v80 offset:8
	s_waitcnt lgkmcnt(0)
	v_mul_f64 v[78:79], v[78:79], v[80:81]
	scratch_store_dwordx2 off, v[78:79], off offset:8
.LBB36_364:
	s_or_b64 exec, exec, s[0:1]
	scratch_load_dwordx2 v[78:79], off, off offset:16
	v_cndmask_b32_e64 v80, 0, 1, s[6:7]
	v_cmp_gt_u32_e32 vcc, 2, v0
	v_cmp_ne_u32_e64 s[0:1], 1, v80
	s_waitcnt vmcnt(0)
	ds_write_b64 v1, v[78:79]
	s_waitcnt lgkmcnt(0)
	; wave barrier
	s_and_saveexec_b64 s[4:5], vcc
	s_cbranch_execz .LBB36_370
; %bb.365:
	s_and_b64 vcc, exec, s[0:1]
	s_cbranch_vccnz .LBB36_367
; %bb.366:
	scratch_load_dwordx2 v[78:79], v11, off
	ds_read_b64 v[80:81], v1
	s_waitcnt vmcnt(0) lgkmcnt(0)
	v_mul_f64 v[78:79], v[78:79], v[80:81]
	s_cbranch_execz .LBB36_368
	s_branch .LBB36_369
.LBB36_367:
                                        ; implicit-def: $vgpr78_vgpr79
.LBB36_368:
	ds_read_b64 v[78:79], v1
.LBB36_369:
	scratch_load_dwordx2 v[84:85], off, off offset:8
	v_mov_b32_e32 v80, 0
	ds_read2_b64 v[80:83], v80 offset0:2 offset1:39
	s_waitcnt vmcnt(0) lgkmcnt(0)
	v_fma_f64 v[82:83], v[84:85], v[82:83], v[78:79]
	v_cndmask_b32_e64 v79, v79, v83, s[2:3]
	v_cndmask_b32_e64 v78, v78, v82, s[2:3]
	v_mul_f64 v[78:79], v[78:79], v[80:81]
	scratch_store_dwordx2 off, v[78:79], off offset:16
.LBB36_370:
	s_or_b64 exec, exec, s[4:5]
	scratch_load_dwordx2 v[78:79], off, off offset:24
	v_cmp_gt_u32_e32 vcc, 3, v0
	s_waitcnt vmcnt(0)
	ds_write_b64 v1, v[78:79]
	s_waitcnt lgkmcnt(0)
	; wave barrier
	s_and_saveexec_b64 s[4:5], vcc
	s_cbranch_execz .LBB36_378
; %bb.371:
	s_and_b64 vcc, exec, s[0:1]
	s_cbranch_vccnz .LBB36_373
; %bb.372:
	scratch_load_dwordx2 v[78:79], v11, off
	ds_read_b64 v[80:81], v1
	s_waitcnt vmcnt(0) lgkmcnt(0)
	v_mul_f64 v[78:79], v[78:79], v[80:81]
	s_cbranch_execz .LBB36_374
	s_branch .LBB36_375
.LBB36_373:
                                        ; implicit-def: $vgpr78_vgpr79
.LBB36_374:
	ds_read_b64 v[78:79], v1
.LBB36_375:
	v_cmp_ne_u32_e32 vcc, 2, v0
	s_and_saveexec_b64 s[6:7], vcc
	s_cbranch_execz .LBB36_377
; %bb.376:
	scratch_load_dwordx2 v[80:81], v11, off offset:8
	scratch_load_dwordx2 v[82:83], off, off offset:16
	ds_read_b64 v[84:85], v1 offset:8
	v_mov_b32_e32 v86, 0
	ds_read_b64 v[86:87], v86 offset:320
	s_waitcnt vmcnt(1) lgkmcnt(1)
	v_fmac_f64_e32 v[78:79], v[80:81], v[84:85]
	s_waitcnt vmcnt(0) lgkmcnt(0)
	v_fma_f64 v[80:81], v[82:83], v[86:87], v[78:79]
	v_cndmask_b32_e64 v79, v79, v81, s[2:3]
	v_cndmask_b32_e64 v78, v78, v80, s[2:3]
.LBB36_377:
	s_or_b64 exec, exec, s[6:7]
	v_mov_b32_e32 v80, 0
	ds_read_b64 v[80:81], v80 offset:24
	s_waitcnt lgkmcnt(0)
	v_mul_f64 v[78:79], v[78:79], v[80:81]
	scratch_store_dwordx2 off, v[78:79], off offset:24
.LBB36_378:
	s_or_b64 exec, exec, s[4:5]
	scratch_load_dwordx2 v[78:79], off, off offset:32
	v_cmp_gt_u32_e32 vcc, 4, v0
	s_waitcnt vmcnt(0)
	ds_write_b64 v1, v[78:79]
	s_waitcnt lgkmcnt(0)
	; wave barrier
	s_and_saveexec_b64 s[2:3], vcc
	s_cbranch_execz .LBB36_388
; %bb.379:
	s_and_b64 vcc, exec, s[0:1]
	s_cbranch_vccnz .LBB36_381
; %bb.380:
	scratch_load_dwordx2 v[78:79], v11, off
	ds_read_b64 v[80:81], v1
	s_waitcnt vmcnt(0) lgkmcnt(0)
	v_mul_f64 v[78:79], v[78:79], v[80:81]
	s_cbranch_execz .LBB36_382
	s_branch .LBB36_383
.LBB36_381:
                                        ; implicit-def: $vgpr78_vgpr79
.LBB36_382:
	ds_read_b64 v[78:79], v1
.LBB36_383:
	v_cmp_ne_u32_e32 vcc, 3, v0
	s_and_saveexec_b64 s[4:5], vcc
	s_cbranch_execz .LBB36_387
; %bb.384:
	s_mov_b32 s6, 0
	v_add_u32_e32 v80, 0x138, v10
	v_add3_u32 v81, v10, s6, 8
	s_mov_b64 s[6:7], 0
	v_mov_b32_e32 v82, v0
.LBB36_385:                             ; =>This Inner Loop Header: Depth=1
	scratch_load_dwordx2 v[84:85], v81, off
	ds_read_b64 v[86:87], v80
	v_add_u32_e32 v82, 1, v82
	v_cmp_lt_u32_e32 vcc, 2, v82
	v_add_u32_e32 v80, 8, v80
	v_add_u32_e32 v81, 8, v81
	s_or_b64 s[6:7], vcc, s[6:7]
	s_waitcnt vmcnt(0) lgkmcnt(0)
	v_fmac_f64_e32 v[78:79], v[84:85], v[86:87]
	s_andn2_b64 exec, exec, s[6:7]
	s_cbranch_execnz .LBB36_385
; %bb.386:
	s_or_b64 exec, exec, s[6:7]
.LBB36_387:
	s_or_b64 exec, exec, s[4:5]
	v_mov_b32_e32 v80, 0
	ds_read_b64 v[80:81], v80 offset:32
	s_waitcnt lgkmcnt(0)
	v_mul_f64 v[78:79], v[78:79], v[80:81]
	scratch_store_dwordx2 off, v[78:79], off offset:32
.LBB36_388:
	s_or_b64 exec, exec, s[2:3]
	scratch_load_dwordx2 v[78:79], off, off offset:40
	v_cmp_gt_u32_e32 vcc, 5, v0
	s_waitcnt vmcnt(0)
	ds_write_b64 v1, v[78:79]
	s_waitcnt lgkmcnt(0)
	; wave barrier
	s_and_saveexec_b64 s[2:3], vcc
	s_cbranch_execz .LBB36_398
; %bb.389:
	s_and_b64 vcc, exec, s[0:1]
	s_cbranch_vccnz .LBB36_391
; %bb.390:
	scratch_load_dwordx2 v[78:79], v11, off
	ds_read_b64 v[80:81], v1
	s_waitcnt vmcnt(0) lgkmcnt(0)
	v_mul_f64 v[78:79], v[78:79], v[80:81]
	s_cbranch_execz .LBB36_392
	s_branch .LBB36_393
.LBB36_391:
                                        ; implicit-def: $vgpr78_vgpr79
.LBB36_392:
	ds_read_b64 v[78:79], v1
.LBB36_393:
	v_cmp_ne_u32_e32 vcc, 4, v0
	s_and_saveexec_b64 s[4:5], vcc
	s_cbranch_execz .LBB36_397
; %bb.394:
	s_mov_b32 s6, 0
	v_add_u32_e32 v80, 0x138, v10
	v_add3_u32 v81, v10, s6, 8
	s_mov_b64 s[6:7], 0
	v_mov_b32_e32 v82, v0
.LBB36_395:                             ; =>This Inner Loop Header: Depth=1
	scratch_load_dwordx2 v[84:85], v81, off
	ds_read_b64 v[86:87], v80
	v_add_u32_e32 v82, 1, v82
	v_cmp_lt_u32_e32 vcc, 3, v82
	v_add_u32_e32 v80, 8, v80
	v_add_u32_e32 v81, 8, v81
	s_or_b64 s[6:7], vcc, s[6:7]
	s_waitcnt vmcnt(0) lgkmcnt(0)
	v_fmac_f64_e32 v[78:79], v[84:85], v[86:87]
	s_andn2_b64 exec, exec, s[6:7]
	s_cbranch_execnz .LBB36_395
; %bb.396:
	s_or_b64 exec, exec, s[6:7]
.LBB36_397:
	s_or_b64 exec, exec, s[4:5]
	v_mov_b32_e32 v80, 0
	ds_read_b64 v[80:81], v80 offset:40
	s_waitcnt lgkmcnt(0)
	v_mul_f64 v[78:79], v[78:79], v[80:81]
	scratch_store_dwordx2 off, v[78:79], off offset:40
.LBB36_398:
	;; [unrolled: 55-line block ×31, first 2 shown]
	s_or_b64 exec, exec, s[2:3]
	scratch_load_dwordx2 v[78:79], off, off offset:280
	v_cmp_gt_u32_e64 s[2:3], 35, v0
	s_waitcnt vmcnt(0)
	ds_write_b64 v1, v[78:79]
	s_waitcnt lgkmcnt(0)
	; wave barrier
	s_and_saveexec_b64 s[4:5], s[2:3]
	s_cbranch_execz .LBB36_698
; %bb.689:
	s_and_b64 vcc, exec, s[0:1]
	s_cbranch_vccnz .LBB36_691
; %bb.690:
	scratch_load_dwordx2 v[78:79], v11, off
	ds_read_b64 v[80:81], v1
	s_waitcnt vmcnt(0) lgkmcnt(0)
	v_mul_f64 v[78:79], v[78:79], v[80:81]
	s_cbranch_execz .LBB36_692
	s_branch .LBB36_693
.LBB36_691:
                                        ; implicit-def: $vgpr78_vgpr79
.LBB36_692:
	ds_read_b64 v[78:79], v1
.LBB36_693:
	v_cmp_ne_u32_e32 vcc, 34, v0
	s_and_saveexec_b64 s[6:7], vcc
	s_cbranch_execz .LBB36_697
; %bb.694:
	s_mov_b32 s8, 0
	v_add_u32_e32 v80, 0x138, v10
	v_add3_u32 v81, v10, s8, 8
	s_mov_b64 s[8:9], 0
	v_mov_b32_e32 v82, v0
.LBB36_695:                             ; =>This Inner Loop Header: Depth=1
	scratch_load_dwordx2 v[84:85], v81, off
	ds_read_b64 v[86:87], v80
	v_add_u32_e32 v82, 1, v82
	v_cmp_lt_u32_e32 vcc, 33, v82
	v_add_u32_e32 v80, 8, v80
	v_add_u32_e32 v81, 8, v81
	s_or_b64 s[8:9], vcc, s[8:9]
	s_waitcnt vmcnt(0) lgkmcnt(0)
	v_fmac_f64_e32 v[78:79], v[84:85], v[86:87]
	s_andn2_b64 exec, exec, s[8:9]
	s_cbranch_execnz .LBB36_695
; %bb.696:
	s_or_b64 exec, exec, s[8:9]
.LBB36_697:
	s_or_b64 exec, exec, s[6:7]
	v_mov_b32_e32 v80, 0
	ds_read_b64 v[80:81], v80 offset:280
	s_waitcnt lgkmcnt(0)
	v_mul_f64 v[78:79], v[78:79], v[80:81]
	scratch_store_dwordx2 off, v[78:79], off offset:280
.LBB36_698:
	s_or_b64 exec, exec, s[4:5]
	scratch_load_dwordx2 v[78:79], off, off offset:288
	v_cmp_ne_u32_e32 vcc, 36, v0
	s_waitcnt vmcnt(0)
	ds_write_b64 v1, v[78:79]
	s_waitcnt lgkmcnt(0)
	; wave barrier
	s_and_saveexec_b64 s[4:5], vcc
	s_cbranch_execz .LBB36_708
; %bb.699:
	s_and_b64 vcc, exec, s[0:1]
	s_cbranch_vccnz .LBB36_701
; %bb.700:
	scratch_load_dwordx2 v[78:79], v11, off
	ds_read_b64 v[80:81], v1
	s_waitcnt vmcnt(0) lgkmcnt(0)
	v_mul_f64 v[78:79], v[78:79], v[80:81]
	s_cbranch_execz .LBB36_702
	s_branch .LBB36_703
.LBB36_701:
                                        ; implicit-def: $vgpr78_vgpr79
.LBB36_702:
	ds_read_b64 v[78:79], v1
.LBB36_703:
	s_and_saveexec_b64 s[0:1], s[2:3]
	s_cbranch_execz .LBB36_707
; %bb.704:
	s_mov_b32 s2, 0
	v_add_u32_e32 v1, 0x138, v10
	v_add3_u32 v10, v10, s2, 8
	s_mov_b64 s[2:3], 0
.LBB36_705:                             ; =>This Inner Loop Header: Depth=1
	scratch_load_dwordx2 v[80:81], v10, off
	ds_read_b64 v[82:83], v1
	v_add_u32_e32 v0, 1, v0
	v_cmp_lt_u32_e32 vcc, 34, v0
	v_add_u32_e32 v1, 8, v1
	v_add_u32_e32 v10, 8, v10
	s_or_b64 s[2:3], vcc, s[2:3]
	s_waitcnt vmcnt(0) lgkmcnt(0)
	v_fmac_f64_e32 v[78:79], v[80:81], v[82:83]
	s_andn2_b64 exec, exec, s[2:3]
	s_cbranch_execnz .LBB36_705
; %bb.706:
	s_or_b64 exec, exec, s[2:3]
.LBB36_707:
	s_or_b64 exec, exec, s[0:1]
	v_mov_b32_e32 v0, 0
	ds_read_b64 v[0:1], v0 offset:288
	s_waitcnt lgkmcnt(0)
	v_mul_f64 v[0:1], v[78:79], v[0:1]
	scratch_store_dwordx2 off, v[0:1], off offset:288
.LBB36_708:
	s_or_b64 exec, exec, s[4:5]
.LBB36_709:
	scratch_load_dwordx4 v[78:81], off, off
	s_waitcnt vmcnt(0)
	global_store_dwordx2 v[2:3], v[78:79], off
	global_store_dwordx2 v[4:5], v[80:81], off
	scratch_load_dwordx4 v[0:3], off, off offset:16
	s_waitcnt vmcnt(0)
	global_store_dwordx2 v[6:7], v[0:1], off
	global_store_dwordx2 v[8:9], v[2:3], off
	scratch_load_dwordx4 v[0:3], off, off offset:32
	;; [unrolled: 4-line block ×17, first 2 shown]
	s_waitcnt vmcnt(0)
	global_store_dwordx2 v[74:75], v[0:1], off
	global_store_dwordx2 v[76:77], v[2:3], off
	scratch_load_dwordx2 v[0:1], off, off offset:288
	s_waitcnt vmcnt(0)
	global_store_dwordx2 v[72:73], v[0:1], off
.LBB36_710:
	s_endpgm
	.section	.rodata,"a",@progbits
	.p2align	6, 0x0
	.amdhsa_kernel _ZN9rocsolver6v33100L18trti2_kernel_smallILi37EdPdEEv13rocblas_fill_17rocblas_diagonal_T1_iil
		.amdhsa_group_segment_fixed_size 600
		.amdhsa_private_segment_fixed_size 304
		.amdhsa_kernarg_size 32
		.amdhsa_user_sgpr_count 2
		.amdhsa_user_sgpr_dispatch_ptr 0
		.amdhsa_user_sgpr_queue_ptr 0
		.amdhsa_user_sgpr_kernarg_segment_ptr 1
		.amdhsa_user_sgpr_dispatch_id 0
		.amdhsa_user_sgpr_kernarg_preload_length 0
		.amdhsa_user_sgpr_kernarg_preload_offset 0
		.amdhsa_user_sgpr_private_segment_size 0
		.amdhsa_uses_dynamic_stack 0
		.amdhsa_enable_private_segment 1
		.amdhsa_system_sgpr_workgroup_id_x 1
		.amdhsa_system_sgpr_workgroup_id_y 0
		.amdhsa_system_sgpr_workgroup_id_z 0
		.amdhsa_system_sgpr_workgroup_info 0
		.amdhsa_system_vgpr_workitem_id 0
		.amdhsa_next_free_vgpr 88
		.amdhsa_next_free_sgpr 28
		.amdhsa_accum_offset 88
		.amdhsa_reserve_vcc 1
		.amdhsa_float_round_mode_32 0
		.amdhsa_float_round_mode_16_64 0
		.amdhsa_float_denorm_mode_32 3
		.amdhsa_float_denorm_mode_16_64 3
		.amdhsa_dx10_clamp 1
		.amdhsa_ieee_mode 1
		.amdhsa_fp16_overflow 0
		.amdhsa_tg_split 0
		.amdhsa_exception_fp_ieee_invalid_op 0
		.amdhsa_exception_fp_denorm_src 0
		.amdhsa_exception_fp_ieee_div_zero 0
		.amdhsa_exception_fp_ieee_overflow 0
		.amdhsa_exception_fp_ieee_underflow 0
		.amdhsa_exception_fp_ieee_inexact 0
		.amdhsa_exception_int_div_zero 0
	.end_amdhsa_kernel
	.section	.text._ZN9rocsolver6v33100L18trti2_kernel_smallILi37EdPdEEv13rocblas_fill_17rocblas_diagonal_T1_iil,"axG",@progbits,_ZN9rocsolver6v33100L18trti2_kernel_smallILi37EdPdEEv13rocblas_fill_17rocblas_diagonal_T1_iil,comdat
.Lfunc_end36:
	.size	_ZN9rocsolver6v33100L18trti2_kernel_smallILi37EdPdEEv13rocblas_fill_17rocblas_diagonal_T1_iil, .Lfunc_end36-_ZN9rocsolver6v33100L18trti2_kernel_smallILi37EdPdEEv13rocblas_fill_17rocblas_diagonal_T1_iil
                                        ; -- End function
	.set _ZN9rocsolver6v33100L18trti2_kernel_smallILi37EdPdEEv13rocblas_fill_17rocblas_diagonal_T1_iil.num_vgpr, 88
	.set _ZN9rocsolver6v33100L18trti2_kernel_smallILi37EdPdEEv13rocblas_fill_17rocblas_diagonal_T1_iil.num_agpr, 0
	.set _ZN9rocsolver6v33100L18trti2_kernel_smallILi37EdPdEEv13rocblas_fill_17rocblas_diagonal_T1_iil.numbered_sgpr, 28
	.set _ZN9rocsolver6v33100L18trti2_kernel_smallILi37EdPdEEv13rocblas_fill_17rocblas_diagonal_T1_iil.num_named_barrier, 0
	.set _ZN9rocsolver6v33100L18trti2_kernel_smallILi37EdPdEEv13rocblas_fill_17rocblas_diagonal_T1_iil.private_seg_size, 304
	.set _ZN9rocsolver6v33100L18trti2_kernel_smallILi37EdPdEEv13rocblas_fill_17rocblas_diagonal_T1_iil.uses_vcc, 1
	.set _ZN9rocsolver6v33100L18trti2_kernel_smallILi37EdPdEEv13rocblas_fill_17rocblas_diagonal_T1_iil.uses_flat_scratch, 0
	.set _ZN9rocsolver6v33100L18trti2_kernel_smallILi37EdPdEEv13rocblas_fill_17rocblas_diagonal_T1_iil.has_dyn_sized_stack, 0
	.set _ZN9rocsolver6v33100L18trti2_kernel_smallILi37EdPdEEv13rocblas_fill_17rocblas_diagonal_T1_iil.has_recursion, 0
	.set _ZN9rocsolver6v33100L18trti2_kernel_smallILi37EdPdEEv13rocblas_fill_17rocblas_diagonal_T1_iil.has_indirect_call, 0
	.section	.AMDGPU.csdata,"",@progbits
; Kernel info:
; codeLenInByte = 17504
; TotalNumSgprs: 34
; NumVgprs: 88
; NumAgprs: 0
; TotalNumVgprs: 88
; ScratchSize: 304
; MemoryBound: 0
; FloatMode: 240
; IeeeMode: 1
; LDSByteSize: 600 bytes/workgroup (compile time only)
; SGPRBlocks: 4
; VGPRBlocks: 10
; NumSGPRsForWavesPerEU: 34
; NumVGPRsForWavesPerEU: 88
; AccumOffset: 88
; Occupancy: 5
; WaveLimiterHint : 0
; COMPUTE_PGM_RSRC2:SCRATCH_EN: 1
; COMPUTE_PGM_RSRC2:USER_SGPR: 2
; COMPUTE_PGM_RSRC2:TRAP_HANDLER: 0
; COMPUTE_PGM_RSRC2:TGID_X_EN: 1
; COMPUTE_PGM_RSRC2:TGID_Y_EN: 0
; COMPUTE_PGM_RSRC2:TGID_Z_EN: 0
; COMPUTE_PGM_RSRC2:TIDIG_COMP_CNT: 0
; COMPUTE_PGM_RSRC3_GFX90A:ACCUM_OFFSET: 21
; COMPUTE_PGM_RSRC3_GFX90A:TG_SPLIT: 0
	.section	.text._ZN9rocsolver6v33100L18trti2_kernel_smallILi38EdPdEEv13rocblas_fill_17rocblas_diagonal_T1_iil,"axG",@progbits,_ZN9rocsolver6v33100L18trti2_kernel_smallILi38EdPdEEv13rocblas_fill_17rocblas_diagonal_T1_iil,comdat
	.globl	_ZN9rocsolver6v33100L18trti2_kernel_smallILi38EdPdEEv13rocblas_fill_17rocblas_diagonal_T1_iil ; -- Begin function _ZN9rocsolver6v33100L18trti2_kernel_smallILi38EdPdEEv13rocblas_fill_17rocblas_diagonal_T1_iil
	.p2align	8
	.type	_ZN9rocsolver6v33100L18trti2_kernel_smallILi38EdPdEEv13rocblas_fill_17rocblas_diagonal_T1_iil,@function
_ZN9rocsolver6v33100L18trti2_kernel_smallILi38EdPdEEv13rocblas_fill_17rocblas_diagonal_T1_iil: ; @_ZN9rocsolver6v33100L18trti2_kernel_smallILi38EdPdEEv13rocblas_fill_17rocblas_diagonal_T1_iil
; %bb.0:
	v_cmp_gt_u32_e32 vcc, 38, v0
	s_and_saveexec_b64 s[4:5], vcc
	s_cbranch_execz .LBB37_730
; %bb.1:
	s_load_dwordx8 s[4:11], s[0:1], 0x0
	s_ashr_i32 s3, s2, 31
	v_lshlrev_b32_e32 v16, 3, v0
	v_mov_b32_e32 v17, 0
	s_waitcnt lgkmcnt(0)
	s_ashr_i32 s1, s8, 31
	s_mov_b32 s0, s8
	s_mul_hi_u32 s8, s10, s2
	s_mul_i32 s3, s10, s3
	s_add_i32 s3, s8, s3
	s_mul_i32 s8, s11, s2
	s_add_i32 s3, s3, s8
	s_mul_i32 s2, s10, s2
	s_lshl_b64 s[2:3], s[2:3], 3
	s_add_u32 s2, s6, s2
	s_addc_u32 s3, s7, s3
	s_lshl_b64 s[0:1], s[0:1], 3
	s_add_u32 s0, s2, s0
	s_addc_u32 s1, s3, s1
	v_lshl_add_u64 v[2:3], s[0:1], 0, v[16:17]
	s_ashr_i32 s3, s9, 31
	s_mov_b32 s2, s9
	v_lshl_add_u64 v[4:5], s[2:3], 3, v[2:3]
	global_load_dwordx2 v[6:7], v16, s[0:1]
	global_load_dwordx2 v[8:9], v[4:5], off
	s_add_i32 s2, s9, s9
	s_cmpk_lg_i32 s5, 0x84
	s_cselect_b64 s[6:7], -1, 0
	s_cmpk_eq_i32 s5, 0x84
	s_waitcnt vmcnt(0)
	scratch_store_dwordx4 off, v[6:9], off
	s_nop 1
	v_add_u32_e32 v8, s2, v0
	v_add_u32_e32 v10, s9, v8
	v_ashrrev_i32_e32 v9, 31, v8
	v_ashrrev_i32_e32 v11, 31, v10
	v_lshl_add_u64 v[6:7], v[8:9], 3, s[0:1]
	v_lshl_add_u64 v[8:9], v[10:11], 3, s[0:1]
	global_load_dwordx2 v[12:13], v[6:7], off
	global_load_dwordx2 v[14:15], v[8:9], off
	s_waitcnt vmcnt(0)
	scratch_store_dwordx4 off, v[12:15], off offset:16
	s_nop 1
	v_add_u32_e32 v12, s9, v10
	v_add_u32_e32 v14, s9, v12
	v_ashrrev_i32_e32 v13, 31, v12
	v_ashrrev_i32_e32 v15, 31, v14
	v_lshl_add_u64 v[10:11], v[12:13], 3, s[0:1]
	v_lshl_add_u64 v[12:13], v[14:15], 3, s[0:1]
	global_load_dwordx2 v[18:19], v[10:11], off
	global_load_dwordx2 v[20:21], v[12:13], off
	s_waitcnt vmcnt(0)
	scratch_store_dwordx4 off, v[18:21], off offset:32
	;; [unrolled: 11-line block ×14, first 2 shown]
	s_nop 1
	v_add_u32_e32 v66, s9, v64
	v_ashrrev_i32_e32 v67, 31, v66
	v_lshl_add_u64 v[64:65], v[66:67], 3, s[0:1]
	v_add_u32_e32 v66, s9, v66
	v_ashrrev_i32_e32 v67, 31, v66
	v_lshl_add_u64 v[68:69], v[66:67], 3, s[0:1]
	global_load_dwordx2 v[70:71], v[64:65], off
	global_load_dwordx2 v[72:73], v[68:69], off
	v_add_u32_e32 v66, s9, v66
	v_ashrrev_i32_e32 v67, 31, v66
	s_waitcnt vmcnt(0)
	scratch_store_dwordx4 off, v[70:73], off offset:240
	s_nop 1
	v_lshl_add_u64 v[72:73], v[66:67], 3, s[0:1]
	v_add_u32_e32 v66, s9, v66
	v_ashrrev_i32_e32 v67, 31, v66
	v_lshl_add_u64 v[74:75], v[66:67], 3, s[0:1]
	global_load_dwordx2 v[76:77], v[72:73], off
	global_load_dwordx2 v[78:79], v[74:75], off
	v_add_u32_e32 v66, s9, v66
	v_ashrrev_i32_e32 v67, 31, v66
	s_waitcnt vmcnt(0)
	scratch_store_dwordx4 off, v[76:79], off offset:256
	s_nop 1
	v_lshl_add_u64 v[76:77], v[66:67], 3, s[0:1]
	v_add_u32_e32 v66, s9, v66
	v_ashrrev_i32_e32 v67, 31, v66
	v_lshl_add_u64 v[78:79], v[66:67], 3, s[0:1]
	global_load_dwordx2 v[80:81], v[76:77], off
	global_load_dwordx2 v[82:83], v[78:79], off
	v_add_u32_e32 v70, s9, v66
	v_ashrrev_i32_e32 v71, 31, v70
	v_lshl_add_u64 v[66:67], v[70:71], 3, s[0:1]
	v_add_u32_e32 v70, s9, v70
	v_ashrrev_i32_e32 v71, 31, v70
	v_lshl_add_u64 v[70:71], v[70:71], 3, s[0:1]
	s_waitcnt vmcnt(0)
	scratch_store_dwordx4 off, v[80:83], off offset:272
	global_load_dwordx2 v[80:81], v[66:67], off
	s_nop 0
	global_load_dwordx2 v[82:83], v[70:71], off
	s_waitcnt vmcnt(0)
	scratch_store_dwordx4 off, v[80:83], off offset:288
	s_nop 1
	v_mov_b64_e32 v[80:81], -1.0
	s_cbranch_scc1 .LBB37_3
; %bb.2:
	scratch_load_dwordx2 v[80:81], v16, off
	s_waitcnt vmcnt(0)
	v_div_scale_f64 v[82:83], s[0:1], v[80:81], v[80:81], 1.0
	v_rcp_f64_e32 v[84:85], v[82:83]
	v_div_scale_f64 v[86:87], vcc, 1.0, v[80:81], 1.0
	v_fma_f64 v[88:89], -v[82:83], v[84:85], 1.0
	v_fmac_f64_e32 v[84:85], v[84:85], v[88:89]
	v_fma_f64 v[88:89], -v[82:83], v[84:85], 1.0
	v_fmac_f64_e32 v[84:85], v[84:85], v[88:89]
	v_mul_f64 v[88:89], v[86:87], v[84:85]
	v_fma_f64 v[82:83], -v[82:83], v[88:89], v[86:87]
	v_div_fmas_f64 v[82:83], v[82:83], v[84:85], v[88:89]
	v_div_fixup_f64 v[80:81], v[82:83], v[80:81], 1.0
	scratch_store_dwordx2 v16, v[80:81], off
	v_xor_b32_e32 v81, 0x80000000, v81
.LBB37_3:
	s_cmpk_eq_i32 s4, 0x79
	v_add_u32_e32 v1, 0x130, v16
	v_mov_b32_e32 v17, v16
	s_mov_b64 s[0:1], -1
	ds_write_b64 v16, v[80:81]
	s_cbranch_scc1 .LBB37_367
; %bb.4:
	scratch_load_dwordx2 v[80:81], off, off offset:288
	s_movk_i32 s8, 0x50
	s_movk_i32 s9, 0x60
	;; [unrolled: 1-line block ×13, first 2 shown]
	v_cmp_eq_u32_e64 s[0:1], 37, v0
	s_waitcnt vmcnt(0)
	ds_write_b64 v1, v[80:81]
	s_waitcnt lgkmcnt(0)
	; wave barrier
	s_and_saveexec_b64 s[2:3], s[0:1]
	s_cbranch_execz .LBB37_10
; %bb.5:
	s_and_b64 vcc, exec, s[6:7]
	s_cbranch_vccz .LBB37_7
; %bb.6:
	scratch_load_dwordx2 v[80:81], v17, off
	ds_read_b64 v[82:83], v1
	s_waitcnt vmcnt(0) lgkmcnt(0)
	v_mul_f64 v[80:81], v[80:81], v[82:83]
	s_cbranch_execz .LBB37_8
	s_branch .LBB37_9
.LBB37_7:
                                        ; implicit-def: $vgpr80_vgpr81
.LBB37_8:
	ds_read_b64 v[80:81], v1
.LBB37_9:
	v_mov_b32_e32 v82, 0
	ds_read_b64 v[82:83], v82 offset:288
	s_waitcnt lgkmcnt(0)
	v_mul_f64 v[80:81], v[80:81], v[82:83]
	scratch_store_dwordx2 off, v[80:81], off offset:288
.LBB37_10:
	s_or_b64 exec, exec, s[2:3]
	scratch_load_dwordx2 v[80:81], off, off offset:280
	s_mov_b32 s10, 16
	s_mov_b32 s11, 32
	;; [unrolled: 1-line block ×6, first 2 shown]
	v_cmp_lt_u32_e64 s[2:3], 35, v0
	s_waitcnt vmcnt(0)
	ds_write_b64 v1, v[80:81]
	s_waitcnt lgkmcnt(0)
	; wave barrier
	s_and_saveexec_b64 s[4:5], s[2:3]
	s_cbranch_execz .LBB37_16
; %bb.11:
	s_andn2_b64 vcc, exec, s[6:7]
	s_cbranch_vccnz .LBB37_13
; %bb.12:
	scratch_load_dwordx2 v[80:81], v17, off
	ds_read_b64 v[82:83], v1
	s_waitcnt vmcnt(0) lgkmcnt(0)
	v_mul_f64 v[80:81], v[80:81], v[82:83]
	s_cbranch_execz .LBB37_14
	s_branch .LBB37_15
.LBB37_13:
                                        ; implicit-def: $vgpr80_vgpr81
.LBB37_14:
	ds_read_b64 v[80:81], v1
.LBB37_15:
	scratch_load_dwordx2 v[86:87], off, off offset:288
	v_mov_b32_e32 v82, 0
	ds_read2_b64 v[82:85], v82 offset0:35 offset1:74
	s_waitcnt vmcnt(0) lgkmcnt(0)
	v_fma_f64 v[84:85], v[86:87], v[84:85], v[80:81]
	v_cndmask_b32_e64 v81, v81, v85, s[0:1]
	v_cndmask_b32_e64 v80, v80, v84, s[0:1]
	v_mul_f64 v[80:81], v[80:81], v[82:83]
	scratch_store_dwordx2 off, v[80:81], off offset:280
.LBB37_16:
	s_or_b64 exec, exec, s[4:5]
	scratch_load_dwordx2 v[80:81], off, off offset:272
	v_cmp_lt_u32_e64 s[0:1], 34, v0
	s_waitcnt vmcnt(0)
	ds_write_b64 v1, v[80:81]
	s_waitcnt lgkmcnt(0)
	; wave barrier
	s_and_saveexec_b64 s[4:5], s[0:1]
	s_cbranch_execz .LBB37_26
; %bb.17:
	s_andn2_b64 vcc, exec, s[6:7]
	s_cbranch_vccnz .LBB37_19
; %bb.18:
	scratch_load_dwordx2 v[80:81], v17, off
	ds_read_b64 v[82:83], v1
	s_waitcnt vmcnt(0) lgkmcnt(0)
	v_mul_f64 v[80:81], v[80:81], v[82:83]
	s_cbranch_execz .LBB37_20
	s_branch .LBB37_21
.LBB37_19:
                                        ; implicit-def: $vgpr80_vgpr81
.LBB37_20:
	ds_read_b64 v[80:81], v1
.LBB37_21:
	s_and_saveexec_b64 s[8:9], s[2:3]
	s_cbranch_execz .LBB37_25
; %bb.22:
	s_movk_i32 s27, 0x118
	v_subrev_u32_e32 v82, 35, v0
	s_movk_i32 s28, 0x248
	s_mov_b64 s[2:3], 0
.LBB37_23:                              ; =>This Inner Loop Header: Depth=1
	scratch_load_dwordx2 v[84:85], off, s27
	v_mov_b32_e32 v83, s28
	ds_read_b64 v[86:87], v83
	v_add_u32_e32 v82, -1, v82
	s_add_i32 s28, s28, 8
	s_add_i32 s27, s27, 8
	v_cmp_eq_u32_e32 vcc, 0, v82
	s_or_b64 s[2:3], vcc, s[2:3]
	s_waitcnt vmcnt(0) lgkmcnt(0)
	v_fmac_f64_e32 v[80:81], v[84:85], v[86:87]
	s_andn2_b64 exec, exec, s[2:3]
	s_cbranch_execnz .LBB37_23
; %bb.24:
	s_or_b64 exec, exec, s[2:3]
.LBB37_25:
	s_or_b64 exec, exec, s[8:9]
	v_mov_b32_e32 v82, 0
	ds_read_b64 v[82:83], v82 offset:272
	s_waitcnt lgkmcnt(0)
	v_mul_f64 v[80:81], v[80:81], v[82:83]
	scratch_store_dwordx2 off, v[80:81], off offset:272
.LBB37_26:
	s_or_b64 exec, exec, s[4:5]
	scratch_load_dwordx2 v[80:81], off, off offset:264
	v_cmp_lt_u32_e64 s[2:3], 33, v0
	s_waitcnt vmcnt(0)
	ds_write_b64 v1, v[80:81]
	s_waitcnt lgkmcnt(0)
	; wave barrier
	s_and_saveexec_b64 s[4:5], s[2:3]
	s_cbranch_execz .LBB37_36
; %bb.27:
	s_andn2_b64 vcc, exec, s[6:7]
	s_cbranch_vccnz .LBB37_29
; %bb.28:
	scratch_load_dwordx2 v[80:81], v17, off
	ds_read_b64 v[82:83], v1
	s_waitcnt vmcnt(0) lgkmcnt(0)
	v_mul_f64 v[80:81], v[80:81], v[82:83]
	s_cbranch_execz .LBB37_30
	s_branch .LBB37_31
.LBB37_29:
                                        ; implicit-def: $vgpr80_vgpr81
.LBB37_30:
	ds_read_b64 v[80:81], v1
.LBB37_31:
	s_and_saveexec_b64 s[8:9], s[0:1]
	s_cbranch_execz .LBB37_35
; %bb.32:
	v_subrev_u32_e32 v82, 34, v0
	s_movk_i32 s27, 0x240
	s_mov_b64 s[0:1], 0
.LBB37_33:                              ; =>This Inner Loop Header: Depth=1
	scratch_load_dwordx2 v[84:85], off, s26
	v_mov_b32_e32 v83, s27
	ds_read_b64 v[86:87], v83
	v_add_u32_e32 v82, -1, v82
	s_add_i32 s27, s27, 8
	s_add_i32 s26, s26, 8
	v_cmp_eq_u32_e32 vcc, 0, v82
	s_or_b64 s[0:1], vcc, s[0:1]
	s_waitcnt vmcnt(0) lgkmcnt(0)
	v_fmac_f64_e32 v[80:81], v[84:85], v[86:87]
	s_andn2_b64 exec, exec, s[0:1]
	s_cbranch_execnz .LBB37_33
; %bb.34:
	s_or_b64 exec, exec, s[0:1]
.LBB37_35:
	s_or_b64 exec, exec, s[8:9]
	v_mov_b32_e32 v82, 0
	ds_read_b64 v[82:83], v82 offset:264
	s_waitcnt lgkmcnt(0)
	v_mul_f64 v[80:81], v[80:81], v[82:83]
	scratch_store_dwordx2 off, v[80:81], off offset:264
.LBB37_36:
	s_or_b64 exec, exec, s[4:5]
	scratch_load_dwordx2 v[80:81], off, off offset:256
	v_cmp_lt_u32_e64 s[0:1], 32, v0
	s_waitcnt vmcnt(0)
	ds_write_b64 v1, v[80:81]
	s_waitcnt lgkmcnt(0)
	; wave barrier
	s_and_saveexec_b64 s[4:5], s[0:1]
	s_cbranch_execz .LBB37_46
; %bb.37:
	s_andn2_b64 vcc, exec, s[6:7]
	s_cbranch_vccnz .LBB37_39
; %bb.38:
	scratch_load_dwordx2 v[80:81], v17, off
	ds_read_b64 v[82:83], v1
	s_waitcnt vmcnt(0) lgkmcnt(0)
	v_mul_f64 v[80:81], v[80:81], v[82:83]
	s_cbranch_execz .LBB37_40
	s_branch .LBB37_41
.LBB37_39:
                                        ; implicit-def: $vgpr80_vgpr81
.LBB37_40:
	ds_read_b64 v[80:81], v1
.LBB37_41:
	s_and_saveexec_b64 s[8:9], s[2:3]
	s_cbranch_execz .LBB37_45
; %bb.42:
	s_movk_i32 s26, 0x108
	v_subrev_u32_e32 v82, 33, v0
	s_movk_i32 s27, 0x238
	s_mov_b64 s[2:3], 0
.LBB37_43:                              ; =>This Inner Loop Header: Depth=1
	scratch_load_dwordx2 v[84:85], off, s26
	v_mov_b32_e32 v83, s27
	ds_read_b64 v[86:87], v83
	v_add_u32_e32 v82, -1, v82
	s_add_i32 s27, s27, 8
	s_add_i32 s26, s26, 8
	v_cmp_eq_u32_e32 vcc, 0, v82
	s_or_b64 s[2:3], vcc, s[2:3]
	s_waitcnt vmcnt(0) lgkmcnt(0)
	v_fmac_f64_e32 v[80:81], v[84:85], v[86:87]
	s_andn2_b64 exec, exec, s[2:3]
	s_cbranch_execnz .LBB37_43
; %bb.44:
	s_or_b64 exec, exec, s[2:3]
.LBB37_45:
	s_or_b64 exec, exec, s[8:9]
	v_mov_b32_e32 v82, 0
	ds_read_b64 v[82:83], v82 offset:256
	s_waitcnt lgkmcnt(0)
	v_mul_f64 v[80:81], v[80:81], v[82:83]
	scratch_store_dwordx2 off, v[80:81], off offset:256
.LBB37_46:
	s_or_b64 exec, exec, s[4:5]
	scratch_load_dwordx2 v[80:81], off, off offset:248
	v_cmp_lt_u32_e64 s[2:3], 31, v0
	s_waitcnt vmcnt(0)
	ds_write_b64 v1, v[80:81]
	s_waitcnt lgkmcnt(0)
	; wave barrier
	s_and_saveexec_b64 s[4:5], s[2:3]
	s_cbranch_execz .LBB37_56
; %bb.47:
	s_andn2_b64 vcc, exec, s[6:7]
	s_cbranch_vccnz .LBB37_49
; %bb.48:
	scratch_load_dwordx2 v[80:81], v17, off
	ds_read_b64 v[82:83], v1
	s_waitcnt vmcnt(0) lgkmcnt(0)
	v_mul_f64 v[80:81], v[80:81], v[82:83]
	s_cbranch_execz .LBB37_50
	s_branch .LBB37_51
.LBB37_49:
                                        ; implicit-def: $vgpr80_vgpr81
.LBB37_50:
	ds_read_b64 v[80:81], v1
.LBB37_51:
	s_and_saveexec_b64 s[8:9], s[0:1]
	s_cbranch_execz .LBB37_55
; %bb.52:
	v_subrev_u32_e32 v82, 32, v0
	s_movk_i32 s26, 0x230
	s_mov_b64 s[0:1], 0
.LBB37_53:                              ; =>This Inner Loop Header: Depth=1
	scratch_load_dwordx2 v[84:85], off, s25
	v_mov_b32_e32 v83, s26
	ds_read_b64 v[86:87], v83
	v_add_u32_e32 v82, -1, v82
	s_add_i32 s26, s26, 8
	s_add_i32 s25, s25, 8
	v_cmp_eq_u32_e32 vcc, 0, v82
	s_or_b64 s[0:1], vcc, s[0:1]
	s_waitcnt vmcnt(0) lgkmcnt(0)
	v_fmac_f64_e32 v[80:81], v[84:85], v[86:87]
	s_andn2_b64 exec, exec, s[0:1]
	s_cbranch_execnz .LBB37_53
; %bb.54:
	s_or_b64 exec, exec, s[0:1]
.LBB37_55:
	s_or_b64 exec, exec, s[8:9]
	v_mov_b32_e32 v82, 0
	ds_read_b64 v[82:83], v82 offset:248
	s_waitcnt lgkmcnt(0)
	v_mul_f64 v[80:81], v[80:81], v[82:83]
	scratch_store_dwordx2 off, v[80:81], off offset:248
.LBB37_56:
	s_or_b64 exec, exec, s[4:5]
	scratch_load_dwordx2 v[80:81], off, off offset:240
	v_cmp_lt_u32_e64 s[0:1], 30, v0
	s_waitcnt vmcnt(0)
	ds_write_b64 v1, v[80:81]
	s_waitcnt lgkmcnt(0)
	; wave barrier
	s_and_saveexec_b64 s[4:5], s[0:1]
	s_cbranch_execz .LBB37_66
; %bb.57:
	s_andn2_b64 vcc, exec, s[6:7]
	s_cbranch_vccnz .LBB37_59
; %bb.58:
	scratch_load_dwordx2 v[80:81], v17, off
	ds_read_b64 v[82:83], v1
	s_waitcnt vmcnt(0) lgkmcnt(0)
	v_mul_f64 v[80:81], v[80:81], v[82:83]
	s_cbranch_execz .LBB37_60
	s_branch .LBB37_61
.LBB37_59:
                                        ; implicit-def: $vgpr80_vgpr81
.LBB37_60:
	ds_read_b64 v[80:81], v1
.LBB37_61:
	s_and_saveexec_b64 s[8:9], s[2:3]
	s_cbranch_execz .LBB37_65
; %bb.62:
	s_movk_i32 s25, 0xf8
	v_subrev_u32_e32 v82, 31, v0
	s_movk_i32 s26, 0x228
	s_mov_b64 s[2:3], 0
.LBB37_63:                              ; =>This Inner Loop Header: Depth=1
	scratch_load_dwordx2 v[84:85], off, s25
	v_mov_b32_e32 v83, s26
	ds_read_b64 v[86:87], v83
	v_add_u32_e32 v82, -1, v82
	s_add_i32 s26, s26, 8
	s_add_i32 s25, s25, 8
	v_cmp_eq_u32_e32 vcc, 0, v82
	s_or_b64 s[2:3], vcc, s[2:3]
	s_waitcnt vmcnt(0) lgkmcnt(0)
	v_fmac_f64_e32 v[80:81], v[84:85], v[86:87]
	s_andn2_b64 exec, exec, s[2:3]
	s_cbranch_execnz .LBB37_63
; %bb.64:
	s_or_b64 exec, exec, s[2:3]
.LBB37_65:
	s_or_b64 exec, exec, s[8:9]
	v_mov_b32_e32 v82, 0
	ds_read_b64 v[82:83], v82 offset:240
	s_waitcnt lgkmcnt(0)
	v_mul_f64 v[80:81], v[80:81], v[82:83]
	scratch_store_dwordx2 off, v[80:81], off offset:240
.LBB37_66:
	s_or_b64 exec, exec, s[4:5]
	scratch_load_dwordx2 v[80:81], off, off offset:232
	v_cmp_lt_u32_e64 s[2:3], 29, v0
	s_waitcnt vmcnt(0)
	ds_write_b64 v1, v[80:81]
	s_waitcnt lgkmcnt(0)
	; wave barrier
	s_and_saveexec_b64 s[4:5], s[2:3]
	s_cbranch_execz .LBB37_76
; %bb.67:
	s_andn2_b64 vcc, exec, s[6:7]
	s_cbranch_vccnz .LBB37_69
; %bb.68:
	scratch_load_dwordx2 v[80:81], v17, off
	ds_read_b64 v[82:83], v1
	s_waitcnt vmcnt(0) lgkmcnt(0)
	v_mul_f64 v[80:81], v[80:81], v[82:83]
	s_cbranch_execz .LBB37_70
	s_branch .LBB37_71
.LBB37_69:
                                        ; implicit-def: $vgpr80_vgpr81
.LBB37_70:
	ds_read_b64 v[80:81], v1
.LBB37_71:
	s_and_saveexec_b64 s[8:9], s[0:1]
	s_cbranch_execz .LBB37_75
; %bb.72:
	v_subrev_u32_e32 v82, 30, v0
	s_movk_i32 s25, 0x220
	s_mov_b64 s[0:1], 0
.LBB37_73:                              ; =>This Inner Loop Header: Depth=1
	scratch_load_dwordx2 v[84:85], off, s24
	v_mov_b32_e32 v83, s25
	ds_read_b64 v[86:87], v83
	v_add_u32_e32 v82, -1, v82
	s_add_i32 s25, s25, 8
	s_add_i32 s24, s24, 8
	v_cmp_eq_u32_e32 vcc, 0, v82
	s_or_b64 s[0:1], vcc, s[0:1]
	s_waitcnt vmcnt(0) lgkmcnt(0)
	v_fmac_f64_e32 v[80:81], v[84:85], v[86:87]
	s_andn2_b64 exec, exec, s[0:1]
	s_cbranch_execnz .LBB37_73
; %bb.74:
	s_or_b64 exec, exec, s[0:1]
.LBB37_75:
	s_or_b64 exec, exec, s[8:9]
	v_mov_b32_e32 v82, 0
	ds_read_b64 v[82:83], v82 offset:232
	s_waitcnt lgkmcnt(0)
	v_mul_f64 v[80:81], v[80:81], v[82:83]
	scratch_store_dwordx2 off, v[80:81], off offset:232
.LBB37_76:
	s_or_b64 exec, exec, s[4:5]
	scratch_load_dwordx2 v[80:81], off, off offset:224
	v_cmp_lt_u32_e64 s[0:1], 28, v0
	s_waitcnt vmcnt(0)
	ds_write_b64 v1, v[80:81]
	s_waitcnt lgkmcnt(0)
	; wave barrier
	s_and_saveexec_b64 s[4:5], s[0:1]
	s_cbranch_execz .LBB37_86
; %bb.77:
	s_andn2_b64 vcc, exec, s[6:7]
	s_cbranch_vccnz .LBB37_79
; %bb.78:
	scratch_load_dwordx2 v[80:81], v17, off
	ds_read_b64 v[82:83], v1
	s_waitcnt vmcnt(0) lgkmcnt(0)
	v_mul_f64 v[80:81], v[80:81], v[82:83]
	s_cbranch_execz .LBB37_80
	s_branch .LBB37_81
.LBB37_79:
                                        ; implicit-def: $vgpr80_vgpr81
.LBB37_80:
	ds_read_b64 v[80:81], v1
.LBB37_81:
	s_and_saveexec_b64 s[8:9], s[2:3]
	s_cbranch_execz .LBB37_85
; %bb.82:
	s_movk_i32 s24, 0xe8
	v_subrev_u32_e32 v82, 29, v0
	s_movk_i32 s25, 0x218
	s_mov_b64 s[2:3], 0
.LBB37_83:                              ; =>This Inner Loop Header: Depth=1
	scratch_load_dwordx2 v[84:85], off, s24
	v_mov_b32_e32 v83, s25
	ds_read_b64 v[86:87], v83
	v_add_u32_e32 v82, -1, v82
	s_add_i32 s25, s25, 8
	s_add_i32 s24, s24, 8
	v_cmp_eq_u32_e32 vcc, 0, v82
	s_or_b64 s[2:3], vcc, s[2:3]
	s_waitcnt vmcnt(0) lgkmcnt(0)
	v_fmac_f64_e32 v[80:81], v[84:85], v[86:87]
	s_andn2_b64 exec, exec, s[2:3]
	s_cbranch_execnz .LBB37_83
; %bb.84:
	s_or_b64 exec, exec, s[2:3]
.LBB37_85:
	s_or_b64 exec, exec, s[8:9]
	v_mov_b32_e32 v82, 0
	ds_read_b64 v[82:83], v82 offset:224
	s_waitcnt lgkmcnt(0)
	v_mul_f64 v[80:81], v[80:81], v[82:83]
	scratch_store_dwordx2 off, v[80:81], off offset:224
.LBB37_86:
	s_or_b64 exec, exec, s[4:5]
	scratch_load_dwordx2 v[80:81], off, off offset:216
	v_cmp_lt_u32_e64 s[2:3], 27, v0
	s_waitcnt vmcnt(0)
	ds_write_b64 v1, v[80:81]
	s_waitcnt lgkmcnt(0)
	; wave barrier
	s_and_saveexec_b64 s[4:5], s[2:3]
	s_cbranch_execz .LBB37_96
; %bb.87:
	s_andn2_b64 vcc, exec, s[6:7]
	s_cbranch_vccnz .LBB37_89
; %bb.88:
	scratch_load_dwordx2 v[80:81], v17, off
	ds_read_b64 v[82:83], v1
	s_waitcnt vmcnt(0) lgkmcnt(0)
	v_mul_f64 v[80:81], v[80:81], v[82:83]
	s_cbranch_execz .LBB37_90
	s_branch .LBB37_91
.LBB37_89:
                                        ; implicit-def: $vgpr80_vgpr81
.LBB37_90:
	ds_read_b64 v[80:81], v1
.LBB37_91:
	s_and_saveexec_b64 s[8:9], s[0:1]
	s_cbranch_execz .LBB37_95
; %bb.92:
	v_subrev_u32_e32 v82, 28, v0
	s_movk_i32 s24, 0x210
	s_mov_b64 s[0:1], 0
.LBB37_93:                              ; =>This Inner Loop Header: Depth=1
	scratch_load_dwordx2 v[84:85], off, s23
	v_mov_b32_e32 v83, s24
	ds_read_b64 v[86:87], v83
	v_add_u32_e32 v82, -1, v82
	s_add_i32 s24, s24, 8
	s_add_i32 s23, s23, 8
	v_cmp_eq_u32_e32 vcc, 0, v82
	s_or_b64 s[0:1], vcc, s[0:1]
	s_waitcnt vmcnt(0) lgkmcnt(0)
	v_fmac_f64_e32 v[80:81], v[84:85], v[86:87]
	s_andn2_b64 exec, exec, s[0:1]
	s_cbranch_execnz .LBB37_93
; %bb.94:
	s_or_b64 exec, exec, s[0:1]
.LBB37_95:
	s_or_b64 exec, exec, s[8:9]
	v_mov_b32_e32 v82, 0
	ds_read_b64 v[82:83], v82 offset:216
	s_waitcnt lgkmcnt(0)
	v_mul_f64 v[80:81], v[80:81], v[82:83]
	scratch_store_dwordx2 off, v[80:81], off offset:216
.LBB37_96:
	s_or_b64 exec, exec, s[4:5]
	scratch_load_dwordx2 v[80:81], off, off offset:208
	v_cmp_lt_u32_e64 s[0:1], 26, v0
	s_waitcnt vmcnt(0)
	ds_write_b64 v1, v[80:81]
	s_waitcnt lgkmcnt(0)
	; wave barrier
	s_and_saveexec_b64 s[4:5], s[0:1]
	s_cbranch_execz .LBB37_106
; %bb.97:
	s_andn2_b64 vcc, exec, s[6:7]
	s_cbranch_vccnz .LBB37_99
; %bb.98:
	scratch_load_dwordx2 v[80:81], v17, off
	ds_read_b64 v[82:83], v1
	s_waitcnt vmcnt(0) lgkmcnt(0)
	v_mul_f64 v[80:81], v[80:81], v[82:83]
	s_cbranch_execz .LBB37_100
	s_branch .LBB37_101
.LBB37_99:
                                        ; implicit-def: $vgpr80_vgpr81
.LBB37_100:
	ds_read_b64 v[80:81], v1
.LBB37_101:
	s_and_saveexec_b64 s[8:9], s[2:3]
	s_cbranch_execz .LBB37_105
; %bb.102:
	s_movk_i32 s23, 0xd8
	v_subrev_u32_e32 v82, 27, v0
	s_movk_i32 s24, 0x208
	s_mov_b64 s[2:3], 0
.LBB37_103:                             ; =>This Inner Loop Header: Depth=1
	scratch_load_dwordx2 v[84:85], off, s23
	v_mov_b32_e32 v83, s24
	ds_read_b64 v[86:87], v83
	v_add_u32_e32 v82, -1, v82
	s_add_i32 s24, s24, 8
	s_add_i32 s23, s23, 8
	v_cmp_eq_u32_e32 vcc, 0, v82
	s_or_b64 s[2:3], vcc, s[2:3]
	s_waitcnt vmcnt(0) lgkmcnt(0)
	v_fmac_f64_e32 v[80:81], v[84:85], v[86:87]
	s_andn2_b64 exec, exec, s[2:3]
	s_cbranch_execnz .LBB37_103
; %bb.104:
	s_or_b64 exec, exec, s[2:3]
.LBB37_105:
	s_or_b64 exec, exec, s[8:9]
	v_mov_b32_e32 v82, 0
	ds_read_b64 v[82:83], v82 offset:208
	s_waitcnt lgkmcnt(0)
	v_mul_f64 v[80:81], v[80:81], v[82:83]
	scratch_store_dwordx2 off, v[80:81], off offset:208
.LBB37_106:
	s_or_b64 exec, exec, s[4:5]
	scratch_load_dwordx2 v[80:81], off, off offset:200
	v_cmp_lt_u32_e64 s[2:3], 25, v0
	s_waitcnt vmcnt(0)
	ds_write_b64 v1, v[80:81]
	s_waitcnt lgkmcnt(0)
	; wave barrier
	s_and_saveexec_b64 s[4:5], s[2:3]
	s_cbranch_execz .LBB37_116
; %bb.107:
	s_andn2_b64 vcc, exec, s[6:7]
	s_cbranch_vccnz .LBB37_109
; %bb.108:
	scratch_load_dwordx2 v[80:81], v17, off
	ds_read_b64 v[82:83], v1
	s_waitcnt vmcnt(0) lgkmcnt(0)
	v_mul_f64 v[80:81], v[80:81], v[82:83]
	s_cbranch_execz .LBB37_110
	s_branch .LBB37_111
.LBB37_109:
                                        ; implicit-def: $vgpr80_vgpr81
.LBB37_110:
	ds_read_b64 v[80:81], v1
.LBB37_111:
	s_and_saveexec_b64 s[8:9], s[0:1]
	s_cbranch_execz .LBB37_115
; %bb.112:
	v_subrev_u32_e32 v82, 26, v0
	s_movk_i32 s23, 0x200
	s_mov_b64 s[0:1], 0
.LBB37_113:                             ; =>This Inner Loop Header: Depth=1
	scratch_load_dwordx2 v[84:85], off, s22
	v_mov_b32_e32 v83, s23
	ds_read_b64 v[86:87], v83
	v_add_u32_e32 v82, -1, v82
	s_add_i32 s23, s23, 8
	s_add_i32 s22, s22, 8
	v_cmp_eq_u32_e32 vcc, 0, v82
	s_or_b64 s[0:1], vcc, s[0:1]
	s_waitcnt vmcnt(0) lgkmcnt(0)
	v_fmac_f64_e32 v[80:81], v[84:85], v[86:87]
	s_andn2_b64 exec, exec, s[0:1]
	s_cbranch_execnz .LBB37_113
; %bb.114:
	s_or_b64 exec, exec, s[0:1]
.LBB37_115:
	s_or_b64 exec, exec, s[8:9]
	v_mov_b32_e32 v82, 0
	ds_read_b64 v[82:83], v82 offset:200
	s_waitcnt lgkmcnt(0)
	v_mul_f64 v[80:81], v[80:81], v[82:83]
	scratch_store_dwordx2 off, v[80:81], off offset:200
.LBB37_116:
	s_or_b64 exec, exec, s[4:5]
	scratch_load_dwordx2 v[80:81], off, off offset:192
	v_cmp_lt_u32_e64 s[0:1], 24, v0
	s_waitcnt vmcnt(0)
	ds_write_b64 v1, v[80:81]
	s_waitcnt lgkmcnt(0)
	; wave barrier
	s_and_saveexec_b64 s[4:5], s[0:1]
	s_cbranch_execz .LBB37_126
; %bb.117:
	s_andn2_b64 vcc, exec, s[6:7]
	s_cbranch_vccnz .LBB37_119
; %bb.118:
	scratch_load_dwordx2 v[80:81], v17, off
	ds_read_b64 v[82:83], v1
	s_waitcnt vmcnt(0) lgkmcnt(0)
	v_mul_f64 v[80:81], v[80:81], v[82:83]
	s_cbranch_execz .LBB37_120
	s_branch .LBB37_121
.LBB37_119:
                                        ; implicit-def: $vgpr80_vgpr81
.LBB37_120:
	ds_read_b64 v[80:81], v1
.LBB37_121:
	s_and_saveexec_b64 s[8:9], s[2:3]
	s_cbranch_execz .LBB37_125
; %bb.122:
	s_movk_i32 s22, 0xc8
	v_subrev_u32_e32 v82, 25, v0
	s_movk_i32 s23, 0x1f8
	s_mov_b64 s[2:3], 0
.LBB37_123:                             ; =>This Inner Loop Header: Depth=1
	scratch_load_dwordx2 v[84:85], off, s22
	v_mov_b32_e32 v83, s23
	ds_read_b64 v[86:87], v83
	v_add_u32_e32 v82, -1, v82
	s_add_i32 s23, s23, 8
	s_add_i32 s22, s22, 8
	v_cmp_eq_u32_e32 vcc, 0, v82
	s_or_b64 s[2:3], vcc, s[2:3]
	s_waitcnt vmcnt(0) lgkmcnt(0)
	v_fmac_f64_e32 v[80:81], v[84:85], v[86:87]
	s_andn2_b64 exec, exec, s[2:3]
	s_cbranch_execnz .LBB37_123
; %bb.124:
	s_or_b64 exec, exec, s[2:3]
.LBB37_125:
	s_or_b64 exec, exec, s[8:9]
	v_mov_b32_e32 v82, 0
	ds_read_b64 v[82:83], v82 offset:192
	s_waitcnt lgkmcnt(0)
	v_mul_f64 v[80:81], v[80:81], v[82:83]
	scratch_store_dwordx2 off, v[80:81], off offset:192
.LBB37_126:
	s_or_b64 exec, exec, s[4:5]
	scratch_load_dwordx2 v[80:81], off, off offset:184
	v_cmp_lt_u32_e64 s[2:3], 23, v0
	s_waitcnt vmcnt(0)
	ds_write_b64 v1, v[80:81]
	s_waitcnt lgkmcnt(0)
	; wave barrier
	s_and_saveexec_b64 s[4:5], s[2:3]
	s_cbranch_execz .LBB37_136
; %bb.127:
	s_andn2_b64 vcc, exec, s[6:7]
	s_cbranch_vccnz .LBB37_129
; %bb.128:
	scratch_load_dwordx2 v[80:81], v17, off
	ds_read_b64 v[82:83], v1
	s_waitcnt vmcnt(0) lgkmcnt(0)
	v_mul_f64 v[80:81], v[80:81], v[82:83]
	s_cbranch_execz .LBB37_130
	s_branch .LBB37_131
.LBB37_129:
                                        ; implicit-def: $vgpr80_vgpr81
.LBB37_130:
	ds_read_b64 v[80:81], v1
.LBB37_131:
	s_and_saveexec_b64 s[8:9], s[0:1]
	s_cbranch_execz .LBB37_135
; %bb.132:
	v_subrev_u32_e32 v82, 24, v0
	s_movk_i32 s22, 0x1f0
	s_mov_b64 s[0:1], 0
.LBB37_133:                             ; =>This Inner Loop Header: Depth=1
	scratch_load_dwordx2 v[84:85], off, s21
	v_mov_b32_e32 v83, s22
	ds_read_b64 v[86:87], v83
	v_add_u32_e32 v82, -1, v82
	s_add_i32 s22, s22, 8
	s_add_i32 s21, s21, 8
	v_cmp_eq_u32_e32 vcc, 0, v82
	s_or_b64 s[0:1], vcc, s[0:1]
	s_waitcnt vmcnt(0) lgkmcnt(0)
	v_fmac_f64_e32 v[80:81], v[84:85], v[86:87]
	s_andn2_b64 exec, exec, s[0:1]
	s_cbranch_execnz .LBB37_133
; %bb.134:
	s_or_b64 exec, exec, s[0:1]
.LBB37_135:
	s_or_b64 exec, exec, s[8:9]
	v_mov_b32_e32 v82, 0
	ds_read_b64 v[82:83], v82 offset:184
	s_waitcnt lgkmcnt(0)
	v_mul_f64 v[80:81], v[80:81], v[82:83]
	scratch_store_dwordx2 off, v[80:81], off offset:184
.LBB37_136:
	s_or_b64 exec, exec, s[4:5]
	scratch_load_dwordx2 v[80:81], off, off offset:176
	v_cmp_lt_u32_e64 s[0:1], 22, v0
	s_waitcnt vmcnt(0)
	ds_write_b64 v1, v[80:81]
	s_waitcnt lgkmcnt(0)
	; wave barrier
	s_and_saveexec_b64 s[4:5], s[0:1]
	s_cbranch_execz .LBB37_146
; %bb.137:
	s_andn2_b64 vcc, exec, s[6:7]
	s_cbranch_vccnz .LBB37_139
; %bb.138:
	scratch_load_dwordx2 v[80:81], v17, off
	ds_read_b64 v[82:83], v1
	s_waitcnt vmcnt(0) lgkmcnt(0)
	v_mul_f64 v[80:81], v[80:81], v[82:83]
	s_cbranch_execz .LBB37_140
	s_branch .LBB37_141
.LBB37_139:
                                        ; implicit-def: $vgpr80_vgpr81
.LBB37_140:
	ds_read_b64 v[80:81], v1
.LBB37_141:
	s_and_saveexec_b64 s[8:9], s[2:3]
	s_cbranch_execz .LBB37_145
; %bb.142:
	s_movk_i32 s21, 0xb8
	v_subrev_u32_e32 v82, 23, v0
	s_movk_i32 s22, 0x1e8
	s_mov_b64 s[2:3], 0
.LBB37_143:                             ; =>This Inner Loop Header: Depth=1
	scratch_load_dwordx2 v[84:85], off, s21
	v_mov_b32_e32 v83, s22
	ds_read_b64 v[86:87], v83
	v_add_u32_e32 v82, -1, v82
	s_add_i32 s22, s22, 8
	s_add_i32 s21, s21, 8
	v_cmp_eq_u32_e32 vcc, 0, v82
	s_or_b64 s[2:3], vcc, s[2:3]
	s_waitcnt vmcnt(0) lgkmcnt(0)
	v_fmac_f64_e32 v[80:81], v[84:85], v[86:87]
	s_andn2_b64 exec, exec, s[2:3]
	s_cbranch_execnz .LBB37_143
; %bb.144:
	s_or_b64 exec, exec, s[2:3]
.LBB37_145:
	s_or_b64 exec, exec, s[8:9]
	v_mov_b32_e32 v82, 0
	ds_read_b64 v[82:83], v82 offset:176
	s_waitcnt lgkmcnt(0)
	v_mul_f64 v[80:81], v[80:81], v[82:83]
	scratch_store_dwordx2 off, v[80:81], off offset:176
.LBB37_146:
	s_or_b64 exec, exec, s[4:5]
	scratch_load_dwordx2 v[80:81], off, off offset:168
	v_cmp_lt_u32_e64 s[2:3], 21, v0
	s_waitcnt vmcnt(0)
	ds_write_b64 v1, v[80:81]
	s_waitcnt lgkmcnt(0)
	; wave barrier
	s_and_saveexec_b64 s[4:5], s[2:3]
	s_cbranch_execz .LBB37_156
; %bb.147:
	s_andn2_b64 vcc, exec, s[6:7]
	s_cbranch_vccnz .LBB37_149
; %bb.148:
	scratch_load_dwordx2 v[80:81], v17, off
	ds_read_b64 v[82:83], v1
	s_waitcnt vmcnt(0) lgkmcnt(0)
	v_mul_f64 v[80:81], v[80:81], v[82:83]
	s_cbranch_execz .LBB37_150
	s_branch .LBB37_151
.LBB37_149:
                                        ; implicit-def: $vgpr80_vgpr81
.LBB37_150:
	ds_read_b64 v[80:81], v1
.LBB37_151:
	s_and_saveexec_b64 s[8:9], s[0:1]
	s_cbranch_execz .LBB37_155
; %bb.152:
	v_subrev_u32_e32 v82, 22, v0
	s_movk_i32 s21, 0x1e0
	s_mov_b64 s[0:1], 0
.LBB37_153:                             ; =>This Inner Loop Header: Depth=1
	scratch_load_dwordx2 v[84:85], off, s20
	v_mov_b32_e32 v83, s21
	ds_read_b64 v[86:87], v83
	v_add_u32_e32 v82, -1, v82
	s_add_i32 s21, s21, 8
	s_add_i32 s20, s20, 8
	v_cmp_eq_u32_e32 vcc, 0, v82
	s_or_b64 s[0:1], vcc, s[0:1]
	s_waitcnt vmcnt(0) lgkmcnt(0)
	v_fmac_f64_e32 v[80:81], v[84:85], v[86:87]
	s_andn2_b64 exec, exec, s[0:1]
	s_cbranch_execnz .LBB37_153
; %bb.154:
	s_or_b64 exec, exec, s[0:1]
.LBB37_155:
	s_or_b64 exec, exec, s[8:9]
	v_mov_b32_e32 v82, 0
	ds_read_b64 v[82:83], v82 offset:168
	s_waitcnt lgkmcnt(0)
	v_mul_f64 v[80:81], v[80:81], v[82:83]
	scratch_store_dwordx2 off, v[80:81], off offset:168
.LBB37_156:
	s_or_b64 exec, exec, s[4:5]
	scratch_load_dwordx2 v[80:81], off, off offset:160
	v_cmp_lt_u32_e64 s[0:1], 20, v0
	s_waitcnt vmcnt(0)
	ds_write_b64 v1, v[80:81]
	s_waitcnt lgkmcnt(0)
	; wave barrier
	s_and_saveexec_b64 s[4:5], s[0:1]
	s_cbranch_execz .LBB37_166
; %bb.157:
	s_andn2_b64 vcc, exec, s[6:7]
	s_cbranch_vccnz .LBB37_159
; %bb.158:
	scratch_load_dwordx2 v[80:81], v17, off
	ds_read_b64 v[82:83], v1
	s_waitcnt vmcnt(0) lgkmcnt(0)
	v_mul_f64 v[80:81], v[80:81], v[82:83]
	s_cbranch_execz .LBB37_160
	s_branch .LBB37_161
.LBB37_159:
                                        ; implicit-def: $vgpr80_vgpr81
.LBB37_160:
	ds_read_b64 v[80:81], v1
.LBB37_161:
	s_and_saveexec_b64 s[8:9], s[2:3]
	s_cbranch_execz .LBB37_165
; %bb.162:
	s_movk_i32 s20, 0xa8
	v_subrev_u32_e32 v82, 21, v0
	s_movk_i32 s21, 0x1d8
	s_mov_b64 s[2:3], 0
.LBB37_163:                             ; =>This Inner Loop Header: Depth=1
	scratch_load_dwordx2 v[84:85], off, s20
	v_mov_b32_e32 v83, s21
	ds_read_b64 v[86:87], v83
	v_add_u32_e32 v82, -1, v82
	s_add_i32 s21, s21, 8
	s_add_i32 s20, s20, 8
	v_cmp_eq_u32_e32 vcc, 0, v82
	s_or_b64 s[2:3], vcc, s[2:3]
	s_waitcnt vmcnt(0) lgkmcnt(0)
	v_fmac_f64_e32 v[80:81], v[84:85], v[86:87]
	s_andn2_b64 exec, exec, s[2:3]
	s_cbranch_execnz .LBB37_163
; %bb.164:
	s_or_b64 exec, exec, s[2:3]
.LBB37_165:
	s_or_b64 exec, exec, s[8:9]
	v_mov_b32_e32 v82, 0
	ds_read_b64 v[82:83], v82 offset:160
	s_waitcnt lgkmcnt(0)
	v_mul_f64 v[80:81], v[80:81], v[82:83]
	scratch_store_dwordx2 off, v[80:81], off offset:160
.LBB37_166:
	s_or_b64 exec, exec, s[4:5]
	scratch_load_dwordx2 v[80:81], off, off offset:152
	v_cmp_lt_u32_e64 s[2:3], 19, v0
	s_waitcnt vmcnt(0)
	ds_write_b64 v1, v[80:81]
	s_waitcnt lgkmcnt(0)
	; wave barrier
	s_and_saveexec_b64 s[4:5], s[2:3]
	s_cbranch_execz .LBB37_176
; %bb.167:
	s_andn2_b64 vcc, exec, s[6:7]
	s_cbranch_vccnz .LBB37_169
; %bb.168:
	scratch_load_dwordx2 v[80:81], v17, off
	ds_read_b64 v[82:83], v1
	s_waitcnt vmcnt(0) lgkmcnt(0)
	v_mul_f64 v[80:81], v[80:81], v[82:83]
	s_cbranch_execz .LBB37_170
	s_branch .LBB37_171
.LBB37_169:
                                        ; implicit-def: $vgpr80_vgpr81
.LBB37_170:
	ds_read_b64 v[80:81], v1
.LBB37_171:
	s_and_saveexec_b64 s[8:9], s[0:1]
	s_cbranch_execz .LBB37_175
; %bb.172:
	v_subrev_u32_e32 v82, 20, v0
	s_movk_i32 s20, 0x1d0
	s_mov_b64 s[0:1], 0
.LBB37_173:                             ; =>This Inner Loop Header: Depth=1
	scratch_load_dwordx2 v[84:85], off, s19
	v_mov_b32_e32 v83, s20
	ds_read_b64 v[86:87], v83
	v_add_u32_e32 v82, -1, v82
	s_add_i32 s20, s20, 8
	s_add_i32 s19, s19, 8
	v_cmp_eq_u32_e32 vcc, 0, v82
	s_or_b64 s[0:1], vcc, s[0:1]
	s_waitcnt vmcnt(0) lgkmcnt(0)
	v_fmac_f64_e32 v[80:81], v[84:85], v[86:87]
	s_andn2_b64 exec, exec, s[0:1]
	s_cbranch_execnz .LBB37_173
; %bb.174:
	s_or_b64 exec, exec, s[0:1]
.LBB37_175:
	s_or_b64 exec, exec, s[8:9]
	v_mov_b32_e32 v82, 0
	ds_read_b64 v[82:83], v82 offset:152
	s_waitcnt lgkmcnt(0)
	v_mul_f64 v[80:81], v[80:81], v[82:83]
	scratch_store_dwordx2 off, v[80:81], off offset:152
.LBB37_176:
	s_or_b64 exec, exec, s[4:5]
	scratch_load_dwordx2 v[80:81], off, off offset:144
	v_cmp_lt_u32_e64 s[0:1], 18, v0
	s_waitcnt vmcnt(0)
	ds_write_b64 v1, v[80:81]
	s_waitcnt lgkmcnt(0)
	; wave barrier
	s_and_saveexec_b64 s[4:5], s[0:1]
	s_cbranch_execz .LBB37_186
; %bb.177:
	s_andn2_b64 vcc, exec, s[6:7]
	s_cbranch_vccnz .LBB37_179
; %bb.178:
	scratch_load_dwordx2 v[80:81], v17, off
	ds_read_b64 v[82:83], v1
	s_waitcnt vmcnt(0) lgkmcnt(0)
	v_mul_f64 v[80:81], v[80:81], v[82:83]
	s_cbranch_execz .LBB37_180
	s_branch .LBB37_181
.LBB37_179:
                                        ; implicit-def: $vgpr80_vgpr81
.LBB37_180:
	ds_read_b64 v[80:81], v1
.LBB37_181:
	s_and_saveexec_b64 s[8:9], s[2:3]
	s_cbranch_execz .LBB37_185
; %bb.182:
	s_movk_i32 s19, 0x98
	v_subrev_u32_e32 v82, 19, v0
	s_movk_i32 s20, 0x1c8
	s_mov_b64 s[2:3], 0
.LBB37_183:                             ; =>This Inner Loop Header: Depth=1
	scratch_load_dwordx2 v[84:85], off, s19
	v_mov_b32_e32 v83, s20
	ds_read_b64 v[86:87], v83
	v_add_u32_e32 v82, -1, v82
	s_add_i32 s20, s20, 8
	s_add_i32 s19, s19, 8
	v_cmp_eq_u32_e32 vcc, 0, v82
	s_or_b64 s[2:3], vcc, s[2:3]
	s_waitcnt vmcnt(0) lgkmcnt(0)
	v_fmac_f64_e32 v[80:81], v[84:85], v[86:87]
	s_andn2_b64 exec, exec, s[2:3]
	s_cbranch_execnz .LBB37_183
; %bb.184:
	s_or_b64 exec, exec, s[2:3]
.LBB37_185:
	s_or_b64 exec, exec, s[8:9]
	v_mov_b32_e32 v82, 0
	ds_read_b64 v[82:83], v82 offset:144
	s_waitcnt lgkmcnt(0)
	v_mul_f64 v[80:81], v[80:81], v[82:83]
	scratch_store_dwordx2 off, v[80:81], off offset:144
.LBB37_186:
	s_or_b64 exec, exec, s[4:5]
	scratch_load_dwordx2 v[80:81], off, off offset:136
	v_cmp_lt_u32_e64 s[2:3], 17, v0
	s_waitcnt vmcnt(0)
	ds_write_b64 v1, v[80:81]
	s_waitcnt lgkmcnt(0)
	; wave barrier
	s_and_saveexec_b64 s[4:5], s[2:3]
	s_cbranch_execz .LBB37_196
; %bb.187:
	s_andn2_b64 vcc, exec, s[6:7]
	s_cbranch_vccnz .LBB37_189
; %bb.188:
	scratch_load_dwordx2 v[80:81], v17, off
	ds_read_b64 v[82:83], v1
	s_waitcnt vmcnt(0) lgkmcnt(0)
	v_mul_f64 v[80:81], v[80:81], v[82:83]
	s_cbranch_execz .LBB37_190
	s_branch .LBB37_191
.LBB37_189:
                                        ; implicit-def: $vgpr80_vgpr81
.LBB37_190:
	ds_read_b64 v[80:81], v1
.LBB37_191:
	s_and_saveexec_b64 s[8:9], s[0:1]
	s_cbranch_execz .LBB37_195
; %bb.192:
	v_subrev_u32_e32 v82, 18, v0
	s_movk_i32 s19, 0x1c0
	s_mov_b64 s[0:1], 0
.LBB37_193:                             ; =>This Inner Loop Header: Depth=1
	scratch_load_dwordx2 v[84:85], off, s18
	v_mov_b32_e32 v83, s19
	ds_read_b64 v[86:87], v83
	v_add_u32_e32 v82, -1, v82
	s_add_i32 s19, s19, 8
	s_add_i32 s18, s18, 8
	v_cmp_eq_u32_e32 vcc, 0, v82
	s_or_b64 s[0:1], vcc, s[0:1]
	s_waitcnt vmcnt(0) lgkmcnt(0)
	v_fmac_f64_e32 v[80:81], v[84:85], v[86:87]
	s_andn2_b64 exec, exec, s[0:1]
	s_cbranch_execnz .LBB37_193
; %bb.194:
	s_or_b64 exec, exec, s[0:1]
.LBB37_195:
	s_or_b64 exec, exec, s[8:9]
	v_mov_b32_e32 v82, 0
	ds_read_b64 v[82:83], v82 offset:136
	s_waitcnt lgkmcnt(0)
	v_mul_f64 v[80:81], v[80:81], v[82:83]
	scratch_store_dwordx2 off, v[80:81], off offset:136
.LBB37_196:
	s_or_b64 exec, exec, s[4:5]
	scratch_load_dwordx2 v[80:81], off, off offset:128
	v_cmp_lt_u32_e64 s[0:1], 16, v0
	s_waitcnt vmcnt(0)
	ds_write_b64 v1, v[80:81]
	s_waitcnt lgkmcnt(0)
	; wave barrier
	s_and_saveexec_b64 s[4:5], s[0:1]
	s_cbranch_execz .LBB37_206
; %bb.197:
	s_andn2_b64 vcc, exec, s[6:7]
	s_cbranch_vccnz .LBB37_199
; %bb.198:
	scratch_load_dwordx2 v[80:81], v17, off
	ds_read_b64 v[82:83], v1
	s_waitcnt vmcnt(0) lgkmcnt(0)
	v_mul_f64 v[80:81], v[80:81], v[82:83]
	s_cbranch_execz .LBB37_200
	s_branch .LBB37_201
.LBB37_199:
                                        ; implicit-def: $vgpr80_vgpr81
.LBB37_200:
	ds_read_b64 v[80:81], v1
.LBB37_201:
	s_and_saveexec_b64 s[8:9], s[2:3]
	s_cbranch_execz .LBB37_205
; %bb.202:
	s_movk_i32 s18, 0x88
	v_subrev_u32_e32 v82, 17, v0
	s_movk_i32 s19, 0x1b8
	s_mov_b64 s[2:3], 0
.LBB37_203:                             ; =>This Inner Loop Header: Depth=1
	scratch_load_dwordx2 v[84:85], off, s18
	v_mov_b32_e32 v83, s19
	ds_read_b64 v[86:87], v83
	v_add_u32_e32 v82, -1, v82
	s_add_i32 s19, s19, 8
	s_add_i32 s18, s18, 8
	v_cmp_eq_u32_e32 vcc, 0, v82
	s_or_b64 s[2:3], vcc, s[2:3]
	s_waitcnt vmcnt(0) lgkmcnt(0)
	v_fmac_f64_e32 v[80:81], v[84:85], v[86:87]
	s_andn2_b64 exec, exec, s[2:3]
	s_cbranch_execnz .LBB37_203
; %bb.204:
	s_or_b64 exec, exec, s[2:3]
.LBB37_205:
	s_or_b64 exec, exec, s[8:9]
	v_mov_b32_e32 v82, 0
	ds_read_b64 v[82:83], v82 offset:128
	s_waitcnt lgkmcnt(0)
	v_mul_f64 v[80:81], v[80:81], v[82:83]
	scratch_store_dwordx2 off, v[80:81], off offset:128
.LBB37_206:
	s_or_b64 exec, exec, s[4:5]
	scratch_load_dwordx2 v[80:81], off, off offset:120
	v_cmp_lt_u32_e64 s[2:3], 15, v0
	s_waitcnt vmcnt(0)
	ds_write_b64 v1, v[80:81]
	s_waitcnt lgkmcnt(0)
	; wave barrier
	s_and_saveexec_b64 s[4:5], s[2:3]
	s_cbranch_execz .LBB37_216
; %bb.207:
	s_andn2_b64 vcc, exec, s[6:7]
	s_cbranch_vccnz .LBB37_209
; %bb.208:
	scratch_load_dwordx2 v[80:81], v17, off
	ds_read_b64 v[82:83], v1
	s_waitcnt vmcnt(0) lgkmcnt(0)
	v_mul_f64 v[80:81], v[80:81], v[82:83]
	s_cbranch_execz .LBB37_210
	s_branch .LBB37_211
.LBB37_209:
                                        ; implicit-def: $vgpr80_vgpr81
.LBB37_210:
	ds_read_b64 v[80:81], v1
.LBB37_211:
	s_and_saveexec_b64 s[8:9], s[0:1]
	s_cbranch_execz .LBB37_215
; %bb.212:
	v_add_u32_e32 v82, -16, v0
	s_movk_i32 s18, 0x1b0
	s_mov_b64 s[0:1], 0
.LBB37_213:                             ; =>This Inner Loop Header: Depth=1
	scratch_load_dwordx2 v[84:85], off, s17
	v_mov_b32_e32 v83, s18
	ds_read_b64 v[86:87], v83
	v_add_u32_e32 v82, -1, v82
	s_add_i32 s18, s18, 8
	s_add_i32 s17, s17, 8
	v_cmp_eq_u32_e32 vcc, 0, v82
	s_or_b64 s[0:1], vcc, s[0:1]
	s_waitcnt vmcnt(0) lgkmcnt(0)
	v_fmac_f64_e32 v[80:81], v[84:85], v[86:87]
	s_andn2_b64 exec, exec, s[0:1]
	s_cbranch_execnz .LBB37_213
; %bb.214:
	s_or_b64 exec, exec, s[0:1]
.LBB37_215:
	s_or_b64 exec, exec, s[8:9]
	v_mov_b32_e32 v82, 0
	ds_read_b64 v[82:83], v82 offset:120
	s_waitcnt lgkmcnt(0)
	v_mul_f64 v[80:81], v[80:81], v[82:83]
	scratch_store_dwordx2 off, v[80:81], off offset:120
.LBB37_216:
	s_or_b64 exec, exec, s[4:5]
	scratch_load_dwordx2 v[80:81], off, off offset:112
	v_cmp_lt_u32_e64 s[0:1], 14, v0
	s_waitcnt vmcnt(0)
	ds_write_b64 v1, v[80:81]
	s_waitcnt lgkmcnt(0)
	; wave barrier
	s_and_saveexec_b64 s[4:5], s[0:1]
	s_cbranch_execz .LBB37_226
; %bb.217:
	s_andn2_b64 vcc, exec, s[6:7]
	s_cbranch_vccnz .LBB37_219
; %bb.218:
	scratch_load_dwordx2 v[80:81], v17, off
	ds_read_b64 v[82:83], v1
	s_waitcnt vmcnt(0) lgkmcnt(0)
	v_mul_f64 v[80:81], v[80:81], v[82:83]
	s_cbranch_execz .LBB37_220
	s_branch .LBB37_221
.LBB37_219:
                                        ; implicit-def: $vgpr80_vgpr81
.LBB37_220:
	ds_read_b64 v[80:81], v1
.LBB37_221:
	s_and_saveexec_b64 s[8:9], s[2:3]
	s_cbranch_execz .LBB37_225
; %bb.222:
	s_movk_i32 s17, 0x78
	v_add_u32_e32 v82, -15, v0
	s_movk_i32 s18, 0x1a8
	s_mov_b64 s[2:3], 0
.LBB37_223:                             ; =>This Inner Loop Header: Depth=1
	scratch_load_dwordx2 v[84:85], off, s17
	v_mov_b32_e32 v83, s18
	ds_read_b64 v[86:87], v83
	v_add_u32_e32 v82, -1, v82
	s_add_i32 s18, s18, 8
	s_add_i32 s17, s17, 8
	v_cmp_eq_u32_e32 vcc, 0, v82
	s_or_b64 s[2:3], vcc, s[2:3]
	s_waitcnt vmcnt(0) lgkmcnt(0)
	v_fmac_f64_e32 v[80:81], v[84:85], v[86:87]
	s_andn2_b64 exec, exec, s[2:3]
	s_cbranch_execnz .LBB37_223
; %bb.224:
	s_or_b64 exec, exec, s[2:3]
.LBB37_225:
	s_or_b64 exec, exec, s[8:9]
	v_mov_b32_e32 v82, 0
	ds_read_b64 v[82:83], v82 offset:112
	s_waitcnt lgkmcnt(0)
	v_mul_f64 v[80:81], v[80:81], v[82:83]
	scratch_store_dwordx2 off, v[80:81], off offset:112
.LBB37_226:
	s_or_b64 exec, exec, s[4:5]
	scratch_load_dwordx2 v[80:81], off, off offset:104
	v_cmp_lt_u32_e64 s[2:3], 13, v0
	s_waitcnt vmcnt(0)
	ds_write_b64 v1, v[80:81]
	s_waitcnt lgkmcnt(0)
	; wave barrier
	s_and_saveexec_b64 s[4:5], s[2:3]
	s_cbranch_execz .LBB37_236
; %bb.227:
	s_andn2_b64 vcc, exec, s[6:7]
	s_cbranch_vccnz .LBB37_229
; %bb.228:
	scratch_load_dwordx2 v[80:81], v17, off
	ds_read_b64 v[82:83], v1
	s_waitcnt vmcnt(0) lgkmcnt(0)
	v_mul_f64 v[80:81], v[80:81], v[82:83]
	s_cbranch_execz .LBB37_230
	s_branch .LBB37_231
.LBB37_229:
                                        ; implicit-def: $vgpr80_vgpr81
.LBB37_230:
	ds_read_b64 v[80:81], v1
.LBB37_231:
	s_and_saveexec_b64 s[8:9], s[0:1]
	s_cbranch_execz .LBB37_235
; %bb.232:
	v_add_u32_e32 v82, -14, v0
	s_movk_i32 s17, 0x1a0
	s_mov_b64 s[0:1], 0
.LBB37_233:                             ; =>This Inner Loop Header: Depth=1
	scratch_load_dwordx2 v[84:85], off, s16
	v_mov_b32_e32 v83, s17
	ds_read_b64 v[86:87], v83
	v_add_u32_e32 v82, -1, v82
	s_add_i32 s17, s17, 8
	s_add_i32 s16, s16, 8
	v_cmp_eq_u32_e32 vcc, 0, v82
	s_or_b64 s[0:1], vcc, s[0:1]
	s_waitcnt vmcnt(0) lgkmcnt(0)
	v_fmac_f64_e32 v[80:81], v[84:85], v[86:87]
	s_andn2_b64 exec, exec, s[0:1]
	s_cbranch_execnz .LBB37_233
; %bb.234:
	s_or_b64 exec, exec, s[0:1]
.LBB37_235:
	s_or_b64 exec, exec, s[8:9]
	v_mov_b32_e32 v82, 0
	ds_read_b64 v[82:83], v82 offset:104
	s_waitcnt lgkmcnt(0)
	v_mul_f64 v[80:81], v[80:81], v[82:83]
	scratch_store_dwordx2 off, v[80:81], off offset:104
.LBB37_236:
	s_or_b64 exec, exec, s[4:5]
	scratch_load_dwordx2 v[80:81], off, off offset:96
	v_cmp_lt_u32_e64 s[0:1], 12, v0
	s_waitcnt vmcnt(0)
	ds_write_b64 v1, v[80:81]
	s_waitcnt lgkmcnt(0)
	; wave barrier
	s_and_saveexec_b64 s[4:5], s[0:1]
	s_cbranch_execz .LBB37_246
; %bb.237:
	s_andn2_b64 vcc, exec, s[6:7]
	s_cbranch_vccnz .LBB37_239
; %bb.238:
	scratch_load_dwordx2 v[80:81], v17, off
	ds_read_b64 v[82:83], v1
	s_waitcnt vmcnt(0) lgkmcnt(0)
	v_mul_f64 v[80:81], v[80:81], v[82:83]
	s_cbranch_execz .LBB37_240
	s_branch .LBB37_241
.LBB37_239:
                                        ; implicit-def: $vgpr80_vgpr81
.LBB37_240:
	ds_read_b64 v[80:81], v1
.LBB37_241:
	s_and_saveexec_b64 s[8:9], s[2:3]
	s_cbranch_execz .LBB37_245
; %bb.242:
	s_movk_i32 s16, 0x68
	v_add_u32_e32 v82, -13, v0
	s_movk_i32 s17, 0x198
	s_mov_b64 s[2:3], 0
.LBB37_243:                             ; =>This Inner Loop Header: Depth=1
	scratch_load_dwordx2 v[84:85], off, s16
	v_mov_b32_e32 v83, s17
	ds_read_b64 v[86:87], v83
	v_add_u32_e32 v82, -1, v82
	s_add_i32 s17, s17, 8
	s_add_i32 s16, s16, 8
	v_cmp_eq_u32_e32 vcc, 0, v82
	s_or_b64 s[2:3], vcc, s[2:3]
	s_waitcnt vmcnt(0) lgkmcnt(0)
	v_fmac_f64_e32 v[80:81], v[84:85], v[86:87]
	s_andn2_b64 exec, exec, s[2:3]
	s_cbranch_execnz .LBB37_243
; %bb.244:
	s_or_b64 exec, exec, s[2:3]
.LBB37_245:
	s_or_b64 exec, exec, s[8:9]
	v_mov_b32_e32 v82, 0
	ds_read_b64 v[82:83], v82 offset:96
	s_waitcnt lgkmcnt(0)
	v_mul_f64 v[80:81], v[80:81], v[82:83]
	scratch_store_dwordx2 off, v[80:81], off offset:96
.LBB37_246:
	s_or_b64 exec, exec, s[4:5]
	scratch_load_dwordx2 v[80:81], off, off offset:88
	v_cmp_lt_u32_e64 s[2:3], 11, v0
	s_waitcnt vmcnt(0)
	ds_write_b64 v1, v[80:81]
	s_waitcnt lgkmcnt(0)
	; wave barrier
	s_and_saveexec_b64 s[4:5], s[2:3]
	s_cbranch_execz .LBB37_256
; %bb.247:
	s_andn2_b64 vcc, exec, s[6:7]
	s_cbranch_vccnz .LBB37_249
; %bb.248:
	scratch_load_dwordx2 v[80:81], v17, off
	ds_read_b64 v[82:83], v1
	s_waitcnt vmcnt(0) lgkmcnt(0)
	v_mul_f64 v[80:81], v[80:81], v[82:83]
	s_cbranch_execz .LBB37_250
	s_branch .LBB37_251
.LBB37_249:
                                        ; implicit-def: $vgpr80_vgpr81
.LBB37_250:
	ds_read_b64 v[80:81], v1
.LBB37_251:
	s_and_saveexec_b64 s[8:9], s[0:1]
	s_cbranch_execz .LBB37_255
; %bb.252:
	v_add_u32_e32 v82, -12, v0
	s_movk_i32 s16, 0x190
	s_mov_b64 s[0:1], 0
.LBB37_253:                             ; =>This Inner Loop Header: Depth=1
	scratch_load_dwordx2 v[84:85], off, s15
	v_mov_b32_e32 v83, s16
	ds_read_b64 v[86:87], v83
	v_add_u32_e32 v82, -1, v82
	s_add_i32 s16, s16, 8
	s_add_i32 s15, s15, 8
	v_cmp_eq_u32_e32 vcc, 0, v82
	s_or_b64 s[0:1], vcc, s[0:1]
	s_waitcnt vmcnt(0) lgkmcnt(0)
	v_fmac_f64_e32 v[80:81], v[84:85], v[86:87]
	s_andn2_b64 exec, exec, s[0:1]
	s_cbranch_execnz .LBB37_253
; %bb.254:
	s_or_b64 exec, exec, s[0:1]
.LBB37_255:
	s_or_b64 exec, exec, s[8:9]
	v_mov_b32_e32 v82, 0
	ds_read_b64 v[82:83], v82 offset:88
	s_waitcnt lgkmcnt(0)
	v_mul_f64 v[80:81], v[80:81], v[82:83]
	scratch_store_dwordx2 off, v[80:81], off offset:88
.LBB37_256:
	s_or_b64 exec, exec, s[4:5]
	scratch_load_dwordx2 v[80:81], off, off offset:80
	v_cmp_lt_u32_e64 s[0:1], 10, v0
	s_waitcnt vmcnt(0)
	ds_write_b64 v1, v[80:81]
	s_waitcnt lgkmcnt(0)
	; wave barrier
	s_and_saveexec_b64 s[4:5], s[0:1]
	s_cbranch_execz .LBB37_266
; %bb.257:
	s_andn2_b64 vcc, exec, s[6:7]
	s_cbranch_vccnz .LBB37_259
; %bb.258:
	scratch_load_dwordx2 v[80:81], v17, off
	ds_read_b64 v[82:83], v1
	s_waitcnt vmcnt(0) lgkmcnt(0)
	v_mul_f64 v[80:81], v[80:81], v[82:83]
	s_cbranch_execz .LBB37_260
	s_branch .LBB37_261
.LBB37_259:
                                        ; implicit-def: $vgpr80_vgpr81
.LBB37_260:
	ds_read_b64 v[80:81], v1
.LBB37_261:
	s_and_saveexec_b64 s[8:9], s[2:3]
	s_cbranch_execz .LBB37_265
; %bb.262:
	s_movk_i32 s15, 0x58
	v_add_u32_e32 v82, -11, v0
	s_movk_i32 s16, 0x188
	s_mov_b64 s[2:3], 0
.LBB37_263:                             ; =>This Inner Loop Header: Depth=1
	scratch_load_dwordx2 v[84:85], off, s15
	v_mov_b32_e32 v83, s16
	ds_read_b64 v[86:87], v83
	v_add_u32_e32 v82, -1, v82
	s_add_i32 s16, s16, 8
	s_add_i32 s15, s15, 8
	v_cmp_eq_u32_e32 vcc, 0, v82
	s_or_b64 s[2:3], vcc, s[2:3]
	s_waitcnt vmcnt(0) lgkmcnt(0)
	v_fmac_f64_e32 v[80:81], v[84:85], v[86:87]
	s_andn2_b64 exec, exec, s[2:3]
	s_cbranch_execnz .LBB37_263
; %bb.264:
	s_or_b64 exec, exec, s[2:3]
.LBB37_265:
	s_or_b64 exec, exec, s[8:9]
	v_mov_b32_e32 v82, 0
	ds_read_b64 v[82:83], v82 offset:80
	s_waitcnt lgkmcnt(0)
	v_mul_f64 v[80:81], v[80:81], v[82:83]
	scratch_store_dwordx2 off, v[80:81], off offset:80
.LBB37_266:
	s_or_b64 exec, exec, s[4:5]
	scratch_load_dwordx2 v[80:81], off, off offset:72
	v_cmp_lt_u32_e64 s[2:3], 9, v0
	s_waitcnt vmcnt(0)
	ds_write_b64 v1, v[80:81]
	s_waitcnt lgkmcnt(0)
	; wave barrier
	s_and_saveexec_b64 s[4:5], s[2:3]
	s_cbranch_execz .LBB37_276
; %bb.267:
	s_andn2_b64 vcc, exec, s[6:7]
	s_cbranch_vccnz .LBB37_269
; %bb.268:
	scratch_load_dwordx2 v[80:81], v17, off
	ds_read_b64 v[82:83], v1
	s_waitcnt vmcnt(0) lgkmcnt(0)
	v_mul_f64 v[80:81], v[80:81], v[82:83]
	s_cbranch_execz .LBB37_270
	s_branch .LBB37_271
.LBB37_269:
                                        ; implicit-def: $vgpr80_vgpr81
.LBB37_270:
	ds_read_b64 v[80:81], v1
.LBB37_271:
	s_and_saveexec_b64 s[8:9], s[0:1]
	s_cbranch_execz .LBB37_275
; %bb.272:
	v_add_u32_e32 v82, -10, v0
	s_movk_i32 s15, 0x180
	s_mov_b64 s[0:1], 0
.LBB37_273:                             ; =>This Inner Loop Header: Depth=1
	scratch_load_dwordx2 v[84:85], off, s14
	v_mov_b32_e32 v83, s15
	ds_read_b64 v[86:87], v83
	v_add_u32_e32 v82, -1, v82
	s_add_i32 s15, s15, 8
	s_add_i32 s14, s14, 8
	v_cmp_eq_u32_e32 vcc, 0, v82
	s_or_b64 s[0:1], vcc, s[0:1]
	s_waitcnt vmcnt(0) lgkmcnt(0)
	v_fmac_f64_e32 v[80:81], v[84:85], v[86:87]
	s_andn2_b64 exec, exec, s[0:1]
	s_cbranch_execnz .LBB37_273
; %bb.274:
	s_or_b64 exec, exec, s[0:1]
.LBB37_275:
	s_or_b64 exec, exec, s[8:9]
	v_mov_b32_e32 v82, 0
	ds_read_b64 v[82:83], v82 offset:72
	s_waitcnt lgkmcnt(0)
	v_mul_f64 v[80:81], v[80:81], v[82:83]
	scratch_store_dwordx2 off, v[80:81], off offset:72
.LBB37_276:
	s_or_b64 exec, exec, s[4:5]
	scratch_load_dwordx2 v[80:81], off, off offset:64
	v_cmp_lt_u32_e64 s[0:1], 8, v0
	s_waitcnt vmcnt(0)
	ds_write_b64 v1, v[80:81]
	s_waitcnt lgkmcnt(0)
	; wave barrier
	s_and_saveexec_b64 s[4:5], s[0:1]
	s_cbranch_execz .LBB37_286
; %bb.277:
	s_andn2_b64 vcc, exec, s[6:7]
	s_cbranch_vccnz .LBB37_279
; %bb.278:
	scratch_load_dwordx2 v[80:81], v17, off
	ds_read_b64 v[82:83], v1
	s_waitcnt vmcnt(0) lgkmcnt(0)
	v_mul_f64 v[80:81], v[80:81], v[82:83]
	s_cbranch_execz .LBB37_280
	s_branch .LBB37_281
.LBB37_279:
                                        ; implicit-def: $vgpr80_vgpr81
.LBB37_280:
	ds_read_b64 v[80:81], v1
.LBB37_281:
	s_and_saveexec_b64 s[8:9], s[2:3]
	s_cbranch_execz .LBB37_285
; %bb.282:
	s_movk_i32 s14, 0x48
	v_add_u32_e32 v82, -9, v0
	s_movk_i32 s15, 0x178
	s_mov_b64 s[2:3], 0
.LBB37_283:                             ; =>This Inner Loop Header: Depth=1
	scratch_load_dwordx2 v[84:85], off, s14
	v_mov_b32_e32 v83, s15
	ds_read_b64 v[86:87], v83
	v_add_u32_e32 v82, -1, v82
	s_add_i32 s15, s15, 8
	s_add_i32 s14, s14, 8
	v_cmp_eq_u32_e32 vcc, 0, v82
	s_or_b64 s[2:3], vcc, s[2:3]
	s_waitcnt vmcnt(0) lgkmcnt(0)
	v_fmac_f64_e32 v[80:81], v[84:85], v[86:87]
	s_andn2_b64 exec, exec, s[2:3]
	s_cbranch_execnz .LBB37_283
; %bb.284:
	s_or_b64 exec, exec, s[2:3]
.LBB37_285:
	s_or_b64 exec, exec, s[8:9]
	v_mov_b32_e32 v82, 0
	ds_read_b64 v[82:83], v82 offset:64
	s_waitcnt lgkmcnt(0)
	v_mul_f64 v[80:81], v[80:81], v[82:83]
	scratch_store_dwordx2 off, v[80:81], off offset:64
.LBB37_286:
	s_or_b64 exec, exec, s[4:5]
	scratch_load_dwordx2 v[80:81], off, off offset:56
	v_cmp_lt_u32_e64 s[2:3], 7, v0
	s_waitcnt vmcnt(0)
	ds_write_b64 v1, v[80:81]
	s_waitcnt lgkmcnt(0)
	; wave barrier
	s_and_saveexec_b64 s[4:5], s[2:3]
	s_cbranch_execz .LBB37_296
; %bb.287:
	s_andn2_b64 vcc, exec, s[6:7]
	s_cbranch_vccnz .LBB37_289
; %bb.288:
	scratch_load_dwordx2 v[80:81], v17, off
	ds_read_b64 v[82:83], v1
	s_waitcnt vmcnt(0) lgkmcnt(0)
	v_mul_f64 v[80:81], v[80:81], v[82:83]
	s_cbranch_execz .LBB37_290
	s_branch .LBB37_291
.LBB37_289:
                                        ; implicit-def: $vgpr80_vgpr81
.LBB37_290:
	ds_read_b64 v[80:81], v1
.LBB37_291:
	s_and_saveexec_b64 s[8:9], s[0:1]
	s_cbranch_execz .LBB37_295
; %bb.292:
	v_add_u32_e32 v82, -8, v0
	s_movk_i32 s14, 0x170
	s_mov_b64 s[0:1], 0
.LBB37_293:                             ; =>This Inner Loop Header: Depth=1
	scratch_load_dwordx2 v[84:85], off, s13
	v_mov_b32_e32 v83, s14
	ds_read_b64 v[86:87], v83
	v_add_u32_e32 v82, -1, v82
	s_add_i32 s14, s14, 8
	s_add_i32 s13, s13, 8
	v_cmp_eq_u32_e32 vcc, 0, v82
	s_or_b64 s[0:1], vcc, s[0:1]
	s_waitcnt vmcnt(0) lgkmcnt(0)
	v_fmac_f64_e32 v[80:81], v[84:85], v[86:87]
	s_andn2_b64 exec, exec, s[0:1]
	s_cbranch_execnz .LBB37_293
; %bb.294:
	s_or_b64 exec, exec, s[0:1]
.LBB37_295:
	s_or_b64 exec, exec, s[8:9]
	v_mov_b32_e32 v82, 0
	ds_read_b64 v[82:83], v82 offset:56
	s_waitcnt lgkmcnt(0)
	v_mul_f64 v[80:81], v[80:81], v[82:83]
	scratch_store_dwordx2 off, v[80:81], off offset:56
.LBB37_296:
	s_or_b64 exec, exec, s[4:5]
	scratch_load_dwordx2 v[80:81], off, off offset:48
	v_cmp_lt_u32_e64 s[0:1], 6, v0
	s_waitcnt vmcnt(0)
	ds_write_b64 v1, v[80:81]
	s_waitcnt lgkmcnt(0)
	; wave barrier
	s_and_saveexec_b64 s[4:5], s[0:1]
	s_cbranch_execz .LBB37_306
; %bb.297:
	s_andn2_b64 vcc, exec, s[6:7]
	s_cbranch_vccnz .LBB37_299
; %bb.298:
	scratch_load_dwordx2 v[80:81], v17, off
	ds_read_b64 v[82:83], v1
	s_waitcnt vmcnt(0) lgkmcnt(0)
	v_mul_f64 v[80:81], v[80:81], v[82:83]
	s_cbranch_execz .LBB37_300
	s_branch .LBB37_301
.LBB37_299:
                                        ; implicit-def: $vgpr80_vgpr81
.LBB37_300:
	ds_read_b64 v[80:81], v1
.LBB37_301:
	s_and_saveexec_b64 s[8:9], s[2:3]
	s_cbranch_execz .LBB37_305
; %bb.302:
	s_mov_b32 s13, 56
	v_add_u32_e32 v82, -7, v0
	s_movk_i32 s14, 0x168
	s_mov_b64 s[2:3], 0
.LBB37_303:                             ; =>This Inner Loop Header: Depth=1
	scratch_load_dwordx2 v[84:85], off, s13
	v_mov_b32_e32 v83, s14
	ds_read_b64 v[86:87], v83
	v_add_u32_e32 v82, -1, v82
	s_add_i32 s14, s14, 8
	s_add_i32 s13, s13, 8
	v_cmp_eq_u32_e32 vcc, 0, v82
	s_or_b64 s[2:3], vcc, s[2:3]
	s_waitcnt vmcnt(0) lgkmcnt(0)
	v_fmac_f64_e32 v[80:81], v[84:85], v[86:87]
	s_andn2_b64 exec, exec, s[2:3]
	s_cbranch_execnz .LBB37_303
; %bb.304:
	s_or_b64 exec, exec, s[2:3]
.LBB37_305:
	s_or_b64 exec, exec, s[8:9]
	v_mov_b32_e32 v82, 0
	ds_read_b64 v[82:83], v82 offset:48
	s_waitcnt lgkmcnt(0)
	v_mul_f64 v[80:81], v[80:81], v[82:83]
	scratch_store_dwordx2 off, v[80:81], off offset:48
.LBB37_306:
	s_or_b64 exec, exec, s[4:5]
	scratch_load_dwordx2 v[80:81], off, off offset:40
	v_cmp_lt_u32_e64 s[2:3], 5, v0
	s_waitcnt vmcnt(0)
	ds_write_b64 v1, v[80:81]
	s_waitcnt lgkmcnt(0)
	; wave barrier
	s_and_saveexec_b64 s[4:5], s[2:3]
	s_cbranch_execz .LBB37_316
; %bb.307:
	s_andn2_b64 vcc, exec, s[6:7]
	s_cbranch_vccnz .LBB37_309
; %bb.308:
	scratch_load_dwordx2 v[80:81], v17, off
	ds_read_b64 v[82:83], v1
	s_waitcnt vmcnt(0) lgkmcnt(0)
	v_mul_f64 v[80:81], v[80:81], v[82:83]
	s_cbranch_execz .LBB37_310
	s_branch .LBB37_311
.LBB37_309:
                                        ; implicit-def: $vgpr80_vgpr81
.LBB37_310:
	ds_read_b64 v[80:81], v1
.LBB37_311:
	s_and_saveexec_b64 s[8:9], s[0:1]
	s_cbranch_execz .LBB37_315
; %bb.312:
	v_add_u32_e32 v82, -6, v0
	s_movk_i32 s13, 0x160
	s_mov_b64 s[0:1], 0
.LBB37_313:                             ; =>This Inner Loop Header: Depth=1
	scratch_load_dwordx2 v[84:85], off, s12
	v_mov_b32_e32 v83, s13
	ds_read_b64 v[86:87], v83
	v_add_u32_e32 v82, -1, v82
	s_add_i32 s13, s13, 8
	s_add_i32 s12, s12, 8
	v_cmp_eq_u32_e32 vcc, 0, v82
	s_or_b64 s[0:1], vcc, s[0:1]
	s_waitcnt vmcnt(0) lgkmcnt(0)
	v_fmac_f64_e32 v[80:81], v[84:85], v[86:87]
	s_andn2_b64 exec, exec, s[0:1]
	s_cbranch_execnz .LBB37_313
; %bb.314:
	s_or_b64 exec, exec, s[0:1]
.LBB37_315:
	s_or_b64 exec, exec, s[8:9]
	v_mov_b32_e32 v82, 0
	ds_read_b64 v[82:83], v82 offset:40
	s_waitcnt lgkmcnt(0)
	v_mul_f64 v[80:81], v[80:81], v[82:83]
	scratch_store_dwordx2 off, v[80:81], off offset:40
.LBB37_316:
	s_or_b64 exec, exec, s[4:5]
	scratch_load_dwordx2 v[80:81], off, off offset:32
	v_cmp_lt_u32_e64 s[0:1], 4, v0
	s_waitcnt vmcnt(0)
	ds_write_b64 v1, v[80:81]
	s_waitcnt lgkmcnt(0)
	; wave barrier
	s_and_saveexec_b64 s[4:5], s[0:1]
	s_cbranch_execz .LBB37_326
; %bb.317:
	s_andn2_b64 vcc, exec, s[6:7]
	s_cbranch_vccnz .LBB37_319
; %bb.318:
	scratch_load_dwordx2 v[80:81], v17, off
	ds_read_b64 v[82:83], v1
	s_waitcnt vmcnt(0) lgkmcnt(0)
	v_mul_f64 v[80:81], v[80:81], v[82:83]
	s_cbranch_execz .LBB37_320
	s_branch .LBB37_321
.LBB37_319:
                                        ; implicit-def: $vgpr80_vgpr81
.LBB37_320:
	ds_read_b64 v[80:81], v1
.LBB37_321:
	s_and_saveexec_b64 s[8:9], s[2:3]
	s_cbranch_execz .LBB37_325
; %bb.322:
	s_mov_b32 s12, 40
	v_add_u32_e32 v82, -5, v0
	s_movk_i32 s13, 0x158
	s_mov_b64 s[2:3], 0
.LBB37_323:                             ; =>This Inner Loop Header: Depth=1
	scratch_load_dwordx2 v[84:85], off, s12
	v_mov_b32_e32 v83, s13
	ds_read_b64 v[86:87], v83
	v_add_u32_e32 v82, -1, v82
	s_add_i32 s13, s13, 8
	s_add_i32 s12, s12, 8
	v_cmp_eq_u32_e32 vcc, 0, v82
	s_or_b64 s[2:3], vcc, s[2:3]
	s_waitcnt vmcnt(0) lgkmcnt(0)
	v_fmac_f64_e32 v[80:81], v[84:85], v[86:87]
	s_andn2_b64 exec, exec, s[2:3]
	s_cbranch_execnz .LBB37_323
; %bb.324:
	s_or_b64 exec, exec, s[2:3]
.LBB37_325:
	s_or_b64 exec, exec, s[8:9]
	v_mov_b32_e32 v82, 0
	ds_read_b64 v[82:83], v82 offset:32
	s_waitcnt lgkmcnt(0)
	v_mul_f64 v[80:81], v[80:81], v[82:83]
	scratch_store_dwordx2 off, v[80:81], off offset:32
.LBB37_326:
	s_or_b64 exec, exec, s[4:5]
	scratch_load_dwordx2 v[80:81], off, off offset:24
	v_cmp_lt_u32_e64 s[2:3], 3, v0
	s_waitcnt vmcnt(0)
	ds_write_b64 v1, v[80:81]
	s_waitcnt lgkmcnt(0)
	; wave barrier
	s_and_saveexec_b64 s[4:5], s[2:3]
	s_cbranch_execz .LBB37_336
; %bb.327:
	s_andn2_b64 vcc, exec, s[6:7]
	s_cbranch_vccnz .LBB37_329
; %bb.328:
	scratch_load_dwordx2 v[80:81], v17, off
	ds_read_b64 v[82:83], v1
	s_waitcnt vmcnt(0) lgkmcnt(0)
	v_mul_f64 v[80:81], v[80:81], v[82:83]
	s_cbranch_execz .LBB37_330
	s_branch .LBB37_331
.LBB37_329:
                                        ; implicit-def: $vgpr80_vgpr81
.LBB37_330:
	ds_read_b64 v[80:81], v1
.LBB37_331:
	s_and_saveexec_b64 s[8:9], s[0:1]
	s_cbranch_execz .LBB37_335
; %bb.332:
	v_add_u32_e32 v82, -4, v0
	s_movk_i32 s12, 0x150
	s_mov_b64 s[0:1], 0
.LBB37_333:                             ; =>This Inner Loop Header: Depth=1
	scratch_load_dwordx2 v[84:85], off, s11
	v_mov_b32_e32 v83, s12
	ds_read_b64 v[86:87], v83
	v_add_u32_e32 v82, -1, v82
	s_add_i32 s12, s12, 8
	s_add_i32 s11, s11, 8
	v_cmp_eq_u32_e32 vcc, 0, v82
	s_or_b64 s[0:1], vcc, s[0:1]
	s_waitcnt vmcnt(0) lgkmcnt(0)
	v_fmac_f64_e32 v[80:81], v[84:85], v[86:87]
	s_andn2_b64 exec, exec, s[0:1]
	s_cbranch_execnz .LBB37_333
; %bb.334:
	s_or_b64 exec, exec, s[0:1]
.LBB37_335:
	s_or_b64 exec, exec, s[8:9]
	v_mov_b32_e32 v82, 0
	ds_read_b64 v[82:83], v82 offset:24
	s_waitcnt lgkmcnt(0)
	v_mul_f64 v[80:81], v[80:81], v[82:83]
	scratch_store_dwordx2 off, v[80:81], off offset:24
.LBB37_336:
	s_or_b64 exec, exec, s[4:5]
	scratch_load_dwordx2 v[80:81], off, off offset:16
	v_cmp_lt_u32_e64 s[0:1], 2, v0
	s_waitcnt vmcnt(0)
	ds_write_b64 v1, v[80:81]
	s_waitcnt lgkmcnt(0)
	; wave barrier
	s_and_saveexec_b64 s[4:5], s[0:1]
	s_cbranch_execz .LBB37_346
; %bb.337:
	s_andn2_b64 vcc, exec, s[6:7]
	s_cbranch_vccnz .LBB37_339
; %bb.338:
	scratch_load_dwordx2 v[80:81], v17, off
	ds_read_b64 v[82:83], v1
	s_waitcnt vmcnt(0) lgkmcnt(0)
	v_mul_f64 v[80:81], v[80:81], v[82:83]
	s_cbranch_execz .LBB37_340
	s_branch .LBB37_341
.LBB37_339:
                                        ; implicit-def: $vgpr80_vgpr81
.LBB37_340:
	ds_read_b64 v[80:81], v1
.LBB37_341:
	s_and_saveexec_b64 s[8:9], s[2:3]
	s_cbranch_execz .LBB37_345
; %bb.342:
	s_mov_b32 s11, 24
	v_add_u32_e32 v82, -3, v0
	s_movk_i32 s12, 0x148
	s_mov_b64 s[2:3], 0
.LBB37_343:                             ; =>This Inner Loop Header: Depth=1
	scratch_load_dwordx2 v[84:85], off, s11
	v_mov_b32_e32 v83, s12
	ds_read_b64 v[86:87], v83
	v_add_u32_e32 v82, -1, v82
	s_add_i32 s12, s12, 8
	s_add_i32 s11, s11, 8
	v_cmp_eq_u32_e32 vcc, 0, v82
	s_or_b64 s[2:3], vcc, s[2:3]
	s_waitcnt vmcnt(0) lgkmcnt(0)
	v_fmac_f64_e32 v[80:81], v[84:85], v[86:87]
	s_andn2_b64 exec, exec, s[2:3]
	s_cbranch_execnz .LBB37_343
; %bb.344:
	s_or_b64 exec, exec, s[2:3]
.LBB37_345:
	s_or_b64 exec, exec, s[8:9]
	v_mov_b32_e32 v82, 0
	ds_read_b64 v[82:83], v82 offset:16
	s_waitcnt lgkmcnt(0)
	v_mul_f64 v[80:81], v[80:81], v[82:83]
	scratch_store_dwordx2 off, v[80:81], off offset:16
.LBB37_346:
	s_or_b64 exec, exec, s[4:5]
	scratch_load_dwordx2 v[80:81], off, off offset:8
	v_cmp_lt_u32_e64 s[2:3], 1, v0
	s_waitcnt vmcnt(0)
	ds_write_b64 v1, v[80:81]
	s_waitcnt lgkmcnt(0)
	; wave barrier
	s_and_saveexec_b64 s[4:5], s[2:3]
	s_cbranch_execz .LBB37_356
; %bb.347:
	s_andn2_b64 vcc, exec, s[6:7]
	s_cbranch_vccnz .LBB37_349
; %bb.348:
	scratch_load_dwordx2 v[80:81], v17, off
	ds_read_b64 v[82:83], v1
	s_waitcnt vmcnt(0) lgkmcnt(0)
	v_mul_f64 v[80:81], v[80:81], v[82:83]
	s_cbranch_execz .LBB37_350
	s_branch .LBB37_351
.LBB37_349:
                                        ; implicit-def: $vgpr80_vgpr81
.LBB37_350:
	ds_read_b64 v[80:81], v1
.LBB37_351:
	s_and_saveexec_b64 s[8:9], s[0:1]
	s_cbranch_execz .LBB37_355
; %bb.352:
	v_add_u32_e32 v82, -2, v0
	s_movk_i32 s11, 0x140
	s_mov_b64 s[0:1], 0
.LBB37_353:                             ; =>This Inner Loop Header: Depth=1
	scratch_load_dwordx2 v[84:85], off, s10
	v_mov_b32_e32 v83, s11
	ds_read_b64 v[86:87], v83
	v_add_u32_e32 v82, -1, v82
	s_add_i32 s11, s11, 8
	s_add_i32 s10, s10, 8
	v_cmp_eq_u32_e32 vcc, 0, v82
	s_or_b64 s[0:1], vcc, s[0:1]
	s_waitcnt vmcnt(0) lgkmcnt(0)
	v_fmac_f64_e32 v[80:81], v[84:85], v[86:87]
	s_andn2_b64 exec, exec, s[0:1]
	s_cbranch_execnz .LBB37_353
; %bb.354:
	s_or_b64 exec, exec, s[0:1]
.LBB37_355:
	s_or_b64 exec, exec, s[8:9]
	v_mov_b32_e32 v82, 0
	ds_read_b64 v[82:83], v82 offset:8
	s_waitcnt lgkmcnt(0)
	v_mul_f64 v[80:81], v[80:81], v[82:83]
	scratch_store_dwordx2 off, v[80:81], off offset:8
.LBB37_356:
	s_or_b64 exec, exec, s[4:5]
	scratch_load_dwordx2 v[80:81], off, off
	v_cmp_ne_u32_e32 vcc, 0, v0
	s_waitcnt vmcnt(0)
	ds_write_b64 v1, v[80:81]
	s_waitcnt lgkmcnt(0)
	; wave barrier
	s_and_saveexec_b64 s[0:1], vcc
	s_cbranch_execz .LBB37_366
; %bb.357:
	s_andn2_b64 vcc, exec, s[6:7]
	s_cbranch_vccnz .LBB37_359
; %bb.358:
	scratch_load_dwordx2 v[80:81], v17, off
	ds_read_b64 v[82:83], v1
	s_waitcnt vmcnt(0) lgkmcnt(0)
	v_mul_f64 v[80:81], v[80:81], v[82:83]
	s_cbranch_execz .LBB37_360
	s_branch .LBB37_361
.LBB37_359:
                                        ; implicit-def: $vgpr80_vgpr81
.LBB37_360:
	ds_read_b64 v[80:81], v1
.LBB37_361:
	s_and_saveexec_b64 s[4:5], s[2:3]
	s_cbranch_execz .LBB37_365
; %bb.362:
	s_or_b32 s8, 0, 8
	v_add_u32_e32 v82, -1, v0
	s_movk_i32 s9, 0x138
	s_mov_b64 s[2:3], 0
.LBB37_363:                             ; =>This Inner Loop Header: Depth=1
	scratch_load_dwordx2 v[84:85], off, s8
	v_mov_b32_e32 v83, s9
	ds_read_b64 v[86:87], v83
	v_add_u32_e32 v82, -1, v82
	s_add_i32 s9, s9, 8
	s_add_i32 s8, s8, 8
	v_cmp_eq_u32_e32 vcc, 0, v82
	s_or_b64 s[2:3], vcc, s[2:3]
	s_waitcnt vmcnt(0) lgkmcnt(0)
	v_fmac_f64_e32 v[80:81], v[84:85], v[86:87]
	s_andn2_b64 exec, exec, s[2:3]
	s_cbranch_execnz .LBB37_363
; %bb.364:
	s_or_b64 exec, exec, s[2:3]
.LBB37_365:
	s_or_b64 exec, exec, s[4:5]
	v_mov_b32_e32 v82, 0
	ds_read_b64 v[82:83], v82
	s_waitcnt lgkmcnt(0)
	v_mul_f64 v[80:81], v[80:81], v[82:83]
	scratch_store_dwordx2 off, v[80:81], off
.LBB37_366:
	s_or_b64 exec, exec, s[0:1]
	s_mov_b64 s[0:1], 0
.LBB37_367:
	s_and_b64 vcc, exec, s[0:1]
	s_cbranch_vccz .LBB37_729
; %bb.368:
	scratch_load_dwordx2 v[80:81], off, off offset:8
	v_cmp_eq_u32_e64 s[2:3], 0, v0
	s_waitcnt vmcnt(0)
	ds_write_b64 v1, v[80:81]
	s_waitcnt lgkmcnt(0)
	; wave barrier
	s_and_saveexec_b64 s[0:1], s[2:3]
	s_cbranch_execz .LBB37_374
; %bb.369:
	s_and_b64 vcc, exec, s[6:7]
	s_cbranch_vccz .LBB37_371
; %bb.370:
	scratch_load_dwordx2 v[80:81], v17, off
	ds_read_b64 v[82:83], v1
	s_waitcnt vmcnt(0) lgkmcnt(0)
	v_mul_f64 v[80:81], v[80:81], v[82:83]
	s_cbranch_execz .LBB37_372
	s_branch .LBB37_373
.LBB37_371:
                                        ; implicit-def: $vgpr80_vgpr81
.LBB37_372:
	ds_read_b64 v[80:81], v1
.LBB37_373:
	v_mov_b32_e32 v82, 0
	ds_read_b64 v[82:83], v82 offset:8
	s_waitcnt lgkmcnt(0)
	v_mul_f64 v[80:81], v[80:81], v[82:83]
	scratch_store_dwordx2 off, v[80:81], off offset:8
.LBB37_374:
	s_or_b64 exec, exec, s[0:1]
	scratch_load_dwordx2 v[80:81], off, off offset:16
	v_cndmask_b32_e64 v82, 0, 1, s[6:7]
	v_cmp_gt_u32_e32 vcc, 2, v0
	v_cmp_ne_u32_e64 s[0:1], 1, v82
	s_waitcnt vmcnt(0)
	ds_write_b64 v1, v[80:81]
	s_waitcnt lgkmcnt(0)
	; wave barrier
	s_and_saveexec_b64 s[4:5], vcc
	s_cbranch_execz .LBB37_380
; %bb.375:
	s_and_b64 vcc, exec, s[0:1]
	s_cbranch_vccnz .LBB37_377
; %bb.376:
	scratch_load_dwordx2 v[80:81], v17, off
	ds_read_b64 v[82:83], v1
	s_waitcnt vmcnt(0) lgkmcnt(0)
	v_mul_f64 v[80:81], v[80:81], v[82:83]
	s_cbranch_execz .LBB37_378
	s_branch .LBB37_379
.LBB37_377:
                                        ; implicit-def: $vgpr80_vgpr81
.LBB37_378:
	ds_read_b64 v[80:81], v1
.LBB37_379:
	scratch_load_dwordx2 v[86:87], off, off offset:8
	v_mov_b32_e32 v82, 0
	ds_read2_b64 v[82:85], v82 offset0:2 offset1:39
	s_waitcnt vmcnt(0) lgkmcnt(0)
	v_fma_f64 v[84:85], v[86:87], v[84:85], v[80:81]
	v_cndmask_b32_e64 v81, v81, v85, s[2:3]
	v_cndmask_b32_e64 v80, v80, v84, s[2:3]
	v_mul_f64 v[80:81], v[80:81], v[82:83]
	scratch_store_dwordx2 off, v[80:81], off offset:16
.LBB37_380:
	s_or_b64 exec, exec, s[4:5]
	scratch_load_dwordx2 v[80:81], off, off offset:24
	v_cmp_gt_u32_e32 vcc, 3, v0
	s_waitcnt vmcnt(0)
	ds_write_b64 v1, v[80:81]
	s_waitcnt lgkmcnt(0)
	; wave barrier
	s_and_saveexec_b64 s[4:5], vcc
	s_cbranch_execz .LBB37_388
; %bb.381:
	s_and_b64 vcc, exec, s[0:1]
	s_cbranch_vccnz .LBB37_383
; %bb.382:
	scratch_load_dwordx2 v[80:81], v17, off
	ds_read_b64 v[82:83], v1
	s_waitcnt vmcnt(0) lgkmcnt(0)
	v_mul_f64 v[80:81], v[80:81], v[82:83]
	s_cbranch_execz .LBB37_384
	s_branch .LBB37_385
.LBB37_383:
                                        ; implicit-def: $vgpr80_vgpr81
.LBB37_384:
	ds_read_b64 v[80:81], v1
.LBB37_385:
	v_cmp_ne_u32_e32 vcc, 2, v0
	s_and_saveexec_b64 s[6:7], vcc
	s_cbranch_execz .LBB37_387
; %bb.386:
	scratch_load_dwordx2 v[82:83], v17, off offset:8
	scratch_load_dwordx2 v[84:85], off, off offset:16
	ds_read_b64 v[86:87], v1 offset:8
	v_mov_b32_e32 v88, 0
	ds_read_b64 v[88:89], v88 offset:320
	s_waitcnt vmcnt(1) lgkmcnt(1)
	v_fmac_f64_e32 v[80:81], v[82:83], v[86:87]
	s_waitcnt vmcnt(0) lgkmcnt(0)
	v_fma_f64 v[82:83], v[84:85], v[88:89], v[80:81]
	v_cndmask_b32_e64 v81, v81, v83, s[2:3]
	v_cndmask_b32_e64 v80, v80, v82, s[2:3]
.LBB37_387:
	s_or_b64 exec, exec, s[6:7]
	v_mov_b32_e32 v82, 0
	ds_read_b64 v[82:83], v82 offset:24
	s_waitcnt lgkmcnt(0)
	v_mul_f64 v[80:81], v[80:81], v[82:83]
	scratch_store_dwordx2 off, v[80:81], off offset:24
.LBB37_388:
	s_or_b64 exec, exec, s[4:5]
	scratch_load_dwordx2 v[80:81], off, off offset:32
	v_cmp_gt_u32_e32 vcc, 4, v0
	s_waitcnt vmcnt(0)
	ds_write_b64 v1, v[80:81]
	s_waitcnt lgkmcnt(0)
	; wave barrier
	s_and_saveexec_b64 s[2:3], vcc
	s_cbranch_execz .LBB37_398
; %bb.389:
	s_and_b64 vcc, exec, s[0:1]
	s_cbranch_vccnz .LBB37_391
; %bb.390:
	scratch_load_dwordx2 v[80:81], v17, off
	ds_read_b64 v[82:83], v1
	s_waitcnt vmcnt(0) lgkmcnt(0)
	v_mul_f64 v[80:81], v[80:81], v[82:83]
	s_cbranch_execz .LBB37_392
	s_branch .LBB37_393
.LBB37_391:
                                        ; implicit-def: $vgpr80_vgpr81
.LBB37_392:
	ds_read_b64 v[80:81], v1
.LBB37_393:
	v_cmp_ne_u32_e32 vcc, 3, v0
	s_and_saveexec_b64 s[4:5], vcc
	s_cbranch_execz .LBB37_397
; %bb.394:
	s_mov_b32 s6, 0
	v_add_u32_e32 v82, 0x138, v16
	v_add3_u32 v83, v16, s6, 8
	s_mov_b64 s[6:7], 0
	v_mov_b32_e32 v84, v0
.LBB37_395:                             ; =>This Inner Loop Header: Depth=1
	scratch_load_dwordx2 v[86:87], v83, off
	ds_read_b64 v[88:89], v82
	v_add_u32_e32 v84, 1, v84
	v_cmp_lt_u32_e32 vcc, 2, v84
	v_add_u32_e32 v82, 8, v82
	v_add_u32_e32 v83, 8, v83
	s_or_b64 s[6:7], vcc, s[6:7]
	s_waitcnt vmcnt(0) lgkmcnt(0)
	v_fmac_f64_e32 v[80:81], v[86:87], v[88:89]
	s_andn2_b64 exec, exec, s[6:7]
	s_cbranch_execnz .LBB37_395
; %bb.396:
	s_or_b64 exec, exec, s[6:7]
.LBB37_397:
	s_or_b64 exec, exec, s[4:5]
	v_mov_b32_e32 v82, 0
	ds_read_b64 v[82:83], v82 offset:32
	s_waitcnt lgkmcnt(0)
	v_mul_f64 v[80:81], v[80:81], v[82:83]
	scratch_store_dwordx2 off, v[80:81], off offset:32
.LBB37_398:
	s_or_b64 exec, exec, s[2:3]
	scratch_load_dwordx2 v[80:81], off, off offset:40
	v_cmp_gt_u32_e32 vcc, 5, v0
	s_waitcnt vmcnt(0)
	ds_write_b64 v1, v[80:81]
	s_waitcnt lgkmcnt(0)
	; wave barrier
	s_and_saveexec_b64 s[2:3], vcc
	s_cbranch_execz .LBB37_408
; %bb.399:
	s_and_b64 vcc, exec, s[0:1]
	s_cbranch_vccnz .LBB37_401
; %bb.400:
	scratch_load_dwordx2 v[80:81], v17, off
	ds_read_b64 v[82:83], v1
	s_waitcnt vmcnt(0) lgkmcnt(0)
	v_mul_f64 v[80:81], v[80:81], v[82:83]
	s_cbranch_execz .LBB37_402
	s_branch .LBB37_403
.LBB37_401:
                                        ; implicit-def: $vgpr80_vgpr81
.LBB37_402:
	ds_read_b64 v[80:81], v1
.LBB37_403:
	v_cmp_ne_u32_e32 vcc, 4, v0
	s_and_saveexec_b64 s[4:5], vcc
	s_cbranch_execz .LBB37_407
; %bb.404:
	s_mov_b32 s6, 0
	v_add_u32_e32 v82, 0x138, v16
	v_add3_u32 v83, v16, s6, 8
	s_mov_b64 s[6:7], 0
	v_mov_b32_e32 v84, v0
.LBB37_405:                             ; =>This Inner Loop Header: Depth=1
	scratch_load_dwordx2 v[86:87], v83, off
	ds_read_b64 v[88:89], v82
	v_add_u32_e32 v84, 1, v84
	v_cmp_lt_u32_e32 vcc, 3, v84
	v_add_u32_e32 v82, 8, v82
	v_add_u32_e32 v83, 8, v83
	s_or_b64 s[6:7], vcc, s[6:7]
	s_waitcnt vmcnt(0) lgkmcnt(0)
	v_fmac_f64_e32 v[80:81], v[86:87], v[88:89]
	s_andn2_b64 exec, exec, s[6:7]
	s_cbranch_execnz .LBB37_405
; %bb.406:
	s_or_b64 exec, exec, s[6:7]
.LBB37_407:
	s_or_b64 exec, exec, s[4:5]
	v_mov_b32_e32 v82, 0
	ds_read_b64 v[82:83], v82 offset:40
	s_waitcnt lgkmcnt(0)
	v_mul_f64 v[80:81], v[80:81], v[82:83]
	scratch_store_dwordx2 off, v[80:81], off offset:40
.LBB37_408:
	;; [unrolled: 55-line block ×32, first 2 shown]
	s_or_b64 exec, exec, s[2:3]
	scratch_load_dwordx2 v[80:81], off, off offset:288
	v_cmp_gt_u32_e64 s[2:3], 36, v0
	s_waitcnt vmcnt(0)
	ds_write_b64 v1, v[80:81]
	s_waitcnt lgkmcnt(0)
	; wave barrier
	s_and_saveexec_b64 s[4:5], s[2:3]
	s_cbranch_execz .LBB37_718
; %bb.709:
	s_and_b64 vcc, exec, s[0:1]
	s_cbranch_vccnz .LBB37_711
; %bb.710:
	scratch_load_dwordx2 v[80:81], v17, off
	ds_read_b64 v[82:83], v1
	s_waitcnt vmcnt(0) lgkmcnt(0)
	v_mul_f64 v[80:81], v[80:81], v[82:83]
	s_cbranch_execz .LBB37_712
	s_branch .LBB37_713
.LBB37_711:
                                        ; implicit-def: $vgpr80_vgpr81
.LBB37_712:
	ds_read_b64 v[80:81], v1
.LBB37_713:
	v_cmp_ne_u32_e32 vcc, 35, v0
	s_and_saveexec_b64 s[6:7], vcc
	s_cbranch_execz .LBB37_717
; %bb.714:
	s_mov_b32 s8, 0
	v_add_u32_e32 v82, 0x138, v16
	v_add3_u32 v83, v16, s8, 8
	s_mov_b64 s[8:9], 0
	v_mov_b32_e32 v84, v0
.LBB37_715:                             ; =>This Inner Loop Header: Depth=1
	scratch_load_dwordx2 v[86:87], v83, off
	ds_read_b64 v[88:89], v82
	v_add_u32_e32 v84, 1, v84
	v_cmp_lt_u32_e32 vcc, 34, v84
	v_add_u32_e32 v82, 8, v82
	v_add_u32_e32 v83, 8, v83
	s_or_b64 s[8:9], vcc, s[8:9]
	s_waitcnt vmcnt(0) lgkmcnt(0)
	v_fmac_f64_e32 v[80:81], v[86:87], v[88:89]
	s_andn2_b64 exec, exec, s[8:9]
	s_cbranch_execnz .LBB37_715
; %bb.716:
	s_or_b64 exec, exec, s[8:9]
.LBB37_717:
	s_or_b64 exec, exec, s[6:7]
	v_mov_b32_e32 v82, 0
	ds_read_b64 v[82:83], v82 offset:288
	s_waitcnt lgkmcnt(0)
	v_mul_f64 v[80:81], v[80:81], v[82:83]
	scratch_store_dwordx2 off, v[80:81], off offset:288
.LBB37_718:
	s_or_b64 exec, exec, s[4:5]
	scratch_load_dwordx2 v[80:81], off, off offset:296
	v_cmp_ne_u32_e32 vcc, 37, v0
	s_waitcnt vmcnt(0)
	ds_write_b64 v1, v[80:81]
	s_waitcnt lgkmcnt(0)
	; wave barrier
	s_and_saveexec_b64 s[4:5], vcc
	s_cbranch_execz .LBB37_728
; %bb.719:
	s_and_b64 vcc, exec, s[0:1]
	s_cbranch_vccnz .LBB37_721
; %bb.720:
	scratch_load_dwordx2 v[80:81], v17, off
	ds_read_b64 v[82:83], v1
	s_waitcnt vmcnt(0) lgkmcnt(0)
	v_mul_f64 v[80:81], v[80:81], v[82:83]
	s_cbranch_execz .LBB37_722
	s_branch .LBB37_723
.LBB37_721:
                                        ; implicit-def: $vgpr80_vgpr81
.LBB37_722:
	ds_read_b64 v[80:81], v1
.LBB37_723:
	s_and_saveexec_b64 s[0:1], s[2:3]
	s_cbranch_execz .LBB37_727
; %bb.724:
	s_mov_b32 s2, 0
	v_add_u32_e32 v1, 0x138, v16
	v_add3_u32 v16, v16, s2, 8
	s_mov_b64 s[2:3], 0
.LBB37_725:                             ; =>This Inner Loop Header: Depth=1
	scratch_load_dwordx2 v[82:83], v16, off
	ds_read_b64 v[84:85], v1
	v_add_u32_e32 v0, 1, v0
	v_cmp_lt_u32_e32 vcc, 35, v0
	v_add_u32_e32 v1, 8, v1
	v_add_u32_e32 v16, 8, v16
	s_or_b64 s[2:3], vcc, s[2:3]
	s_waitcnt vmcnt(0) lgkmcnt(0)
	v_fmac_f64_e32 v[80:81], v[82:83], v[84:85]
	s_andn2_b64 exec, exec, s[2:3]
	s_cbranch_execnz .LBB37_725
; %bb.726:
	s_or_b64 exec, exec, s[2:3]
.LBB37_727:
	s_or_b64 exec, exec, s[0:1]
	v_mov_b32_e32 v0, 0
	ds_read_b64 v[0:1], v0 offset:296
	s_waitcnt lgkmcnt(0)
	v_mul_f64 v[0:1], v[80:81], v[0:1]
	scratch_store_dwordx2 off, v[0:1], off offset:296
.LBB37_728:
	s_or_b64 exec, exec, s[4:5]
.LBB37_729:
	scratch_load_dwordx4 v[80:83], off, off
	s_waitcnt vmcnt(0)
	global_store_dwordx2 v[2:3], v[80:81], off
	global_store_dwordx2 v[4:5], v[82:83], off
	scratch_load_dwordx4 v[0:3], off, off offset:16
	s_waitcnt vmcnt(0)
	global_store_dwordx2 v[6:7], v[0:1], off
	global_store_dwordx2 v[8:9], v[2:3], off
	scratch_load_dwordx4 v[0:3], off, off offset:32
	;; [unrolled: 4-line block ×18, first 2 shown]
	s_waitcnt vmcnt(0)
	global_store_dwordx2 v[66:67], v[0:1], off
	global_store_dwordx2 v[70:71], v[2:3], off
.LBB37_730:
	s_endpgm
	.section	.rodata,"a",@progbits
	.p2align	6, 0x0
	.amdhsa_kernel _ZN9rocsolver6v33100L18trti2_kernel_smallILi38EdPdEEv13rocblas_fill_17rocblas_diagonal_T1_iil
		.amdhsa_group_segment_fixed_size 608
		.amdhsa_private_segment_fixed_size 320
		.amdhsa_kernarg_size 32
		.amdhsa_user_sgpr_count 2
		.amdhsa_user_sgpr_dispatch_ptr 0
		.amdhsa_user_sgpr_queue_ptr 0
		.amdhsa_user_sgpr_kernarg_segment_ptr 1
		.amdhsa_user_sgpr_dispatch_id 0
		.amdhsa_user_sgpr_kernarg_preload_length 0
		.amdhsa_user_sgpr_kernarg_preload_offset 0
		.amdhsa_user_sgpr_private_segment_size 0
		.amdhsa_uses_dynamic_stack 0
		.amdhsa_enable_private_segment 1
		.amdhsa_system_sgpr_workgroup_id_x 1
		.amdhsa_system_sgpr_workgroup_id_y 0
		.amdhsa_system_sgpr_workgroup_id_z 0
		.amdhsa_system_sgpr_workgroup_info 0
		.amdhsa_system_vgpr_workitem_id 0
		.amdhsa_next_free_vgpr 90
		.amdhsa_next_free_sgpr 29
		.amdhsa_accum_offset 92
		.amdhsa_reserve_vcc 1
		.amdhsa_float_round_mode_32 0
		.amdhsa_float_round_mode_16_64 0
		.amdhsa_float_denorm_mode_32 3
		.amdhsa_float_denorm_mode_16_64 3
		.amdhsa_dx10_clamp 1
		.amdhsa_ieee_mode 1
		.amdhsa_fp16_overflow 0
		.amdhsa_tg_split 0
		.amdhsa_exception_fp_ieee_invalid_op 0
		.amdhsa_exception_fp_denorm_src 0
		.amdhsa_exception_fp_ieee_div_zero 0
		.amdhsa_exception_fp_ieee_overflow 0
		.amdhsa_exception_fp_ieee_underflow 0
		.amdhsa_exception_fp_ieee_inexact 0
		.amdhsa_exception_int_div_zero 0
	.end_amdhsa_kernel
	.section	.text._ZN9rocsolver6v33100L18trti2_kernel_smallILi38EdPdEEv13rocblas_fill_17rocblas_diagonal_T1_iil,"axG",@progbits,_ZN9rocsolver6v33100L18trti2_kernel_smallILi38EdPdEEv13rocblas_fill_17rocblas_diagonal_T1_iil,comdat
.Lfunc_end37:
	.size	_ZN9rocsolver6v33100L18trti2_kernel_smallILi38EdPdEEv13rocblas_fill_17rocblas_diagonal_T1_iil, .Lfunc_end37-_ZN9rocsolver6v33100L18trti2_kernel_smallILi38EdPdEEv13rocblas_fill_17rocblas_diagonal_T1_iil
                                        ; -- End function
	.set _ZN9rocsolver6v33100L18trti2_kernel_smallILi38EdPdEEv13rocblas_fill_17rocblas_diagonal_T1_iil.num_vgpr, 90
	.set _ZN9rocsolver6v33100L18trti2_kernel_smallILi38EdPdEEv13rocblas_fill_17rocblas_diagonal_T1_iil.num_agpr, 0
	.set _ZN9rocsolver6v33100L18trti2_kernel_smallILi38EdPdEEv13rocblas_fill_17rocblas_diagonal_T1_iil.numbered_sgpr, 29
	.set _ZN9rocsolver6v33100L18trti2_kernel_smallILi38EdPdEEv13rocblas_fill_17rocblas_diagonal_T1_iil.num_named_barrier, 0
	.set _ZN9rocsolver6v33100L18trti2_kernel_smallILi38EdPdEEv13rocblas_fill_17rocblas_diagonal_T1_iil.private_seg_size, 320
	.set _ZN9rocsolver6v33100L18trti2_kernel_smallILi38EdPdEEv13rocblas_fill_17rocblas_diagonal_T1_iil.uses_vcc, 1
	.set _ZN9rocsolver6v33100L18trti2_kernel_smallILi38EdPdEEv13rocblas_fill_17rocblas_diagonal_T1_iil.uses_flat_scratch, 0
	.set _ZN9rocsolver6v33100L18trti2_kernel_smallILi38EdPdEEv13rocblas_fill_17rocblas_diagonal_T1_iil.has_dyn_sized_stack, 0
	.set _ZN9rocsolver6v33100L18trti2_kernel_smallILi38EdPdEEv13rocblas_fill_17rocblas_diagonal_T1_iil.has_recursion, 0
	.set _ZN9rocsolver6v33100L18trti2_kernel_smallILi38EdPdEEv13rocblas_fill_17rocblas_diagonal_T1_iil.has_indirect_call, 0
	.section	.AMDGPU.csdata,"",@progbits
; Kernel info:
; codeLenInByte = 17984
; TotalNumSgprs: 35
; NumVgprs: 90
; NumAgprs: 0
; TotalNumVgprs: 90
; ScratchSize: 320
; MemoryBound: 0
; FloatMode: 240
; IeeeMode: 1
; LDSByteSize: 608 bytes/workgroup (compile time only)
; SGPRBlocks: 4
; VGPRBlocks: 11
; NumSGPRsForWavesPerEU: 35
; NumVGPRsForWavesPerEU: 90
; AccumOffset: 92
; Occupancy: 5
; WaveLimiterHint : 0
; COMPUTE_PGM_RSRC2:SCRATCH_EN: 1
; COMPUTE_PGM_RSRC2:USER_SGPR: 2
; COMPUTE_PGM_RSRC2:TRAP_HANDLER: 0
; COMPUTE_PGM_RSRC2:TGID_X_EN: 1
; COMPUTE_PGM_RSRC2:TGID_Y_EN: 0
; COMPUTE_PGM_RSRC2:TGID_Z_EN: 0
; COMPUTE_PGM_RSRC2:TIDIG_COMP_CNT: 0
; COMPUTE_PGM_RSRC3_GFX90A:ACCUM_OFFSET: 22
; COMPUTE_PGM_RSRC3_GFX90A:TG_SPLIT: 0
	.section	.text._ZN9rocsolver6v33100L18trti2_kernel_smallILi39EdPdEEv13rocblas_fill_17rocblas_diagonal_T1_iil,"axG",@progbits,_ZN9rocsolver6v33100L18trti2_kernel_smallILi39EdPdEEv13rocblas_fill_17rocblas_diagonal_T1_iil,comdat
	.globl	_ZN9rocsolver6v33100L18trti2_kernel_smallILi39EdPdEEv13rocblas_fill_17rocblas_diagonal_T1_iil ; -- Begin function _ZN9rocsolver6v33100L18trti2_kernel_smallILi39EdPdEEv13rocblas_fill_17rocblas_diagonal_T1_iil
	.p2align	8
	.type	_ZN9rocsolver6v33100L18trti2_kernel_smallILi39EdPdEEv13rocblas_fill_17rocblas_diagonal_T1_iil,@function
_ZN9rocsolver6v33100L18trti2_kernel_smallILi39EdPdEEv13rocblas_fill_17rocblas_diagonal_T1_iil: ; @_ZN9rocsolver6v33100L18trti2_kernel_smallILi39EdPdEEv13rocblas_fill_17rocblas_diagonal_T1_iil
; %bb.0:
	v_cmp_gt_u32_e32 vcc, 39, v0
	s_and_saveexec_b64 s[4:5], vcc
	s_cbranch_execz .LBB38_750
; %bb.1:
	s_load_dwordx8 s[4:11], s[0:1], 0x0
	s_ashr_i32 s3, s2, 31
	v_lshlrev_b32_e32 v10, 3, v0
	v_mov_b32_e32 v11, 0
	s_waitcnt lgkmcnt(0)
	s_ashr_i32 s1, s8, 31
	s_mov_b32 s0, s8
	s_mul_hi_u32 s8, s10, s2
	s_mul_i32 s3, s10, s3
	s_add_i32 s3, s8, s3
	s_mul_i32 s8, s11, s2
	s_add_i32 s3, s3, s8
	s_mul_i32 s2, s10, s2
	s_lshl_b64 s[2:3], s[2:3], 3
	s_add_u32 s2, s6, s2
	s_addc_u32 s3, s7, s3
	s_lshl_b64 s[0:1], s[0:1], 3
	s_add_u32 s0, s2, s0
	s_addc_u32 s1, s3, s1
	v_lshl_add_u64 v[2:3], s[0:1], 0, v[10:11]
	s_ashr_i32 s3, s9, 31
	s_mov_b32 s2, s9
	v_lshl_add_u64 v[4:5], s[2:3], 3, v[2:3]
	global_load_dwordx2 v[6:7], v10, s[0:1]
	global_load_dwordx2 v[8:9], v[4:5], off
	s_add_i32 s2, s9, s9
	s_cmpk_lg_i32 s5, 0x84
	s_cselect_b64 s[6:7], -1, 0
	s_cmpk_eq_i32 s5, 0x84
	s_waitcnt vmcnt(0)
	scratch_store_dwordx4 off, v[6:9], off
	s_nop 1
	v_add_u32_e32 v8, s2, v0
	v_add_u32_e32 v12, s9, v8
	v_ashrrev_i32_e32 v9, 31, v8
	v_ashrrev_i32_e32 v13, 31, v12
	v_lshl_add_u64 v[6:7], v[8:9], 3, s[0:1]
	v_lshl_add_u64 v[8:9], v[12:13], 3, s[0:1]
	global_load_dwordx2 v[14:15], v[6:7], off
	global_load_dwordx2 v[16:17], v[8:9], off
	s_waitcnt vmcnt(0)
	scratch_store_dwordx4 off, v[14:17], off offset:16
	s_nop 1
	v_add_u32_e32 v14, s9, v12
	v_add_u32_e32 v16, s9, v14
	v_ashrrev_i32_e32 v15, 31, v14
	v_ashrrev_i32_e32 v17, 31, v16
	v_lshl_add_u64 v[12:13], v[14:15], 3, s[0:1]
	v_lshl_add_u64 v[14:15], v[16:17], 3, s[0:1]
	global_load_dwordx2 v[18:19], v[12:13], off
	global_load_dwordx2 v[20:21], v[14:15], off
	s_waitcnt vmcnt(0)
	scratch_store_dwordx4 off, v[18:21], off offset:32
	;; [unrolled: 11-line block ×16, first 2 shown]
	s_nop 1
	v_add_u32_e32 v74, s9, v72
	v_add_u32_e32 v76, s9, v74
	v_ashrrev_i32_e32 v75, 31, v74
	v_ashrrev_i32_e32 v77, 31, v76
	v_lshl_add_u64 v[72:73], v[74:75], 3, s[0:1]
	v_lshl_add_u64 v[74:75], v[76:77], 3, s[0:1]
	global_load_dwordx2 v[78:79], v[72:73], off
	global_load_dwordx2 v[80:81], v[74:75], off
	v_add_u32_e32 v76, s9, v76
	v_ashrrev_i32_e32 v77, 31, v76
	s_waitcnt vmcnt(0)
	scratch_store_dwordx4 off, v[78:81], off offset:272
	s_nop 1
	v_lshl_add_u64 v[78:79], v[76:77], 3, s[0:1]
	v_add_u32_e32 v76, s9, v76
	v_ashrrev_i32_e32 v77, 31, v76
	v_lshl_add_u64 v[80:81], v[76:77], 3, s[0:1]
	global_load_dwordx2 v[82:83], v[78:79], off
	global_load_dwordx2 v[84:85], v[80:81], off
	v_add_u32_e32 v76, s9, v76
	v_ashrrev_i32_e32 v77, 31, v76
	v_lshl_add_u64 v[76:77], v[76:77], 3, s[0:1]
	s_waitcnt vmcnt(0)
	scratch_store_dwordx4 off, v[82:85], off offset:288
	global_load_dwordx2 v[82:83], v[76:77], off
	s_waitcnt vmcnt(0)
	scratch_store_dwordx2 off, v[82:83], off offset:304
	v_mov_b64_e32 v[82:83], -1.0
	s_cbranch_scc1 .LBB38_3
; %bb.2:
	scratch_load_dwordx2 v[82:83], v10, off
	s_waitcnt vmcnt(0)
	v_div_scale_f64 v[84:85], s[0:1], v[82:83], v[82:83], 1.0
	v_rcp_f64_e32 v[86:87], v[84:85]
	v_div_scale_f64 v[88:89], vcc, 1.0, v[82:83], 1.0
	v_fma_f64 v[90:91], -v[84:85], v[86:87], 1.0
	v_fmac_f64_e32 v[86:87], v[86:87], v[90:91]
	v_fma_f64 v[90:91], -v[84:85], v[86:87], 1.0
	v_fmac_f64_e32 v[86:87], v[86:87], v[90:91]
	v_mul_f64 v[90:91], v[88:89], v[86:87]
	v_fma_f64 v[84:85], -v[84:85], v[90:91], v[88:89]
	v_div_fmas_f64 v[84:85], v[84:85], v[86:87], v[90:91]
	v_div_fixup_f64 v[82:83], v[84:85], v[82:83], 1.0
	scratch_store_dwordx2 v10, v[82:83], off
	v_xor_b32_e32 v83, 0x80000000, v83
.LBB38_3:
	s_cmpk_eq_i32 s4, 0x79
	v_add_u32_e32 v1, 0x140, v10
	v_mov_b32_e32 v11, v10
	s_mov_b64 s[0:1], -1
	ds_write_b64 v10, v[82:83]
	s_cbranch_scc1 .LBB38_377
; %bb.4:
	scratch_load_dwordx2 v[82:83], off, off offset:296
	s_movk_i32 s8, 0x50
	s_movk_i32 s9, 0x60
	s_movk_i32 s16, 0x70
	s_movk_i32 s17, 0x80
	s_movk_i32 s18, 0x90
	s_movk_i32 s19, 0xa0
	s_movk_i32 s20, 0xb0
	s_movk_i32 s21, 0xc0
	s_movk_i32 s22, 0xd0
	s_movk_i32 s23, 0xe0
	s_movk_i32 s24, 0xf0
	s_movk_i32 s25, 0x100
	s_movk_i32 s26, 0x110
	s_movk_i32 s27, 0x120
	v_cmp_eq_u32_e64 s[0:1], 38, v0
	s_waitcnt vmcnt(0)
	ds_write_b64 v1, v[82:83]
	s_waitcnt lgkmcnt(0)
	; wave barrier
	s_and_saveexec_b64 s[2:3], s[0:1]
	s_cbranch_execz .LBB38_10
; %bb.5:
	s_and_b64 vcc, exec, s[6:7]
	s_cbranch_vccz .LBB38_7
; %bb.6:
	scratch_load_dwordx2 v[82:83], v11, off
	ds_read_b64 v[84:85], v1
	s_waitcnt vmcnt(0) lgkmcnt(0)
	v_mul_f64 v[82:83], v[82:83], v[84:85]
	s_cbranch_execz .LBB38_8
	s_branch .LBB38_9
.LBB38_7:
                                        ; implicit-def: $vgpr82_vgpr83
.LBB38_8:
	ds_read_b64 v[82:83], v1
.LBB38_9:
	v_mov_b32_e32 v84, 0
	ds_read_b64 v[84:85], v84 offset:296
	s_waitcnt lgkmcnt(0)
	v_mul_f64 v[82:83], v[82:83], v[84:85]
	scratch_store_dwordx2 off, v[82:83], off offset:296
.LBB38_10:
	s_or_b64 exec, exec, s[2:3]
	scratch_load_dwordx2 v[82:83], off, off offset:288
	s_mov_b32 s10, 16
	s_mov_b32 s11, 32
	;; [unrolled: 1-line block ×6, first 2 shown]
	v_cmp_lt_u32_e64 s[4:5], 36, v0
	s_waitcnt vmcnt(0)
	ds_write_b64 v1, v[82:83]
	s_waitcnt lgkmcnt(0)
	; wave barrier
	s_and_saveexec_b64 s[2:3], s[4:5]
	s_cbranch_execz .LBB38_16
; %bb.11:
	s_andn2_b64 vcc, exec, s[6:7]
	s_cbranch_vccnz .LBB38_13
; %bb.12:
	scratch_load_dwordx2 v[82:83], v11, off
	ds_read_b64 v[84:85], v1
	s_waitcnt vmcnt(0) lgkmcnt(0)
	v_mul_f64 v[82:83], v[82:83], v[84:85]
	s_cbranch_execz .LBB38_14
	s_branch .LBB38_15
.LBB38_13:
                                        ; implicit-def: $vgpr82_vgpr83
.LBB38_14:
	ds_read_b64 v[82:83], v1
.LBB38_15:
	scratch_load_dwordx2 v[88:89], off, off offset:296
	v_mov_b32_e32 v84, 0
	ds_read2_b64 v[84:87], v84 offset0:36 offset1:77
	s_waitcnt vmcnt(0) lgkmcnt(0)
	v_fma_f64 v[86:87], v[88:89], v[86:87], v[82:83]
	v_cndmask_b32_e64 v83, v83, v87, s[0:1]
	v_cndmask_b32_e64 v82, v82, v86, s[0:1]
	v_mul_f64 v[82:83], v[82:83], v[84:85]
	scratch_store_dwordx2 off, v[82:83], off offset:288
.LBB38_16:
	s_or_b64 exec, exec, s[2:3]
	scratch_load_dwordx2 v[82:83], off, off offset:280
	v_cmp_lt_u32_e64 s[2:3], 35, v0
	s_waitcnt vmcnt(0)
	ds_write_b64 v1, v[82:83]
	s_waitcnt lgkmcnt(0)
	; wave barrier
	s_and_saveexec_b64 s[0:1], s[2:3]
	s_cbranch_execz .LBB38_26
; %bb.17:
	s_andn2_b64 vcc, exec, s[6:7]
	s_cbranch_vccnz .LBB38_19
; %bb.18:
	scratch_load_dwordx2 v[82:83], v11, off
	ds_read_b64 v[84:85], v1
	s_waitcnt vmcnt(0) lgkmcnt(0)
	v_mul_f64 v[82:83], v[82:83], v[84:85]
	s_cbranch_execz .LBB38_20
	s_branch .LBB38_21
.LBB38_19:
                                        ; implicit-def: $vgpr82_vgpr83
.LBB38_20:
	ds_read_b64 v[82:83], v1
.LBB38_21:
	s_and_saveexec_b64 s[8:9], s[4:5]
	s_cbranch_execz .LBB38_25
; %bb.22:
	v_subrev_u32_e32 v84, 36, v0
	s_movk_i32 s28, 0x260
	s_mov_b64 s[4:5], 0
.LBB38_23:                              ; =>This Inner Loop Header: Depth=1
	scratch_load_dwordx2 v[86:87], off, s27
	v_mov_b32_e32 v85, s28
	ds_read_b64 v[88:89], v85
	v_add_u32_e32 v84, -1, v84
	s_add_i32 s28, s28, 8
	s_add_i32 s27, s27, 8
	v_cmp_eq_u32_e32 vcc, 0, v84
	s_or_b64 s[4:5], vcc, s[4:5]
	s_waitcnt vmcnt(0) lgkmcnt(0)
	v_fmac_f64_e32 v[82:83], v[86:87], v[88:89]
	s_andn2_b64 exec, exec, s[4:5]
	s_cbranch_execnz .LBB38_23
; %bb.24:
	s_or_b64 exec, exec, s[4:5]
.LBB38_25:
	s_or_b64 exec, exec, s[8:9]
	v_mov_b32_e32 v84, 0
	ds_read_b64 v[84:85], v84 offset:280
	s_waitcnt lgkmcnt(0)
	v_mul_f64 v[82:83], v[82:83], v[84:85]
	scratch_store_dwordx2 off, v[82:83], off offset:280
.LBB38_26:
	s_or_b64 exec, exec, s[0:1]
	scratch_load_dwordx2 v[82:83], off, off offset:272
	v_cmp_lt_u32_e64 s[0:1], 34, v0
	s_waitcnt vmcnt(0)
	ds_write_b64 v1, v[82:83]
	s_waitcnt lgkmcnt(0)
	; wave barrier
	s_and_saveexec_b64 s[4:5], s[0:1]
	s_cbranch_execz .LBB38_36
; %bb.27:
	s_andn2_b64 vcc, exec, s[6:7]
	s_cbranch_vccnz .LBB38_29
; %bb.28:
	scratch_load_dwordx2 v[82:83], v11, off
	ds_read_b64 v[84:85], v1
	s_waitcnt vmcnt(0) lgkmcnt(0)
	v_mul_f64 v[82:83], v[82:83], v[84:85]
	s_cbranch_execz .LBB38_30
	s_branch .LBB38_31
.LBB38_29:
                                        ; implicit-def: $vgpr82_vgpr83
.LBB38_30:
	ds_read_b64 v[82:83], v1
.LBB38_31:
	s_and_saveexec_b64 s[8:9], s[2:3]
	s_cbranch_execz .LBB38_35
; %bb.32:
	s_movk_i32 s27, 0x118
	v_subrev_u32_e32 v84, 35, v0
	s_movk_i32 s28, 0x258
	s_mov_b64 s[2:3], 0
.LBB38_33:                              ; =>This Inner Loop Header: Depth=1
	scratch_load_dwordx2 v[86:87], off, s27
	v_mov_b32_e32 v85, s28
	ds_read_b64 v[88:89], v85
	v_add_u32_e32 v84, -1, v84
	s_add_i32 s28, s28, 8
	s_add_i32 s27, s27, 8
	v_cmp_eq_u32_e32 vcc, 0, v84
	s_or_b64 s[2:3], vcc, s[2:3]
	s_waitcnt vmcnt(0) lgkmcnt(0)
	v_fmac_f64_e32 v[82:83], v[86:87], v[88:89]
	s_andn2_b64 exec, exec, s[2:3]
	s_cbranch_execnz .LBB38_33
; %bb.34:
	s_or_b64 exec, exec, s[2:3]
.LBB38_35:
	s_or_b64 exec, exec, s[8:9]
	v_mov_b32_e32 v84, 0
	ds_read_b64 v[84:85], v84 offset:272
	s_waitcnt lgkmcnt(0)
	v_mul_f64 v[82:83], v[82:83], v[84:85]
	scratch_store_dwordx2 off, v[82:83], off offset:272
.LBB38_36:
	s_or_b64 exec, exec, s[4:5]
	scratch_load_dwordx2 v[82:83], off, off offset:264
	v_cmp_lt_u32_e64 s[2:3], 33, v0
	s_waitcnt vmcnt(0)
	ds_write_b64 v1, v[82:83]
	s_waitcnt lgkmcnt(0)
	; wave barrier
	s_and_saveexec_b64 s[4:5], s[2:3]
	s_cbranch_execz .LBB38_46
; %bb.37:
	s_andn2_b64 vcc, exec, s[6:7]
	s_cbranch_vccnz .LBB38_39
; %bb.38:
	scratch_load_dwordx2 v[82:83], v11, off
	ds_read_b64 v[84:85], v1
	s_waitcnt vmcnt(0) lgkmcnt(0)
	v_mul_f64 v[82:83], v[82:83], v[84:85]
	s_cbranch_execz .LBB38_40
	s_branch .LBB38_41
.LBB38_39:
                                        ; implicit-def: $vgpr82_vgpr83
.LBB38_40:
	ds_read_b64 v[82:83], v1
.LBB38_41:
	s_and_saveexec_b64 s[8:9], s[0:1]
	s_cbranch_execz .LBB38_45
; %bb.42:
	v_subrev_u32_e32 v84, 34, v0
	s_movk_i32 s27, 0x250
	s_mov_b64 s[0:1], 0
.LBB38_43:                              ; =>This Inner Loop Header: Depth=1
	scratch_load_dwordx2 v[86:87], off, s26
	v_mov_b32_e32 v85, s27
	ds_read_b64 v[88:89], v85
	v_add_u32_e32 v84, -1, v84
	s_add_i32 s27, s27, 8
	s_add_i32 s26, s26, 8
	v_cmp_eq_u32_e32 vcc, 0, v84
	s_or_b64 s[0:1], vcc, s[0:1]
	s_waitcnt vmcnt(0) lgkmcnt(0)
	v_fmac_f64_e32 v[82:83], v[86:87], v[88:89]
	s_andn2_b64 exec, exec, s[0:1]
	s_cbranch_execnz .LBB38_43
; %bb.44:
	s_or_b64 exec, exec, s[0:1]
.LBB38_45:
	s_or_b64 exec, exec, s[8:9]
	v_mov_b32_e32 v84, 0
	ds_read_b64 v[84:85], v84 offset:264
	s_waitcnt lgkmcnt(0)
	v_mul_f64 v[82:83], v[82:83], v[84:85]
	scratch_store_dwordx2 off, v[82:83], off offset:264
.LBB38_46:
	s_or_b64 exec, exec, s[4:5]
	scratch_load_dwordx2 v[82:83], off, off offset:256
	v_cmp_lt_u32_e64 s[0:1], 32, v0
	s_waitcnt vmcnt(0)
	ds_write_b64 v1, v[82:83]
	s_waitcnt lgkmcnt(0)
	; wave barrier
	s_and_saveexec_b64 s[4:5], s[0:1]
	s_cbranch_execz .LBB38_56
; %bb.47:
	s_andn2_b64 vcc, exec, s[6:7]
	s_cbranch_vccnz .LBB38_49
; %bb.48:
	scratch_load_dwordx2 v[82:83], v11, off
	ds_read_b64 v[84:85], v1
	s_waitcnt vmcnt(0) lgkmcnt(0)
	v_mul_f64 v[82:83], v[82:83], v[84:85]
	s_cbranch_execz .LBB38_50
	s_branch .LBB38_51
.LBB38_49:
                                        ; implicit-def: $vgpr82_vgpr83
.LBB38_50:
	ds_read_b64 v[82:83], v1
.LBB38_51:
	s_and_saveexec_b64 s[8:9], s[2:3]
	s_cbranch_execz .LBB38_55
; %bb.52:
	s_movk_i32 s26, 0x108
	v_subrev_u32_e32 v84, 33, v0
	s_movk_i32 s27, 0x248
	s_mov_b64 s[2:3], 0
.LBB38_53:                              ; =>This Inner Loop Header: Depth=1
	scratch_load_dwordx2 v[86:87], off, s26
	v_mov_b32_e32 v85, s27
	ds_read_b64 v[88:89], v85
	v_add_u32_e32 v84, -1, v84
	s_add_i32 s27, s27, 8
	s_add_i32 s26, s26, 8
	v_cmp_eq_u32_e32 vcc, 0, v84
	s_or_b64 s[2:3], vcc, s[2:3]
	s_waitcnt vmcnt(0) lgkmcnt(0)
	v_fmac_f64_e32 v[82:83], v[86:87], v[88:89]
	s_andn2_b64 exec, exec, s[2:3]
	s_cbranch_execnz .LBB38_53
; %bb.54:
	s_or_b64 exec, exec, s[2:3]
.LBB38_55:
	s_or_b64 exec, exec, s[8:9]
	v_mov_b32_e32 v84, 0
	ds_read_b64 v[84:85], v84 offset:256
	s_waitcnt lgkmcnt(0)
	v_mul_f64 v[82:83], v[82:83], v[84:85]
	scratch_store_dwordx2 off, v[82:83], off offset:256
.LBB38_56:
	s_or_b64 exec, exec, s[4:5]
	scratch_load_dwordx2 v[82:83], off, off offset:248
	v_cmp_lt_u32_e64 s[2:3], 31, v0
	s_waitcnt vmcnt(0)
	ds_write_b64 v1, v[82:83]
	s_waitcnt lgkmcnt(0)
	; wave barrier
	s_and_saveexec_b64 s[4:5], s[2:3]
	s_cbranch_execz .LBB38_66
; %bb.57:
	s_andn2_b64 vcc, exec, s[6:7]
	s_cbranch_vccnz .LBB38_59
; %bb.58:
	scratch_load_dwordx2 v[82:83], v11, off
	ds_read_b64 v[84:85], v1
	s_waitcnt vmcnt(0) lgkmcnt(0)
	v_mul_f64 v[82:83], v[82:83], v[84:85]
	s_cbranch_execz .LBB38_60
	s_branch .LBB38_61
.LBB38_59:
                                        ; implicit-def: $vgpr82_vgpr83
.LBB38_60:
	ds_read_b64 v[82:83], v1
.LBB38_61:
	s_and_saveexec_b64 s[8:9], s[0:1]
	s_cbranch_execz .LBB38_65
; %bb.62:
	v_subrev_u32_e32 v84, 32, v0
	s_movk_i32 s26, 0x240
	s_mov_b64 s[0:1], 0
.LBB38_63:                              ; =>This Inner Loop Header: Depth=1
	scratch_load_dwordx2 v[86:87], off, s25
	v_mov_b32_e32 v85, s26
	ds_read_b64 v[88:89], v85
	v_add_u32_e32 v84, -1, v84
	s_add_i32 s26, s26, 8
	s_add_i32 s25, s25, 8
	v_cmp_eq_u32_e32 vcc, 0, v84
	s_or_b64 s[0:1], vcc, s[0:1]
	s_waitcnt vmcnt(0) lgkmcnt(0)
	v_fmac_f64_e32 v[82:83], v[86:87], v[88:89]
	s_andn2_b64 exec, exec, s[0:1]
	s_cbranch_execnz .LBB38_63
; %bb.64:
	s_or_b64 exec, exec, s[0:1]
.LBB38_65:
	s_or_b64 exec, exec, s[8:9]
	v_mov_b32_e32 v84, 0
	ds_read_b64 v[84:85], v84 offset:248
	s_waitcnt lgkmcnt(0)
	v_mul_f64 v[82:83], v[82:83], v[84:85]
	scratch_store_dwordx2 off, v[82:83], off offset:248
.LBB38_66:
	s_or_b64 exec, exec, s[4:5]
	scratch_load_dwordx2 v[82:83], off, off offset:240
	v_cmp_lt_u32_e64 s[0:1], 30, v0
	s_waitcnt vmcnt(0)
	ds_write_b64 v1, v[82:83]
	s_waitcnt lgkmcnt(0)
	; wave barrier
	s_and_saveexec_b64 s[4:5], s[0:1]
	s_cbranch_execz .LBB38_76
; %bb.67:
	s_andn2_b64 vcc, exec, s[6:7]
	s_cbranch_vccnz .LBB38_69
; %bb.68:
	scratch_load_dwordx2 v[82:83], v11, off
	ds_read_b64 v[84:85], v1
	s_waitcnt vmcnt(0) lgkmcnt(0)
	v_mul_f64 v[82:83], v[82:83], v[84:85]
	s_cbranch_execz .LBB38_70
	s_branch .LBB38_71
.LBB38_69:
                                        ; implicit-def: $vgpr82_vgpr83
.LBB38_70:
	ds_read_b64 v[82:83], v1
.LBB38_71:
	s_and_saveexec_b64 s[8:9], s[2:3]
	s_cbranch_execz .LBB38_75
; %bb.72:
	s_movk_i32 s25, 0xf8
	v_subrev_u32_e32 v84, 31, v0
	s_movk_i32 s26, 0x238
	s_mov_b64 s[2:3], 0
.LBB38_73:                              ; =>This Inner Loop Header: Depth=1
	scratch_load_dwordx2 v[86:87], off, s25
	v_mov_b32_e32 v85, s26
	ds_read_b64 v[88:89], v85
	v_add_u32_e32 v84, -1, v84
	s_add_i32 s26, s26, 8
	s_add_i32 s25, s25, 8
	v_cmp_eq_u32_e32 vcc, 0, v84
	s_or_b64 s[2:3], vcc, s[2:3]
	s_waitcnt vmcnt(0) lgkmcnt(0)
	v_fmac_f64_e32 v[82:83], v[86:87], v[88:89]
	s_andn2_b64 exec, exec, s[2:3]
	s_cbranch_execnz .LBB38_73
; %bb.74:
	s_or_b64 exec, exec, s[2:3]
.LBB38_75:
	s_or_b64 exec, exec, s[8:9]
	v_mov_b32_e32 v84, 0
	ds_read_b64 v[84:85], v84 offset:240
	s_waitcnt lgkmcnt(0)
	v_mul_f64 v[82:83], v[82:83], v[84:85]
	scratch_store_dwordx2 off, v[82:83], off offset:240
.LBB38_76:
	s_or_b64 exec, exec, s[4:5]
	scratch_load_dwordx2 v[82:83], off, off offset:232
	v_cmp_lt_u32_e64 s[2:3], 29, v0
	s_waitcnt vmcnt(0)
	ds_write_b64 v1, v[82:83]
	s_waitcnt lgkmcnt(0)
	; wave barrier
	s_and_saveexec_b64 s[4:5], s[2:3]
	s_cbranch_execz .LBB38_86
; %bb.77:
	s_andn2_b64 vcc, exec, s[6:7]
	s_cbranch_vccnz .LBB38_79
; %bb.78:
	scratch_load_dwordx2 v[82:83], v11, off
	ds_read_b64 v[84:85], v1
	s_waitcnt vmcnt(0) lgkmcnt(0)
	v_mul_f64 v[82:83], v[82:83], v[84:85]
	s_cbranch_execz .LBB38_80
	s_branch .LBB38_81
.LBB38_79:
                                        ; implicit-def: $vgpr82_vgpr83
.LBB38_80:
	ds_read_b64 v[82:83], v1
.LBB38_81:
	s_and_saveexec_b64 s[8:9], s[0:1]
	s_cbranch_execz .LBB38_85
; %bb.82:
	v_subrev_u32_e32 v84, 30, v0
	s_movk_i32 s25, 0x230
	s_mov_b64 s[0:1], 0
.LBB38_83:                              ; =>This Inner Loop Header: Depth=1
	scratch_load_dwordx2 v[86:87], off, s24
	v_mov_b32_e32 v85, s25
	ds_read_b64 v[88:89], v85
	v_add_u32_e32 v84, -1, v84
	s_add_i32 s25, s25, 8
	s_add_i32 s24, s24, 8
	v_cmp_eq_u32_e32 vcc, 0, v84
	s_or_b64 s[0:1], vcc, s[0:1]
	s_waitcnt vmcnt(0) lgkmcnt(0)
	v_fmac_f64_e32 v[82:83], v[86:87], v[88:89]
	s_andn2_b64 exec, exec, s[0:1]
	s_cbranch_execnz .LBB38_83
; %bb.84:
	s_or_b64 exec, exec, s[0:1]
.LBB38_85:
	s_or_b64 exec, exec, s[8:9]
	v_mov_b32_e32 v84, 0
	ds_read_b64 v[84:85], v84 offset:232
	s_waitcnt lgkmcnt(0)
	v_mul_f64 v[82:83], v[82:83], v[84:85]
	scratch_store_dwordx2 off, v[82:83], off offset:232
.LBB38_86:
	s_or_b64 exec, exec, s[4:5]
	scratch_load_dwordx2 v[82:83], off, off offset:224
	v_cmp_lt_u32_e64 s[0:1], 28, v0
	s_waitcnt vmcnt(0)
	ds_write_b64 v1, v[82:83]
	s_waitcnt lgkmcnt(0)
	; wave barrier
	s_and_saveexec_b64 s[4:5], s[0:1]
	s_cbranch_execz .LBB38_96
; %bb.87:
	s_andn2_b64 vcc, exec, s[6:7]
	s_cbranch_vccnz .LBB38_89
; %bb.88:
	scratch_load_dwordx2 v[82:83], v11, off
	ds_read_b64 v[84:85], v1
	s_waitcnt vmcnt(0) lgkmcnt(0)
	v_mul_f64 v[82:83], v[82:83], v[84:85]
	s_cbranch_execz .LBB38_90
	s_branch .LBB38_91
.LBB38_89:
                                        ; implicit-def: $vgpr82_vgpr83
.LBB38_90:
	ds_read_b64 v[82:83], v1
.LBB38_91:
	s_and_saveexec_b64 s[8:9], s[2:3]
	s_cbranch_execz .LBB38_95
; %bb.92:
	s_movk_i32 s24, 0xe8
	v_subrev_u32_e32 v84, 29, v0
	s_movk_i32 s25, 0x228
	s_mov_b64 s[2:3], 0
.LBB38_93:                              ; =>This Inner Loop Header: Depth=1
	scratch_load_dwordx2 v[86:87], off, s24
	v_mov_b32_e32 v85, s25
	ds_read_b64 v[88:89], v85
	v_add_u32_e32 v84, -1, v84
	s_add_i32 s25, s25, 8
	s_add_i32 s24, s24, 8
	v_cmp_eq_u32_e32 vcc, 0, v84
	s_or_b64 s[2:3], vcc, s[2:3]
	s_waitcnt vmcnt(0) lgkmcnt(0)
	v_fmac_f64_e32 v[82:83], v[86:87], v[88:89]
	s_andn2_b64 exec, exec, s[2:3]
	s_cbranch_execnz .LBB38_93
; %bb.94:
	s_or_b64 exec, exec, s[2:3]
.LBB38_95:
	s_or_b64 exec, exec, s[8:9]
	v_mov_b32_e32 v84, 0
	ds_read_b64 v[84:85], v84 offset:224
	s_waitcnt lgkmcnt(0)
	v_mul_f64 v[82:83], v[82:83], v[84:85]
	scratch_store_dwordx2 off, v[82:83], off offset:224
.LBB38_96:
	s_or_b64 exec, exec, s[4:5]
	scratch_load_dwordx2 v[82:83], off, off offset:216
	v_cmp_lt_u32_e64 s[2:3], 27, v0
	s_waitcnt vmcnt(0)
	ds_write_b64 v1, v[82:83]
	s_waitcnt lgkmcnt(0)
	; wave barrier
	s_and_saveexec_b64 s[4:5], s[2:3]
	s_cbranch_execz .LBB38_106
; %bb.97:
	s_andn2_b64 vcc, exec, s[6:7]
	s_cbranch_vccnz .LBB38_99
; %bb.98:
	scratch_load_dwordx2 v[82:83], v11, off
	ds_read_b64 v[84:85], v1
	s_waitcnt vmcnt(0) lgkmcnt(0)
	v_mul_f64 v[82:83], v[82:83], v[84:85]
	s_cbranch_execz .LBB38_100
	s_branch .LBB38_101
.LBB38_99:
                                        ; implicit-def: $vgpr82_vgpr83
.LBB38_100:
	ds_read_b64 v[82:83], v1
.LBB38_101:
	s_and_saveexec_b64 s[8:9], s[0:1]
	s_cbranch_execz .LBB38_105
; %bb.102:
	v_subrev_u32_e32 v84, 28, v0
	s_movk_i32 s24, 0x220
	s_mov_b64 s[0:1], 0
.LBB38_103:                             ; =>This Inner Loop Header: Depth=1
	scratch_load_dwordx2 v[86:87], off, s23
	v_mov_b32_e32 v85, s24
	ds_read_b64 v[88:89], v85
	v_add_u32_e32 v84, -1, v84
	s_add_i32 s24, s24, 8
	s_add_i32 s23, s23, 8
	v_cmp_eq_u32_e32 vcc, 0, v84
	s_or_b64 s[0:1], vcc, s[0:1]
	s_waitcnt vmcnt(0) lgkmcnt(0)
	v_fmac_f64_e32 v[82:83], v[86:87], v[88:89]
	s_andn2_b64 exec, exec, s[0:1]
	s_cbranch_execnz .LBB38_103
; %bb.104:
	s_or_b64 exec, exec, s[0:1]
.LBB38_105:
	s_or_b64 exec, exec, s[8:9]
	v_mov_b32_e32 v84, 0
	ds_read_b64 v[84:85], v84 offset:216
	s_waitcnt lgkmcnt(0)
	v_mul_f64 v[82:83], v[82:83], v[84:85]
	scratch_store_dwordx2 off, v[82:83], off offset:216
.LBB38_106:
	s_or_b64 exec, exec, s[4:5]
	scratch_load_dwordx2 v[82:83], off, off offset:208
	v_cmp_lt_u32_e64 s[0:1], 26, v0
	s_waitcnt vmcnt(0)
	ds_write_b64 v1, v[82:83]
	s_waitcnt lgkmcnt(0)
	; wave barrier
	s_and_saveexec_b64 s[4:5], s[0:1]
	s_cbranch_execz .LBB38_116
; %bb.107:
	s_andn2_b64 vcc, exec, s[6:7]
	s_cbranch_vccnz .LBB38_109
; %bb.108:
	scratch_load_dwordx2 v[82:83], v11, off
	ds_read_b64 v[84:85], v1
	s_waitcnt vmcnt(0) lgkmcnt(0)
	v_mul_f64 v[82:83], v[82:83], v[84:85]
	s_cbranch_execz .LBB38_110
	s_branch .LBB38_111
.LBB38_109:
                                        ; implicit-def: $vgpr82_vgpr83
.LBB38_110:
	ds_read_b64 v[82:83], v1
.LBB38_111:
	s_and_saveexec_b64 s[8:9], s[2:3]
	s_cbranch_execz .LBB38_115
; %bb.112:
	s_movk_i32 s23, 0xd8
	v_subrev_u32_e32 v84, 27, v0
	s_movk_i32 s24, 0x218
	s_mov_b64 s[2:3], 0
.LBB38_113:                             ; =>This Inner Loop Header: Depth=1
	scratch_load_dwordx2 v[86:87], off, s23
	v_mov_b32_e32 v85, s24
	ds_read_b64 v[88:89], v85
	v_add_u32_e32 v84, -1, v84
	s_add_i32 s24, s24, 8
	s_add_i32 s23, s23, 8
	v_cmp_eq_u32_e32 vcc, 0, v84
	s_or_b64 s[2:3], vcc, s[2:3]
	s_waitcnt vmcnt(0) lgkmcnt(0)
	v_fmac_f64_e32 v[82:83], v[86:87], v[88:89]
	s_andn2_b64 exec, exec, s[2:3]
	s_cbranch_execnz .LBB38_113
; %bb.114:
	s_or_b64 exec, exec, s[2:3]
.LBB38_115:
	s_or_b64 exec, exec, s[8:9]
	v_mov_b32_e32 v84, 0
	ds_read_b64 v[84:85], v84 offset:208
	s_waitcnt lgkmcnt(0)
	v_mul_f64 v[82:83], v[82:83], v[84:85]
	scratch_store_dwordx2 off, v[82:83], off offset:208
.LBB38_116:
	s_or_b64 exec, exec, s[4:5]
	scratch_load_dwordx2 v[82:83], off, off offset:200
	v_cmp_lt_u32_e64 s[2:3], 25, v0
	s_waitcnt vmcnt(0)
	ds_write_b64 v1, v[82:83]
	s_waitcnt lgkmcnt(0)
	; wave barrier
	s_and_saveexec_b64 s[4:5], s[2:3]
	s_cbranch_execz .LBB38_126
; %bb.117:
	s_andn2_b64 vcc, exec, s[6:7]
	s_cbranch_vccnz .LBB38_119
; %bb.118:
	scratch_load_dwordx2 v[82:83], v11, off
	ds_read_b64 v[84:85], v1
	s_waitcnt vmcnt(0) lgkmcnt(0)
	v_mul_f64 v[82:83], v[82:83], v[84:85]
	s_cbranch_execz .LBB38_120
	s_branch .LBB38_121
.LBB38_119:
                                        ; implicit-def: $vgpr82_vgpr83
.LBB38_120:
	ds_read_b64 v[82:83], v1
.LBB38_121:
	s_and_saveexec_b64 s[8:9], s[0:1]
	s_cbranch_execz .LBB38_125
; %bb.122:
	v_subrev_u32_e32 v84, 26, v0
	s_movk_i32 s23, 0x210
	s_mov_b64 s[0:1], 0
.LBB38_123:                             ; =>This Inner Loop Header: Depth=1
	scratch_load_dwordx2 v[86:87], off, s22
	v_mov_b32_e32 v85, s23
	ds_read_b64 v[88:89], v85
	v_add_u32_e32 v84, -1, v84
	s_add_i32 s23, s23, 8
	s_add_i32 s22, s22, 8
	v_cmp_eq_u32_e32 vcc, 0, v84
	s_or_b64 s[0:1], vcc, s[0:1]
	s_waitcnt vmcnt(0) lgkmcnt(0)
	v_fmac_f64_e32 v[82:83], v[86:87], v[88:89]
	s_andn2_b64 exec, exec, s[0:1]
	s_cbranch_execnz .LBB38_123
; %bb.124:
	s_or_b64 exec, exec, s[0:1]
.LBB38_125:
	s_or_b64 exec, exec, s[8:9]
	v_mov_b32_e32 v84, 0
	ds_read_b64 v[84:85], v84 offset:200
	s_waitcnt lgkmcnt(0)
	v_mul_f64 v[82:83], v[82:83], v[84:85]
	scratch_store_dwordx2 off, v[82:83], off offset:200
.LBB38_126:
	s_or_b64 exec, exec, s[4:5]
	scratch_load_dwordx2 v[82:83], off, off offset:192
	v_cmp_lt_u32_e64 s[0:1], 24, v0
	s_waitcnt vmcnt(0)
	ds_write_b64 v1, v[82:83]
	s_waitcnt lgkmcnt(0)
	; wave barrier
	s_and_saveexec_b64 s[4:5], s[0:1]
	s_cbranch_execz .LBB38_136
; %bb.127:
	s_andn2_b64 vcc, exec, s[6:7]
	s_cbranch_vccnz .LBB38_129
; %bb.128:
	scratch_load_dwordx2 v[82:83], v11, off
	ds_read_b64 v[84:85], v1
	s_waitcnt vmcnt(0) lgkmcnt(0)
	v_mul_f64 v[82:83], v[82:83], v[84:85]
	s_cbranch_execz .LBB38_130
	s_branch .LBB38_131
.LBB38_129:
                                        ; implicit-def: $vgpr82_vgpr83
.LBB38_130:
	ds_read_b64 v[82:83], v1
.LBB38_131:
	s_and_saveexec_b64 s[8:9], s[2:3]
	s_cbranch_execz .LBB38_135
; %bb.132:
	s_movk_i32 s22, 0xc8
	v_subrev_u32_e32 v84, 25, v0
	s_movk_i32 s23, 0x208
	s_mov_b64 s[2:3], 0
.LBB38_133:                             ; =>This Inner Loop Header: Depth=1
	scratch_load_dwordx2 v[86:87], off, s22
	v_mov_b32_e32 v85, s23
	ds_read_b64 v[88:89], v85
	v_add_u32_e32 v84, -1, v84
	s_add_i32 s23, s23, 8
	s_add_i32 s22, s22, 8
	v_cmp_eq_u32_e32 vcc, 0, v84
	s_or_b64 s[2:3], vcc, s[2:3]
	s_waitcnt vmcnt(0) lgkmcnt(0)
	v_fmac_f64_e32 v[82:83], v[86:87], v[88:89]
	s_andn2_b64 exec, exec, s[2:3]
	s_cbranch_execnz .LBB38_133
; %bb.134:
	s_or_b64 exec, exec, s[2:3]
.LBB38_135:
	s_or_b64 exec, exec, s[8:9]
	v_mov_b32_e32 v84, 0
	ds_read_b64 v[84:85], v84 offset:192
	s_waitcnt lgkmcnt(0)
	v_mul_f64 v[82:83], v[82:83], v[84:85]
	scratch_store_dwordx2 off, v[82:83], off offset:192
.LBB38_136:
	s_or_b64 exec, exec, s[4:5]
	scratch_load_dwordx2 v[82:83], off, off offset:184
	v_cmp_lt_u32_e64 s[2:3], 23, v0
	s_waitcnt vmcnt(0)
	ds_write_b64 v1, v[82:83]
	s_waitcnt lgkmcnt(0)
	; wave barrier
	s_and_saveexec_b64 s[4:5], s[2:3]
	s_cbranch_execz .LBB38_146
; %bb.137:
	s_andn2_b64 vcc, exec, s[6:7]
	s_cbranch_vccnz .LBB38_139
; %bb.138:
	scratch_load_dwordx2 v[82:83], v11, off
	ds_read_b64 v[84:85], v1
	s_waitcnt vmcnt(0) lgkmcnt(0)
	v_mul_f64 v[82:83], v[82:83], v[84:85]
	s_cbranch_execz .LBB38_140
	s_branch .LBB38_141
.LBB38_139:
                                        ; implicit-def: $vgpr82_vgpr83
.LBB38_140:
	ds_read_b64 v[82:83], v1
.LBB38_141:
	s_and_saveexec_b64 s[8:9], s[0:1]
	s_cbranch_execz .LBB38_145
; %bb.142:
	v_subrev_u32_e32 v84, 24, v0
	s_movk_i32 s22, 0x200
	s_mov_b64 s[0:1], 0
.LBB38_143:                             ; =>This Inner Loop Header: Depth=1
	scratch_load_dwordx2 v[86:87], off, s21
	v_mov_b32_e32 v85, s22
	ds_read_b64 v[88:89], v85
	v_add_u32_e32 v84, -1, v84
	s_add_i32 s22, s22, 8
	s_add_i32 s21, s21, 8
	v_cmp_eq_u32_e32 vcc, 0, v84
	s_or_b64 s[0:1], vcc, s[0:1]
	s_waitcnt vmcnt(0) lgkmcnt(0)
	v_fmac_f64_e32 v[82:83], v[86:87], v[88:89]
	s_andn2_b64 exec, exec, s[0:1]
	s_cbranch_execnz .LBB38_143
; %bb.144:
	s_or_b64 exec, exec, s[0:1]
.LBB38_145:
	s_or_b64 exec, exec, s[8:9]
	v_mov_b32_e32 v84, 0
	ds_read_b64 v[84:85], v84 offset:184
	s_waitcnt lgkmcnt(0)
	v_mul_f64 v[82:83], v[82:83], v[84:85]
	scratch_store_dwordx2 off, v[82:83], off offset:184
.LBB38_146:
	s_or_b64 exec, exec, s[4:5]
	scratch_load_dwordx2 v[82:83], off, off offset:176
	v_cmp_lt_u32_e64 s[0:1], 22, v0
	s_waitcnt vmcnt(0)
	ds_write_b64 v1, v[82:83]
	s_waitcnt lgkmcnt(0)
	; wave barrier
	s_and_saveexec_b64 s[4:5], s[0:1]
	s_cbranch_execz .LBB38_156
; %bb.147:
	s_andn2_b64 vcc, exec, s[6:7]
	s_cbranch_vccnz .LBB38_149
; %bb.148:
	scratch_load_dwordx2 v[82:83], v11, off
	ds_read_b64 v[84:85], v1
	s_waitcnt vmcnt(0) lgkmcnt(0)
	v_mul_f64 v[82:83], v[82:83], v[84:85]
	s_cbranch_execz .LBB38_150
	s_branch .LBB38_151
.LBB38_149:
                                        ; implicit-def: $vgpr82_vgpr83
.LBB38_150:
	ds_read_b64 v[82:83], v1
.LBB38_151:
	s_and_saveexec_b64 s[8:9], s[2:3]
	s_cbranch_execz .LBB38_155
; %bb.152:
	s_movk_i32 s21, 0xb8
	v_subrev_u32_e32 v84, 23, v0
	s_movk_i32 s22, 0x1f8
	s_mov_b64 s[2:3], 0
.LBB38_153:                             ; =>This Inner Loop Header: Depth=1
	scratch_load_dwordx2 v[86:87], off, s21
	v_mov_b32_e32 v85, s22
	ds_read_b64 v[88:89], v85
	v_add_u32_e32 v84, -1, v84
	s_add_i32 s22, s22, 8
	s_add_i32 s21, s21, 8
	v_cmp_eq_u32_e32 vcc, 0, v84
	s_or_b64 s[2:3], vcc, s[2:3]
	s_waitcnt vmcnt(0) lgkmcnt(0)
	v_fmac_f64_e32 v[82:83], v[86:87], v[88:89]
	s_andn2_b64 exec, exec, s[2:3]
	s_cbranch_execnz .LBB38_153
; %bb.154:
	s_or_b64 exec, exec, s[2:3]
.LBB38_155:
	s_or_b64 exec, exec, s[8:9]
	v_mov_b32_e32 v84, 0
	ds_read_b64 v[84:85], v84 offset:176
	s_waitcnt lgkmcnt(0)
	v_mul_f64 v[82:83], v[82:83], v[84:85]
	scratch_store_dwordx2 off, v[82:83], off offset:176
.LBB38_156:
	s_or_b64 exec, exec, s[4:5]
	scratch_load_dwordx2 v[82:83], off, off offset:168
	v_cmp_lt_u32_e64 s[2:3], 21, v0
	s_waitcnt vmcnt(0)
	ds_write_b64 v1, v[82:83]
	s_waitcnt lgkmcnt(0)
	; wave barrier
	s_and_saveexec_b64 s[4:5], s[2:3]
	s_cbranch_execz .LBB38_166
; %bb.157:
	s_andn2_b64 vcc, exec, s[6:7]
	s_cbranch_vccnz .LBB38_159
; %bb.158:
	scratch_load_dwordx2 v[82:83], v11, off
	ds_read_b64 v[84:85], v1
	s_waitcnt vmcnt(0) lgkmcnt(0)
	v_mul_f64 v[82:83], v[82:83], v[84:85]
	s_cbranch_execz .LBB38_160
	s_branch .LBB38_161
.LBB38_159:
                                        ; implicit-def: $vgpr82_vgpr83
.LBB38_160:
	ds_read_b64 v[82:83], v1
.LBB38_161:
	s_and_saveexec_b64 s[8:9], s[0:1]
	s_cbranch_execz .LBB38_165
; %bb.162:
	v_subrev_u32_e32 v84, 22, v0
	s_movk_i32 s21, 0x1f0
	s_mov_b64 s[0:1], 0
.LBB38_163:                             ; =>This Inner Loop Header: Depth=1
	scratch_load_dwordx2 v[86:87], off, s20
	v_mov_b32_e32 v85, s21
	ds_read_b64 v[88:89], v85
	v_add_u32_e32 v84, -1, v84
	s_add_i32 s21, s21, 8
	s_add_i32 s20, s20, 8
	v_cmp_eq_u32_e32 vcc, 0, v84
	s_or_b64 s[0:1], vcc, s[0:1]
	s_waitcnt vmcnt(0) lgkmcnt(0)
	v_fmac_f64_e32 v[82:83], v[86:87], v[88:89]
	s_andn2_b64 exec, exec, s[0:1]
	s_cbranch_execnz .LBB38_163
; %bb.164:
	s_or_b64 exec, exec, s[0:1]
.LBB38_165:
	s_or_b64 exec, exec, s[8:9]
	v_mov_b32_e32 v84, 0
	ds_read_b64 v[84:85], v84 offset:168
	s_waitcnt lgkmcnt(0)
	v_mul_f64 v[82:83], v[82:83], v[84:85]
	scratch_store_dwordx2 off, v[82:83], off offset:168
.LBB38_166:
	s_or_b64 exec, exec, s[4:5]
	scratch_load_dwordx2 v[82:83], off, off offset:160
	v_cmp_lt_u32_e64 s[0:1], 20, v0
	s_waitcnt vmcnt(0)
	ds_write_b64 v1, v[82:83]
	s_waitcnt lgkmcnt(0)
	; wave barrier
	s_and_saveexec_b64 s[4:5], s[0:1]
	s_cbranch_execz .LBB38_176
; %bb.167:
	s_andn2_b64 vcc, exec, s[6:7]
	s_cbranch_vccnz .LBB38_169
; %bb.168:
	scratch_load_dwordx2 v[82:83], v11, off
	ds_read_b64 v[84:85], v1
	s_waitcnt vmcnt(0) lgkmcnt(0)
	v_mul_f64 v[82:83], v[82:83], v[84:85]
	s_cbranch_execz .LBB38_170
	s_branch .LBB38_171
.LBB38_169:
                                        ; implicit-def: $vgpr82_vgpr83
.LBB38_170:
	ds_read_b64 v[82:83], v1
.LBB38_171:
	s_and_saveexec_b64 s[8:9], s[2:3]
	s_cbranch_execz .LBB38_175
; %bb.172:
	s_movk_i32 s20, 0xa8
	v_subrev_u32_e32 v84, 21, v0
	s_movk_i32 s21, 0x1e8
	s_mov_b64 s[2:3], 0
.LBB38_173:                             ; =>This Inner Loop Header: Depth=1
	scratch_load_dwordx2 v[86:87], off, s20
	v_mov_b32_e32 v85, s21
	ds_read_b64 v[88:89], v85
	v_add_u32_e32 v84, -1, v84
	s_add_i32 s21, s21, 8
	s_add_i32 s20, s20, 8
	v_cmp_eq_u32_e32 vcc, 0, v84
	s_or_b64 s[2:3], vcc, s[2:3]
	s_waitcnt vmcnt(0) lgkmcnt(0)
	v_fmac_f64_e32 v[82:83], v[86:87], v[88:89]
	s_andn2_b64 exec, exec, s[2:3]
	s_cbranch_execnz .LBB38_173
; %bb.174:
	s_or_b64 exec, exec, s[2:3]
.LBB38_175:
	s_or_b64 exec, exec, s[8:9]
	v_mov_b32_e32 v84, 0
	ds_read_b64 v[84:85], v84 offset:160
	s_waitcnt lgkmcnt(0)
	v_mul_f64 v[82:83], v[82:83], v[84:85]
	scratch_store_dwordx2 off, v[82:83], off offset:160
.LBB38_176:
	s_or_b64 exec, exec, s[4:5]
	scratch_load_dwordx2 v[82:83], off, off offset:152
	v_cmp_lt_u32_e64 s[2:3], 19, v0
	s_waitcnt vmcnt(0)
	ds_write_b64 v1, v[82:83]
	s_waitcnt lgkmcnt(0)
	; wave barrier
	s_and_saveexec_b64 s[4:5], s[2:3]
	s_cbranch_execz .LBB38_186
; %bb.177:
	s_andn2_b64 vcc, exec, s[6:7]
	s_cbranch_vccnz .LBB38_179
; %bb.178:
	scratch_load_dwordx2 v[82:83], v11, off
	ds_read_b64 v[84:85], v1
	s_waitcnt vmcnt(0) lgkmcnt(0)
	v_mul_f64 v[82:83], v[82:83], v[84:85]
	s_cbranch_execz .LBB38_180
	s_branch .LBB38_181
.LBB38_179:
                                        ; implicit-def: $vgpr82_vgpr83
.LBB38_180:
	ds_read_b64 v[82:83], v1
.LBB38_181:
	s_and_saveexec_b64 s[8:9], s[0:1]
	s_cbranch_execz .LBB38_185
; %bb.182:
	v_subrev_u32_e32 v84, 20, v0
	s_movk_i32 s20, 0x1e0
	s_mov_b64 s[0:1], 0
.LBB38_183:                             ; =>This Inner Loop Header: Depth=1
	scratch_load_dwordx2 v[86:87], off, s19
	v_mov_b32_e32 v85, s20
	ds_read_b64 v[88:89], v85
	v_add_u32_e32 v84, -1, v84
	s_add_i32 s20, s20, 8
	s_add_i32 s19, s19, 8
	v_cmp_eq_u32_e32 vcc, 0, v84
	s_or_b64 s[0:1], vcc, s[0:1]
	s_waitcnt vmcnt(0) lgkmcnt(0)
	v_fmac_f64_e32 v[82:83], v[86:87], v[88:89]
	s_andn2_b64 exec, exec, s[0:1]
	s_cbranch_execnz .LBB38_183
; %bb.184:
	s_or_b64 exec, exec, s[0:1]
.LBB38_185:
	s_or_b64 exec, exec, s[8:9]
	v_mov_b32_e32 v84, 0
	ds_read_b64 v[84:85], v84 offset:152
	s_waitcnt lgkmcnt(0)
	v_mul_f64 v[82:83], v[82:83], v[84:85]
	scratch_store_dwordx2 off, v[82:83], off offset:152
.LBB38_186:
	s_or_b64 exec, exec, s[4:5]
	scratch_load_dwordx2 v[82:83], off, off offset:144
	v_cmp_lt_u32_e64 s[0:1], 18, v0
	s_waitcnt vmcnt(0)
	ds_write_b64 v1, v[82:83]
	s_waitcnt lgkmcnt(0)
	; wave barrier
	s_and_saveexec_b64 s[4:5], s[0:1]
	s_cbranch_execz .LBB38_196
; %bb.187:
	s_andn2_b64 vcc, exec, s[6:7]
	s_cbranch_vccnz .LBB38_189
; %bb.188:
	scratch_load_dwordx2 v[82:83], v11, off
	ds_read_b64 v[84:85], v1
	s_waitcnt vmcnt(0) lgkmcnt(0)
	v_mul_f64 v[82:83], v[82:83], v[84:85]
	s_cbranch_execz .LBB38_190
	s_branch .LBB38_191
.LBB38_189:
                                        ; implicit-def: $vgpr82_vgpr83
.LBB38_190:
	ds_read_b64 v[82:83], v1
.LBB38_191:
	s_and_saveexec_b64 s[8:9], s[2:3]
	s_cbranch_execz .LBB38_195
; %bb.192:
	s_movk_i32 s19, 0x98
	v_subrev_u32_e32 v84, 19, v0
	s_movk_i32 s20, 0x1d8
	s_mov_b64 s[2:3], 0
.LBB38_193:                             ; =>This Inner Loop Header: Depth=1
	scratch_load_dwordx2 v[86:87], off, s19
	v_mov_b32_e32 v85, s20
	ds_read_b64 v[88:89], v85
	v_add_u32_e32 v84, -1, v84
	s_add_i32 s20, s20, 8
	s_add_i32 s19, s19, 8
	v_cmp_eq_u32_e32 vcc, 0, v84
	s_or_b64 s[2:3], vcc, s[2:3]
	s_waitcnt vmcnt(0) lgkmcnt(0)
	v_fmac_f64_e32 v[82:83], v[86:87], v[88:89]
	s_andn2_b64 exec, exec, s[2:3]
	s_cbranch_execnz .LBB38_193
; %bb.194:
	s_or_b64 exec, exec, s[2:3]
.LBB38_195:
	s_or_b64 exec, exec, s[8:9]
	v_mov_b32_e32 v84, 0
	ds_read_b64 v[84:85], v84 offset:144
	s_waitcnt lgkmcnt(0)
	v_mul_f64 v[82:83], v[82:83], v[84:85]
	scratch_store_dwordx2 off, v[82:83], off offset:144
.LBB38_196:
	s_or_b64 exec, exec, s[4:5]
	scratch_load_dwordx2 v[82:83], off, off offset:136
	v_cmp_lt_u32_e64 s[2:3], 17, v0
	s_waitcnt vmcnt(0)
	ds_write_b64 v1, v[82:83]
	s_waitcnt lgkmcnt(0)
	; wave barrier
	s_and_saveexec_b64 s[4:5], s[2:3]
	s_cbranch_execz .LBB38_206
; %bb.197:
	s_andn2_b64 vcc, exec, s[6:7]
	s_cbranch_vccnz .LBB38_199
; %bb.198:
	scratch_load_dwordx2 v[82:83], v11, off
	ds_read_b64 v[84:85], v1
	s_waitcnt vmcnt(0) lgkmcnt(0)
	v_mul_f64 v[82:83], v[82:83], v[84:85]
	s_cbranch_execz .LBB38_200
	s_branch .LBB38_201
.LBB38_199:
                                        ; implicit-def: $vgpr82_vgpr83
.LBB38_200:
	ds_read_b64 v[82:83], v1
.LBB38_201:
	s_and_saveexec_b64 s[8:9], s[0:1]
	s_cbranch_execz .LBB38_205
; %bb.202:
	v_subrev_u32_e32 v84, 18, v0
	s_movk_i32 s19, 0x1d0
	s_mov_b64 s[0:1], 0
.LBB38_203:                             ; =>This Inner Loop Header: Depth=1
	scratch_load_dwordx2 v[86:87], off, s18
	v_mov_b32_e32 v85, s19
	ds_read_b64 v[88:89], v85
	v_add_u32_e32 v84, -1, v84
	s_add_i32 s19, s19, 8
	s_add_i32 s18, s18, 8
	v_cmp_eq_u32_e32 vcc, 0, v84
	s_or_b64 s[0:1], vcc, s[0:1]
	s_waitcnt vmcnt(0) lgkmcnt(0)
	v_fmac_f64_e32 v[82:83], v[86:87], v[88:89]
	s_andn2_b64 exec, exec, s[0:1]
	s_cbranch_execnz .LBB38_203
; %bb.204:
	s_or_b64 exec, exec, s[0:1]
.LBB38_205:
	s_or_b64 exec, exec, s[8:9]
	v_mov_b32_e32 v84, 0
	ds_read_b64 v[84:85], v84 offset:136
	s_waitcnt lgkmcnt(0)
	v_mul_f64 v[82:83], v[82:83], v[84:85]
	scratch_store_dwordx2 off, v[82:83], off offset:136
.LBB38_206:
	s_or_b64 exec, exec, s[4:5]
	scratch_load_dwordx2 v[82:83], off, off offset:128
	v_cmp_lt_u32_e64 s[0:1], 16, v0
	s_waitcnt vmcnt(0)
	ds_write_b64 v1, v[82:83]
	s_waitcnt lgkmcnt(0)
	; wave barrier
	s_and_saveexec_b64 s[4:5], s[0:1]
	s_cbranch_execz .LBB38_216
; %bb.207:
	s_andn2_b64 vcc, exec, s[6:7]
	s_cbranch_vccnz .LBB38_209
; %bb.208:
	scratch_load_dwordx2 v[82:83], v11, off
	ds_read_b64 v[84:85], v1
	s_waitcnt vmcnt(0) lgkmcnt(0)
	v_mul_f64 v[82:83], v[82:83], v[84:85]
	s_cbranch_execz .LBB38_210
	s_branch .LBB38_211
.LBB38_209:
                                        ; implicit-def: $vgpr82_vgpr83
.LBB38_210:
	ds_read_b64 v[82:83], v1
.LBB38_211:
	s_and_saveexec_b64 s[8:9], s[2:3]
	s_cbranch_execz .LBB38_215
; %bb.212:
	s_movk_i32 s18, 0x88
	v_subrev_u32_e32 v84, 17, v0
	s_movk_i32 s19, 0x1c8
	s_mov_b64 s[2:3], 0
.LBB38_213:                             ; =>This Inner Loop Header: Depth=1
	scratch_load_dwordx2 v[86:87], off, s18
	v_mov_b32_e32 v85, s19
	ds_read_b64 v[88:89], v85
	v_add_u32_e32 v84, -1, v84
	s_add_i32 s19, s19, 8
	s_add_i32 s18, s18, 8
	v_cmp_eq_u32_e32 vcc, 0, v84
	s_or_b64 s[2:3], vcc, s[2:3]
	s_waitcnt vmcnt(0) lgkmcnt(0)
	v_fmac_f64_e32 v[82:83], v[86:87], v[88:89]
	s_andn2_b64 exec, exec, s[2:3]
	s_cbranch_execnz .LBB38_213
; %bb.214:
	s_or_b64 exec, exec, s[2:3]
.LBB38_215:
	s_or_b64 exec, exec, s[8:9]
	v_mov_b32_e32 v84, 0
	ds_read_b64 v[84:85], v84 offset:128
	s_waitcnt lgkmcnt(0)
	v_mul_f64 v[82:83], v[82:83], v[84:85]
	scratch_store_dwordx2 off, v[82:83], off offset:128
.LBB38_216:
	s_or_b64 exec, exec, s[4:5]
	scratch_load_dwordx2 v[82:83], off, off offset:120
	v_cmp_lt_u32_e64 s[2:3], 15, v0
	s_waitcnt vmcnt(0)
	ds_write_b64 v1, v[82:83]
	s_waitcnt lgkmcnt(0)
	; wave barrier
	s_and_saveexec_b64 s[4:5], s[2:3]
	s_cbranch_execz .LBB38_226
; %bb.217:
	s_andn2_b64 vcc, exec, s[6:7]
	s_cbranch_vccnz .LBB38_219
; %bb.218:
	scratch_load_dwordx2 v[82:83], v11, off
	ds_read_b64 v[84:85], v1
	s_waitcnt vmcnt(0) lgkmcnt(0)
	v_mul_f64 v[82:83], v[82:83], v[84:85]
	s_cbranch_execz .LBB38_220
	s_branch .LBB38_221
.LBB38_219:
                                        ; implicit-def: $vgpr82_vgpr83
.LBB38_220:
	ds_read_b64 v[82:83], v1
.LBB38_221:
	s_and_saveexec_b64 s[8:9], s[0:1]
	s_cbranch_execz .LBB38_225
; %bb.222:
	v_add_u32_e32 v84, -16, v0
	s_movk_i32 s18, 0x1c0
	s_mov_b64 s[0:1], 0
.LBB38_223:                             ; =>This Inner Loop Header: Depth=1
	scratch_load_dwordx2 v[86:87], off, s17
	v_mov_b32_e32 v85, s18
	ds_read_b64 v[88:89], v85
	v_add_u32_e32 v84, -1, v84
	s_add_i32 s18, s18, 8
	s_add_i32 s17, s17, 8
	v_cmp_eq_u32_e32 vcc, 0, v84
	s_or_b64 s[0:1], vcc, s[0:1]
	s_waitcnt vmcnt(0) lgkmcnt(0)
	v_fmac_f64_e32 v[82:83], v[86:87], v[88:89]
	s_andn2_b64 exec, exec, s[0:1]
	s_cbranch_execnz .LBB38_223
; %bb.224:
	s_or_b64 exec, exec, s[0:1]
.LBB38_225:
	s_or_b64 exec, exec, s[8:9]
	v_mov_b32_e32 v84, 0
	ds_read_b64 v[84:85], v84 offset:120
	s_waitcnt lgkmcnt(0)
	v_mul_f64 v[82:83], v[82:83], v[84:85]
	scratch_store_dwordx2 off, v[82:83], off offset:120
.LBB38_226:
	s_or_b64 exec, exec, s[4:5]
	scratch_load_dwordx2 v[82:83], off, off offset:112
	v_cmp_lt_u32_e64 s[0:1], 14, v0
	s_waitcnt vmcnt(0)
	ds_write_b64 v1, v[82:83]
	s_waitcnt lgkmcnt(0)
	; wave barrier
	s_and_saveexec_b64 s[4:5], s[0:1]
	s_cbranch_execz .LBB38_236
; %bb.227:
	s_andn2_b64 vcc, exec, s[6:7]
	s_cbranch_vccnz .LBB38_229
; %bb.228:
	scratch_load_dwordx2 v[82:83], v11, off
	ds_read_b64 v[84:85], v1
	s_waitcnt vmcnt(0) lgkmcnt(0)
	v_mul_f64 v[82:83], v[82:83], v[84:85]
	s_cbranch_execz .LBB38_230
	s_branch .LBB38_231
.LBB38_229:
                                        ; implicit-def: $vgpr82_vgpr83
.LBB38_230:
	ds_read_b64 v[82:83], v1
.LBB38_231:
	s_and_saveexec_b64 s[8:9], s[2:3]
	s_cbranch_execz .LBB38_235
; %bb.232:
	s_movk_i32 s17, 0x78
	v_add_u32_e32 v84, -15, v0
	s_movk_i32 s18, 0x1b8
	s_mov_b64 s[2:3], 0
.LBB38_233:                             ; =>This Inner Loop Header: Depth=1
	scratch_load_dwordx2 v[86:87], off, s17
	v_mov_b32_e32 v85, s18
	ds_read_b64 v[88:89], v85
	v_add_u32_e32 v84, -1, v84
	s_add_i32 s18, s18, 8
	s_add_i32 s17, s17, 8
	v_cmp_eq_u32_e32 vcc, 0, v84
	s_or_b64 s[2:3], vcc, s[2:3]
	s_waitcnt vmcnt(0) lgkmcnt(0)
	v_fmac_f64_e32 v[82:83], v[86:87], v[88:89]
	s_andn2_b64 exec, exec, s[2:3]
	s_cbranch_execnz .LBB38_233
; %bb.234:
	s_or_b64 exec, exec, s[2:3]
.LBB38_235:
	s_or_b64 exec, exec, s[8:9]
	v_mov_b32_e32 v84, 0
	ds_read_b64 v[84:85], v84 offset:112
	s_waitcnt lgkmcnt(0)
	v_mul_f64 v[82:83], v[82:83], v[84:85]
	scratch_store_dwordx2 off, v[82:83], off offset:112
.LBB38_236:
	s_or_b64 exec, exec, s[4:5]
	scratch_load_dwordx2 v[82:83], off, off offset:104
	v_cmp_lt_u32_e64 s[2:3], 13, v0
	s_waitcnt vmcnt(0)
	ds_write_b64 v1, v[82:83]
	s_waitcnt lgkmcnt(0)
	; wave barrier
	s_and_saveexec_b64 s[4:5], s[2:3]
	s_cbranch_execz .LBB38_246
; %bb.237:
	s_andn2_b64 vcc, exec, s[6:7]
	s_cbranch_vccnz .LBB38_239
; %bb.238:
	scratch_load_dwordx2 v[82:83], v11, off
	ds_read_b64 v[84:85], v1
	s_waitcnt vmcnt(0) lgkmcnt(0)
	v_mul_f64 v[82:83], v[82:83], v[84:85]
	s_cbranch_execz .LBB38_240
	s_branch .LBB38_241
.LBB38_239:
                                        ; implicit-def: $vgpr82_vgpr83
.LBB38_240:
	ds_read_b64 v[82:83], v1
.LBB38_241:
	s_and_saveexec_b64 s[8:9], s[0:1]
	s_cbranch_execz .LBB38_245
; %bb.242:
	v_add_u32_e32 v84, -14, v0
	s_movk_i32 s17, 0x1b0
	s_mov_b64 s[0:1], 0
.LBB38_243:                             ; =>This Inner Loop Header: Depth=1
	scratch_load_dwordx2 v[86:87], off, s16
	v_mov_b32_e32 v85, s17
	ds_read_b64 v[88:89], v85
	v_add_u32_e32 v84, -1, v84
	s_add_i32 s17, s17, 8
	s_add_i32 s16, s16, 8
	v_cmp_eq_u32_e32 vcc, 0, v84
	s_or_b64 s[0:1], vcc, s[0:1]
	s_waitcnt vmcnt(0) lgkmcnt(0)
	v_fmac_f64_e32 v[82:83], v[86:87], v[88:89]
	s_andn2_b64 exec, exec, s[0:1]
	s_cbranch_execnz .LBB38_243
; %bb.244:
	s_or_b64 exec, exec, s[0:1]
.LBB38_245:
	s_or_b64 exec, exec, s[8:9]
	v_mov_b32_e32 v84, 0
	ds_read_b64 v[84:85], v84 offset:104
	s_waitcnt lgkmcnt(0)
	v_mul_f64 v[82:83], v[82:83], v[84:85]
	scratch_store_dwordx2 off, v[82:83], off offset:104
.LBB38_246:
	s_or_b64 exec, exec, s[4:5]
	scratch_load_dwordx2 v[82:83], off, off offset:96
	v_cmp_lt_u32_e64 s[0:1], 12, v0
	s_waitcnt vmcnt(0)
	ds_write_b64 v1, v[82:83]
	s_waitcnt lgkmcnt(0)
	; wave barrier
	s_and_saveexec_b64 s[4:5], s[0:1]
	s_cbranch_execz .LBB38_256
; %bb.247:
	s_andn2_b64 vcc, exec, s[6:7]
	s_cbranch_vccnz .LBB38_249
; %bb.248:
	scratch_load_dwordx2 v[82:83], v11, off
	ds_read_b64 v[84:85], v1
	s_waitcnt vmcnt(0) lgkmcnt(0)
	v_mul_f64 v[82:83], v[82:83], v[84:85]
	s_cbranch_execz .LBB38_250
	s_branch .LBB38_251
.LBB38_249:
                                        ; implicit-def: $vgpr82_vgpr83
.LBB38_250:
	ds_read_b64 v[82:83], v1
.LBB38_251:
	s_and_saveexec_b64 s[8:9], s[2:3]
	s_cbranch_execz .LBB38_255
; %bb.252:
	s_movk_i32 s16, 0x68
	v_add_u32_e32 v84, -13, v0
	s_movk_i32 s17, 0x1a8
	s_mov_b64 s[2:3], 0
.LBB38_253:                             ; =>This Inner Loop Header: Depth=1
	scratch_load_dwordx2 v[86:87], off, s16
	v_mov_b32_e32 v85, s17
	ds_read_b64 v[88:89], v85
	v_add_u32_e32 v84, -1, v84
	s_add_i32 s17, s17, 8
	s_add_i32 s16, s16, 8
	v_cmp_eq_u32_e32 vcc, 0, v84
	s_or_b64 s[2:3], vcc, s[2:3]
	s_waitcnt vmcnt(0) lgkmcnt(0)
	v_fmac_f64_e32 v[82:83], v[86:87], v[88:89]
	s_andn2_b64 exec, exec, s[2:3]
	s_cbranch_execnz .LBB38_253
; %bb.254:
	s_or_b64 exec, exec, s[2:3]
.LBB38_255:
	s_or_b64 exec, exec, s[8:9]
	v_mov_b32_e32 v84, 0
	ds_read_b64 v[84:85], v84 offset:96
	s_waitcnt lgkmcnt(0)
	v_mul_f64 v[82:83], v[82:83], v[84:85]
	scratch_store_dwordx2 off, v[82:83], off offset:96
.LBB38_256:
	s_or_b64 exec, exec, s[4:5]
	scratch_load_dwordx2 v[82:83], off, off offset:88
	v_cmp_lt_u32_e64 s[2:3], 11, v0
	s_waitcnt vmcnt(0)
	ds_write_b64 v1, v[82:83]
	s_waitcnt lgkmcnt(0)
	; wave barrier
	s_and_saveexec_b64 s[4:5], s[2:3]
	s_cbranch_execz .LBB38_266
; %bb.257:
	s_andn2_b64 vcc, exec, s[6:7]
	s_cbranch_vccnz .LBB38_259
; %bb.258:
	scratch_load_dwordx2 v[82:83], v11, off
	ds_read_b64 v[84:85], v1
	s_waitcnt vmcnt(0) lgkmcnt(0)
	v_mul_f64 v[82:83], v[82:83], v[84:85]
	s_cbranch_execz .LBB38_260
	s_branch .LBB38_261
.LBB38_259:
                                        ; implicit-def: $vgpr82_vgpr83
.LBB38_260:
	ds_read_b64 v[82:83], v1
.LBB38_261:
	s_and_saveexec_b64 s[8:9], s[0:1]
	s_cbranch_execz .LBB38_265
; %bb.262:
	v_add_u32_e32 v84, -12, v0
	s_movk_i32 s16, 0x1a0
	s_mov_b64 s[0:1], 0
.LBB38_263:                             ; =>This Inner Loop Header: Depth=1
	scratch_load_dwordx2 v[86:87], off, s15
	v_mov_b32_e32 v85, s16
	ds_read_b64 v[88:89], v85
	v_add_u32_e32 v84, -1, v84
	s_add_i32 s16, s16, 8
	s_add_i32 s15, s15, 8
	v_cmp_eq_u32_e32 vcc, 0, v84
	s_or_b64 s[0:1], vcc, s[0:1]
	s_waitcnt vmcnt(0) lgkmcnt(0)
	v_fmac_f64_e32 v[82:83], v[86:87], v[88:89]
	s_andn2_b64 exec, exec, s[0:1]
	s_cbranch_execnz .LBB38_263
; %bb.264:
	s_or_b64 exec, exec, s[0:1]
.LBB38_265:
	s_or_b64 exec, exec, s[8:9]
	v_mov_b32_e32 v84, 0
	ds_read_b64 v[84:85], v84 offset:88
	s_waitcnt lgkmcnt(0)
	v_mul_f64 v[82:83], v[82:83], v[84:85]
	scratch_store_dwordx2 off, v[82:83], off offset:88
.LBB38_266:
	s_or_b64 exec, exec, s[4:5]
	scratch_load_dwordx2 v[82:83], off, off offset:80
	v_cmp_lt_u32_e64 s[0:1], 10, v0
	s_waitcnt vmcnt(0)
	ds_write_b64 v1, v[82:83]
	s_waitcnt lgkmcnt(0)
	; wave barrier
	s_and_saveexec_b64 s[4:5], s[0:1]
	s_cbranch_execz .LBB38_276
; %bb.267:
	s_andn2_b64 vcc, exec, s[6:7]
	s_cbranch_vccnz .LBB38_269
; %bb.268:
	scratch_load_dwordx2 v[82:83], v11, off
	ds_read_b64 v[84:85], v1
	s_waitcnt vmcnt(0) lgkmcnt(0)
	v_mul_f64 v[82:83], v[82:83], v[84:85]
	s_cbranch_execz .LBB38_270
	s_branch .LBB38_271
.LBB38_269:
                                        ; implicit-def: $vgpr82_vgpr83
.LBB38_270:
	ds_read_b64 v[82:83], v1
.LBB38_271:
	s_and_saveexec_b64 s[8:9], s[2:3]
	s_cbranch_execz .LBB38_275
; %bb.272:
	s_movk_i32 s15, 0x58
	v_add_u32_e32 v84, -11, v0
	s_movk_i32 s16, 0x198
	s_mov_b64 s[2:3], 0
.LBB38_273:                             ; =>This Inner Loop Header: Depth=1
	scratch_load_dwordx2 v[86:87], off, s15
	v_mov_b32_e32 v85, s16
	ds_read_b64 v[88:89], v85
	v_add_u32_e32 v84, -1, v84
	s_add_i32 s16, s16, 8
	s_add_i32 s15, s15, 8
	v_cmp_eq_u32_e32 vcc, 0, v84
	s_or_b64 s[2:3], vcc, s[2:3]
	s_waitcnt vmcnt(0) lgkmcnt(0)
	v_fmac_f64_e32 v[82:83], v[86:87], v[88:89]
	s_andn2_b64 exec, exec, s[2:3]
	s_cbranch_execnz .LBB38_273
; %bb.274:
	s_or_b64 exec, exec, s[2:3]
.LBB38_275:
	s_or_b64 exec, exec, s[8:9]
	v_mov_b32_e32 v84, 0
	ds_read_b64 v[84:85], v84 offset:80
	s_waitcnt lgkmcnt(0)
	v_mul_f64 v[82:83], v[82:83], v[84:85]
	scratch_store_dwordx2 off, v[82:83], off offset:80
.LBB38_276:
	s_or_b64 exec, exec, s[4:5]
	scratch_load_dwordx2 v[82:83], off, off offset:72
	v_cmp_lt_u32_e64 s[2:3], 9, v0
	s_waitcnt vmcnt(0)
	ds_write_b64 v1, v[82:83]
	s_waitcnt lgkmcnt(0)
	; wave barrier
	s_and_saveexec_b64 s[4:5], s[2:3]
	s_cbranch_execz .LBB38_286
; %bb.277:
	s_andn2_b64 vcc, exec, s[6:7]
	s_cbranch_vccnz .LBB38_279
; %bb.278:
	scratch_load_dwordx2 v[82:83], v11, off
	ds_read_b64 v[84:85], v1
	s_waitcnt vmcnt(0) lgkmcnt(0)
	v_mul_f64 v[82:83], v[82:83], v[84:85]
	s_cbranch_execz .LBB38_280
	s_branch .LBB38_281
.LBB38_279:
                                        ; implicit-def: $vgpr82_vgpr83
.LBB38_280:
	ds_read_b64 v[82:83], v1
.LBB38_281:
	s_and_saveexec_b64 s[8:9], s[0:1]
	s_cbranch_execz .LBB38_285
; %bb.282:
	v_add_u32_e32 v84, -10, v0
	s_movk_i32 s15, 0x190
	s_mov_b64 s[0:1], 0
.LBB38_283:                             ; =>This Inner Loop Header: Depth=1
	scratch_load_dwordx2 v[86:87], off, s14
	v_mov_b32_e32 v85, s15
	ds_read_b64 v[88:89], v85
	v_add_u32_e32 v84, -1, v84
	s_add_i32 s15, s15, 8
	s_add_i32 s14, s14, 8
	v_cmp_eq_u32_e32 vcc, 0, v84
	s_or_b64 s[0:1], vcc, s[0:1]
	s_waitcnt vmcnt(0) lgkmcnt(0)
	v_fmac_f64_e32 v[82:83], v[86:87], v[88:89]
	s_andn2_b64 exec, exec, s[0:1]
	s_cbranch_execnz .LBB38_283
; %bb.284:
	s_or_b64 exec, exec, s[0:1]
.LBB38_285:
	s_or_b64 exec, exec, s[8:9]
	v_mov_b32_e32 v84, 0
	ds_read_b64 v[84:85], v84 offset:72
	s_waitcnt lgkmcnt(0)
	v_mul_f64 v[82:83], v[82:83], v[84:85]
	scratch_store_dwordx2 off, v[82:83], off offset:72
.LBB38_286:
	s_or_b64 exec, exec, s[4:5]
	scratch_load_dwordx2 v[82:83], off, off offset:64
	v_cmp_lt_u32_e64 s[0:1], 8, v0
	s_waitcnt vmcnt(0)
	ds_write_b64 v1, v[82:83]
	s_waitcnt lgkmcnt(0)
	; wave barrier
	s_and_saveexec_b64 s[4:5], s[0:1]
	s_cbranch_execz .LBB38_296
; %bb.287:
	s_andn2_b64 vcc, exec, s[6:7]
	s_cbranch_vccnz .LBB38_289
; %bb.288:
	scratch_load_dwordx2 v[82:83], v11, off
	ds_read_b64 v[84:85], v1
	s_waitcnt vmcnt(0) lgkmcnt(0)
	v_mul_f64 v[82:83], v[82:83], v[84:85]
	s_cbranch_execz .LBB38_290
	s_branch .LBB38_291
.LBB38_289:
                                        ; implicit-def: $vgpr82_vgpr83
.LBB38_290:
	ds_read_b64 v[82:83], v1
.LBB38_291:
	s_and_saveexec_b64 s[8:9], s[2:3]
	s_cbranch_execz .LBB38_295
; %bb.292:
	s_movk_i32 s14, 0x48
	v_add_u32_e32 v84, -9, v0
	s_movk_i32 s15, 0x188
	s_mov_b64 s[2:3], 0
.LBB38_293:                             ; =>This Inner Loop Header: Depth=1
	scratch_load_dwordx2 v[86:87], off, s14
	v_mov_b32_e32 v85, s15
	ds_read_b64 v[88:89], v85
	v_add_u32_e32 v84, -1, v84
	s_add_i32 s15, s15, 8
	s_add_i32 s14, s14, 8
	v_cmp_eq_u32_e32 vcc, 0, v84
	s_or_b64 s[2:3], vcc, s[2:3]
	s_waitcnt vmcnt(0) lgkmcnt(0)
	v_fmac_f64_e32 v[82:83], v[86:87], v[88:89]
	s_andn2_b64 exec, exec, s[2:3]
	s_cbranch_execnz .LBB38_293
; %bb.294:
	s_or_b64 exec, exec, s[2:3]
.LBB38_295:
	s_or_b64 exec, exec, s[8:9]
	v_mov_b32_e32 v84, 0
	ds_read_b64 v[84:85], v84 offset:64
	s_waitcnt lgkmcnt(0)
	v_mul_f64 v[82:83], v[82:83], v[84:85]
	scratch_store_dwordx2 off, v[82:83], off offset:64
.LBB38_296:
	s_or_b64 exec, exec, s[4:5]
	scratch_load_dwordx2 v[82:83], off, off offset:56
	v_cmp_lt_u32_e64 s[2:3], 7, v0
	s_waitcnt vmcnt(0)
	ds_write_b64 v1, v[82:83]
	s_waitcnt lgkmcnt(0)
	; wave barrier
	s_and_saveexec_b64 s[4:5], s[2:3]
	s_cbranch_execz .LBB38_306
; %bb.297:
	s_andn2_b64 vcc, exec, s[6:7]
	s_cbranch_vccnz .LBB38_299
; %bb.298:
	scratch_load_dwordx2 v[82:83], v11, off
	ds_read_b64 v[84:85], v1
	s_waitcnt vmcnt(0) lgkmcnt(0)
	v_mul_f64 v[82:83], v[82:83], v[84:85]
	s_cbranch_execz .LBB38_300
	s_branch .LBB38_301
.LBB38_299:
                                        ; implicit-def: $vgpr82_vgpr83
.LBB38_300:
	ds_read_b64 v[82:83], v1
.LBB38_301:
	s_and_saveexec_b64 s[8:9], s[0:1]
	s_cbranch_execz .LBB38_305
; %bb.302:
	v_add_u32_e32 v84, -8, v0
	s_movk_i32 s14, 0x180
	s_mov_b64 s[0:1], 0
.LBB38_303:                             ; =>This Inner Loop Header: Depth=1
	scratch_load_dwordx2 v[86:87], off, s13
	v_mov_b32_e32 v85, s14
	ds_read_b64 v[88:89], v85
	v_add_u32_e32 v84, -1, v84
	s_add_i32 s14, s14, 8
	s_add_i32 s13, s13, 8
	v_cmp_eq_u32_e32 vcc, 0, v84
	s_or_b64 s[0:1], vcc, s[0:1]
	s_waitcnt vmcnt(0) lgkmcnt(0)
	v_fmac_f64_e32 v[82:83], v[86:87], v[88:89]
	s_andn2_b64 exec, exec, s[0:1]
	s_cbranch_execnz .LBB38_303
; %bb.304:
	s_or_b64 exec, exec, s[0:1]
.LBB38_305:
	s_or_b64 exec, exec, s[8:9]
	v_mov_b32_e32 v84, 0
	ds_read_b64 v[84:85], v84 offset:56
	s_waitcnt lgkmcnt(0)
	v_mul_f64 v[82:83], v[82:83], v[84:85]
	scratch_store_dwordx2 off, v[82:83], off offset:56
.LBB38_306:
	s_or_b64 exec, exec, s[4:5]
	scratch_load_dwordx2 v[82:83], off, off offset:48
	v_cmp_lt_u32_e64 s[0:1], 6, v0
	s_waitcnt vmcnt(0)
	ds_write_b64 v1, v[82:83]
	s_waitcnt lgkmcnt(0)
	; wave barrier
	s_and_saveexec_b64 s[4:5], s[0:1]
	s_cbranch_execz .LBB38_316
; %bb.307:
	s_andn2_b64 vcc, exec, s[6:7]
	s_cbranch_vccnz .LBB38_309
; %bb.308:
	scratch_load_dwordx2 v[82:83], v11, off
	ds_read_b64 v[84:85], v1
	s_waitcnt vmcnt(0) lgkmcnt(0)
	v_mul_f64 v[82:83], v[82:83], v[84:85]
	s_cbranch_execz .LBB38_310
	s_branch .LBB38_311
.LBB38_309:
                                        ; implicit-def: $vgpr82_vgpr83
.LBB38_310:
	ds_read_b64 v[82:83], v1
.LBB38_311:
	s_and_saveexec_b64 s[8:9], s[2:3]
	s_cbranch_execz .LBB38_315
; %bb.312:
	s_mov_b32 s13, 56
	v_add_u32_e32 v84, -7, v0
	s_movk_i32 s14, 0x178
	s_mov_b64 s[2:3], 0
.LBB38_313:                             ; =>This Inner Loop Header: Depth=1
	scratch_load_dwordx2 v[86:87], off, s13
	v_mov_b32_e32 v85, s14
	ds_read_b64 v[88:89], v85
	v_add_u32_e32 v84, -1, v84
	s_add_i32 s14, s14, 8
	s_add_i32 s13, s13, 8
	v_cmp_eq_u32_e32 vcc, 0, v84
	s_or_b64 s[2:3], vcc, s[2:3]
	s_waitcnt vmcnt(0) lgkmcnt(0)
	v_fmac_f64_e32 v[82:83], v[86:87], v[88:89]
	s_andn2_b64 exec, exec, s[2:3]
	s_cbranch_execnz .LBB38_313
; %bb.314:
	s_or_b64 exec, exec, s[2:3]
.LBB38_315:
	s_or_b64 exec, exec, s[8:9]
	v_mov_b32_e32 v84, 0
	ds_read_b64 v[84:85], v84 offset:48
	s_waitcnt lgkmcnt(0)
	v_mul_f64 v[82:83], v[82:83], v[84:85]
	scratch_store_dwordx2 off, v[82:83], off offset:48
.LBB38_316:
	s_or_b64 exec, exec, s[4:5]
	scratch_load_dwordx2 v[82:83], off, off offset:40
	v_cmp_lt_u32_e64 s[2:3], 5, v0
	s_waitcnt vmcnt(0)
	ds_write_b64 v1, v[82:83]
	s_waitcnt lgkmcnt(0)
	; wave barrier
	s_and_saveexec_b64 s[4:5], s[2:3]
	s_cbranch_execz .LBB38_326
; %bb.317:
	s_andn2_b64 vcc, exec, s[6:7]
	s_cbranch_vccnz .LBB38_319
; %bb.318:
	scratch_load_dwordx2 v[82:83], v11, off
	ds_read_b64 v[84:85], v1
	s_waitcnt vmcnt(0) lgkmcnt(0)
	v_mul_f64 v[82:83], v[82:83], v[84:85]
	s_cbranch_execz .LBB38_320
	s_branch .LBB38_321
.LBB38_319:
                                        ; implicit-def: $vgpr82_vgpr83
.LBB38_320:
	ds_read_b64 v[82:83], v1
.LBB38_321:
	s_and_saveexec_b64 s[8:9], s[0:1]
	s_cbranch_execz .LBB38_325
; %bb.322:
	v_add_u32_e32 v84, -6, v0
	s_movk_i32 s13, 0x170
	s_mov_b64 s[0:1], 0
.LBB38_323:                             ; =>This Inner Loop Header: Depth=1
	scratch_load_dwordx2 v[86:87], off, s12
	v_mov_b32_e32 v85, s13
	ds_read_b64 v[88:89], v85
	v_add_u32_e32 v84, -1, v84
	s_add_i32 s13, s13, 8
	s_add_i32 s12, s12, 8
	v_cmp_eq_u32_e32 vcc, 0, v84
	s_or_b64 s[0:1], vcc, s[0:1]
	s_waitcnt vmcnt(0) lgkmcnt(0)
	v_fmac_f64_e32 v[82:83], v[86:87], v[88:89]
	s_andn2_b64 exec, exec, s[0:1]
	s_cbranch_execnz .LBB38_323
; %bb.324:
	s_or_b64 exec, exec, s[0:1]
.LBB38_325:
	s_or_b64 exec, exec, s[8:9]
	v_mov_b32_e32 v84, 0
	ds_read_b64 v[84:85], v84 offset:40
	s_waitcnt lgkmcnt(0)
	v_mul_f64 v[82:83], v[82:83], v[84:85]
	scratch_store_dwordx2 off, v[82:83], off offset:40
.LBB38_326:
	s_or_b64 exec, exec, s[4:5]
	scratch_load_dwordx2 v[82:83], off, off offset:32
	v_cmp_lt_u32_e64 s[0:1], 4, v0
	s_waitcnt vmcnt(0)
	ds_write_b64 v1, v[82:83]
	s_waitcnt lgkmcnt(0)
	; wave barrier
	s_and_saveexec_b64 s[4:5], s[0:1]
	s_cbranch_execz .LBB38_336
; %bb.327:
	s_andn2_b64 vcc, exec, s[6:7]
	s_cbranch_vccnz .LBB38_329
; %bb.328:
	scratch_load_dwordx2 v[82:83], v11, off
	ds_read_b64 v[84:85], v1
	s_waitcnt vmcnt(0) lgkmcnt(0)
	v_mul_f64 v[82:83], v[82:83], v[84:85]
	s_cbranch_execz .LBB38_330
	s_branch .LBB38_331
.LBB38_329:
                                        ; implicit-def: $vgpr82_vgpr83
.LBB38_330:
	ds_read_b64 v[82:83], v1
.LBB38_331:
	s_and_saveexec_b64 s[8:9], s[2:3]
	s_cbranch_execz .LBB38_335
; %bb.332:
	s_mov_b32 s12, 40
	v_add_u32_e32 v84, -5, v0
	s_movk_i32 s13, 0x168
	s_mov_b64 s[2:3], 0
.LBB38_333:                             ; =>This Inner Loop Header: Depth=1
	scratch_load_dwordx2 v[86:87], off, s12
	v_mov_b32_e32 v85, s13
	ds_read_b64 v[88:89], v85
	v_add_u32_e32 v84, -1, v84
	s_add_i32 s13, s13, 8
	s_add_i32 s12, s12, 8
	v_cmp_eq_u32_e32 vcc, 0, v84
	s_or_b64 s[2:3], vcc, s[2:3]
	s_waitcnt vmcnt(0) lgkmcnt(0)
	v_fmac_f64_e32 v[82:83], v[86:87], v[88:89]
	s_andn2_b64 exec, exec, s[2:3]
	s_cbranch_execnz .LBB38_333
; %bb.334:
	s_or_b64 exec, exec, s[2:3]
.LBB38_335:
	s_or_b64 exec, exec, s[8:9]
	v_mov_b32_e32 v84, 0
	ds_read_b64 v[84:85], v84 offset:32
	s_waitcnt lgkmcnt(0)
	v_mul_f64 v[82:83], v[82:83], v[84:85]
	scratch_store_dwordx2 off, v[82:83], off offset:32
.LBB38_336:
	s_or_b64 exec, exec, s[4:5]
	scratch_load_dwordx2 v[82:83], off, off offset:24
	v_cmp_lt_u32_e64 s[2:3], 3, v0
	s_waitcnt vmcnt(0)
	ds_write_b64 v1, v[82:83]
	s_waitcnt lgkmcnt(0)
	; wave barrier
	s_and_saveexec_b64 s[4:5], s[2:3]
	s_cbranch_execz .LBB38_346
; %bb.337:
	s_andn2_b64 vcc, exec, s[6:7]
	s_cbranch_vccnz .LBB38_339
; %bb.338:
	scratch_load_dwordx2 v[82:83], v11, off
	ds_read_b64 v[84:85], v1
	s_waitcnt vmcnt(0) lgkmcnt(0)
	v_mul_f64 v[82:83], v[82:83], v[84:85]
	s_cbranch_execz .LBB38_340
	s_branch .LBB38_341
.LBB38_339:
                                        ; implicit-def: $vgpr82_vgpr83
.LBB38_340:
	ds_read_b64 v[82:83], v1
.LBB38_341:
	s_and_saveexec_b64 s[8:9], s[0:1]
	s_cbranch_execz .LBB38_345
; %bb.342:
	v_add_u32_e32 v84, -4, v0
	s_movk_i32 s12, 0x160
	s_mov_b64 s[0:1], 0
.LBB38_343:                             ; =>This Inner Loop Header: Depth=1
	scratch_load_dwordx2 v[86:87], off, s11
	v_mov_b32_e32 v85, s12
	ds_read_b64 v[88:89], v85
	v_add_u32_e32 v84, -1, v84
	s_add_i32 s12, s12, 8
	s_add_i32 s11, s11, 8
	v_cmp_eq_u32_e32 vcc, 0, v84
	s_or_b64 s[0:1], vcc, s[0:1]
	s_waitcnt vmcnt(0) lgkmcnt(0)
	v_fmac_f64_e32 v[82:83], v[86:87], v[88:89]
	s_andn2_b64 exec, exec, s[0:1]
	s_cbranch_execnz .LBB38_343
; %bb.344:
	s_or_b64 exec, exec, s[0:1]
.LBB38_345:
	s_or_b64 exec, exec, s[8:9]
	v_mov_b32_e32 v84, 0
	ds_read_b64 v[84:85], v84 offset:24
	s_waitcnt lgkmcnt(0)
	v_mul_f64 v[82:83], v[82:83], v[84:85]
	scratch_store_dwordx2 off, v[82:83], off offset:24
.LBB38_346:
	s_or_b64 exec, exec, s[4:5]
	scratch_load_dwordx2 v[82:83], off, off offset:16
	v_cmp_lt_u32_e64 s[0:1], 2, v0
	s_waitcnt vmcnt(0)
	ds_write_b64 v1, v[82:83]
	s_waitcnt lgkmcnt(0)
	; wave barrier
	s_and_saveexec_b64 s[4:5], s[0:1]
	s_cbranch_execz .LBB38_356
; %bb.347:
	s_andn2_b64 vcc, exec, s[6:7]
	s_cbranch_vccnz .LBB38_349
; %bb.348:
	scratch_load_dwordx2 v[82:83], v11, off
	ds_read_b64 v[84:85], v1
	s_waitcnt vmcnt(0) lgkmcnt(0)
	v_mul_f64 v[82:83], v[82:83], v[84:85]
	s_cbranch_execz .LBB38_350
	s_branch .LBB38_351
.LBB38_349:
                                        ; implicit-def: $vgpr82_vgpr83
.LBB38_350:
	ds_read_b64 v[82:83], v1
.LBB38_351:
	s_and_saveexec_b64 s[8:9], s[2:3]
	s_cbranch_execz .LBB38_355
; %bb.352:
	s_mov_b32 s11, 24
	v_add_u32_e32 v84, -3, v0
	s_movk_i32 s12, 0x158
	s_mov_b64 s[2:3], 0
.LBB38_353:                             ; =>This Inner Loop Header: Depth=1
	scratch_load_dwordx2 v[86:87], off, s11
	v_mov_b32_e32 v85, s12
	ds_read_b64 v[88:89], v85
	v_add_u32_e32 v84, -1, v84
	s_add_i32 s12, s12, 8
	s_add_i32 s11, s11, 8
	v_cmp_eq_u32_e32 vcc, 0, v84
	s_or_b64 s[2:3], vcc, s[2:3]
	s_waitcnt vmcnt(0) lgkmcnt(0)
	v_fmac_f64_e32 v[82:83], v[86:87], v[88:89]
	s_andn2_b64 exec, exec, s[2:3]
	s_cbranch_execnz .LBB38_353
; %bb.354:
	s_or_b64 exec, exec, s[2:3]
.LBB38_355:
	s_or_b64 exec, exec, s[8:9]
	v_mov_b32_e32 v84, 0
	ds_read_b64 v[84:85], v84 offset:16
	s_waitcnt lgkmcnt(0)
	v_mul_f64 v[82:83], v[82:83], v[84:85]
	scratch_store_dwordx2 off, v[82:83], off offset:16
.LBB38_356:
	s_or_b64 exec, exec, s[4:5]
	scratch_load_dwordx2 v[82:83], off, off offset:8
	v_cmp_lt_u32_e64 s[2:3], 1, v0
	s_waitcnt vmcnt(0)
	ds_write_b64 v1, v[82:83]
	s_waitcnt lgkmcnt(0)
	; wave barrier
	s_and_saveexec_b64 s[4:5], s[2:3]
	s_cbranch_execz .LBB38_366
; %bb.357:
	s_andn2_b64 vcc, exec, s[6:7]
	s_cbranch_vccnz .LBB38_359
; %bb.358:
	scratch_load_dwordx2 v[82:83], v11, off
	ds_read_b64 v[84:85], v1
	s_waitcnt vmcnt(0) lgkmcnt(0)
	v_mul_f64 v[82:83], v[82:83], v[84:85]
	s_cbranch_execz .LBB38_360
	s_branch .LBB38_361
.LBB38_359:
                                        ; implicit-def: $vgpr82_vgpr83
.LBB38_360:
	ds_read_b64 v[82:83], v1
.LBB38_361:
	s_and_saveexec_b64 s[8:9], s[0:1]
	s_cbranch_execz .LBB38_365
; %bb.362:
	v_add_u32_e32 v84, -2, v0
	s_movk_i32 s11, 0x150
	s_mov_b64 s[0:1], 0
.LBB38_363:                             ; =>This Inner Loop Header: Depth=1
	scratch_load_dwordx2 v[86:87], off, s10
	v_mov_b32_e32 v85, s11
	ds_read_b64 v[88:89], v85
	v_add_u32_e32 v84, -1, v84
	s_add_i32 s11, s11, 8
	s_add_i32 s10, s10, 8
	v_cmp_eq_u32_e32 vcc, 0, v84
	s_or_b64 s[0:1], vcc, s[0:1]
	s_waitcnt vmcnt(0) lgkmcnt(0)
	v_fmac_f64_e32 v[82:83], v[86:87], v[88:89]
	s_andn2_b64 exec, exec, s[0:1]
	s_cbranch_execnz .LBB38_363
; %bb.364:
	s_or_b64 exec, exec, s[0:1]
.LBB38_365:
	s_or_b64 exec, exec, s[8:9]
	v_mov_b32_e32 v84, 0
	ds_read_b64 v[84:85], v84 offset:8
	s_waitcnt lgkmcnt(0)
	v_mul_f64 v[82:83], v[82:83], v[84:85]
	scratch_store_dwordx2 off, v[82:83], off offset:8
.LBB38_366:
	s_or_b64 exec, exec, s[4:5]
	scratch_load_dwordx2 v[82:83], off, off
	v_cmp_ne_u32_e32 vcc, 0, v0
	s_waitcnt vmcnt(0)
	ds_write_b64 v1, v[82:83]
	s_waitcnt lgkmcnt(0)
	; wave barrier
	s_and_saveexec_b64 s[0:1], vcc
	s_cbranch_execz .LBB38_376
; %bb.367:
	s_andn2_b64 vcc, exec, s[6:7]
	s_cbranch_vccnz .LBB38_369
; %bb.368:
	scratch_load_dwordx2 v[82:83], v11, off
	ds_read_b64 v[84:85], v1
	s_waitcnt vmcnt(0) lgkmcnt(0)
	v_mul_f64 v[82:83], v[82:83], v[84:85]
	s_cbranch_execz .LBB38_370
	s_branch .LBB38_371
.LBB38_369:
                                        ; implicit-def: $vgpr82_vgpr83
.LBB38_370:
	ds_read_b64 v[82:83], v1
.LBB38_371:
	s_and_saveexec_b64 s[4:5], s[2:3]
	s_cbranch_execz .LBB38_375
; %bb.372:
	s_or_b32 s8, 0, 8
	v_add_u32_e32 v84, -1, v0
	s_movk_i32 s9, 0x148
	s_mov_b64 s[2:3], 0
.LBB38_373:                             ; =>This Inner Loop Header: Depth=1
	scratch_load_dwordx2 v[86:87], off, s8
	v_mov_b32_e32 v85, s9
	ds_read_b64 v[88:89], v85
	v_add_u32_e32 v84, -1, v84
	s_add_i32 s9, s9, 8
	s_add_i32 s8, s8, 8
	v_cmp_eq_u32_e32 vcc, 0, v84
	s_or_b64 s[2:3], vcc, s[2:3]
	s_waitcnt vmcnt(0) lgkmcnt(0)
	v_fmac_f64_e32 v[82:83], v[86:87], v[88:89]
	s_andn2_b64 exec, exec, s[2:3]
	s_cbranch_execnz .LBB38_373
; %bb.374:
	s_or_b64 exec, exec, s[2:3]
.LBB38_375:
	s_or_b64 exec, exec, s[4:5]
	v_mov_b32_e32 v84, 0
	ds_read_b64 v[84:85], v84
	s_waitcnt lgkmcnt(0)
	v_mul_f64 v[82:83], v[82:83], v[84:85]
	scratch_store_dwordx2 off, v[82:83], off
.LBB38_376:
	s_or_b64 exec, exec, s[0:1]
	s_mov_b64 s[0:1], 0
.LBB38_377:
	s_and_b64 vcc, exec, s[0:1]
	s_cbranch_vccz .LBB38_749
; %bb.378:
	scratch_load_dwordx2 v[82:83], off, off offset:8
	v_cmp_eq_u32_e64 s[2:3], 0, v0
	s_waitcnt vmcnt(0)
	ds_write_b64 v1, v[82:83]
	s_waitcnt lgkmcnt(0)
	; wave barrier
	s_and_saveexec_b64 s[0:1], s[2:3]
	s_cbranch_execz .LBB38_384
; %bb.379:
	s_and_b64 vcc, exec, s[6:7]
	s_cbranch_vccz .LBB38_381
; %bb.380:
	scratch_load_dwordx2 v[82:83], v11, off
	ds_read_b64 v[84:85], v1
	s_waitcnt vmcnt(0) lgkmcnt(0)
	v_mul_f64 v[82:83], v[82:83], v[84:85]
	s_cbranch_execz .LBB38_382
	s_branch .LBB38_383
.LBB38_381:
                                        ; implicit-def: $vgpr82_vgpr83
.LBB38_382:
	ds_read_b64 v[82:83], v1
.LBB38_383:
	v_mov_b32_e32 v84, 0
	ds_read_b64 v[84:85], v84 offset:8
	s_waitcnt lgkmcnt(0)
	v_mul_f64 v[82:83], v[82:83], v[84:85]
	scratch_store_dwordx2 off, v[82:83], off offset:8
.LBB38_384:
	s_or_b64 exec, exec, s[0:1]
	scratch_load_dwordx2 v[82:83], off, off offset:16
	v_cndmask_b32_e64 v84, 0, 1, s[6:7]
	v_cmp_gt_u32_e32 vcc, 2, v0
	v_cmp_ne_u32_e64 s[0:1], 1, v84
	s_waitcnt vmcnt(0)
	ds_write_b64 v1, v[82:83]
	s_waitcnt lgkmcnt(0)
	; wave barrier
	s_and_saveexec_b64 s[4:5], vcc
	s_cbranch_execz .LBB38_390
; %bb.385:
	s_and_b64 vcc, exec, s[0:1]
	s_cbranch_vccnz .LBB38_387
; %bb.386:
	scratch_load_dwordx2 v[82:83], v11, off
	ds_read_b64 v[84:85], v1
	s_waitcnt vmcnt(0) lgkmcnt(0)
	v_mul_f64 v[82:83], v[82:83], v[84:85]
	s_cbranch_execz .LBB38_388
	s_branch .LBB38_389
.LBB38_387:
                                        ; implicit-def: $vgpr82_vgpr83
.LBB38_388:
	ds_read_b64 v[82:83], v1
.LBB38_389:
	scratch_load_dwordx2 v[88:89], off, off offset:8
	v_mov_b32_e32 v84, 0
	ds_read2_b64 v[84:87], v84 offset0:2 offset1:41
	s_waitcnt vmcnt(0) lgkmcnt(0)
	v_fma_f64 v[86:87], v[88:89], v[86:87], v[82:83]
	v_cndmask_b32_e64 v83, v83, v87, s[2:3]
	v_cndmask_b32_e64 v82, v82, v86, s[2:3]
	v_mul_f64 v[82:83], v[82:83], v[84:85]
	scratch_store_dwordx2 off, v[82:83], off offset:16
.LBB38_390:
	s_or_b64 exec, exec, s[4:5]
	scratch_load_dwordx2 v[82:83], off, off offset:24
	v_cmp_gt_u32_e32 vcc, 3, v0
	s_waitcnt vmcnt(0)
	ds_write_b64 v1, v[82:83]
	s_waitcnt lgkmcnt(0)
	; wave barrier
	s_and_saveexec_b64 s[4:5], vcc
	s_cbranch_execz .LBB38_398
; %bb.391:
	s_and_b64 vcc, exec, s[0:1]
	s_cbranch_vccnz .LBB38_393
; %bb.392:
	scratch_load_dwordx2 v[82:83], v11, off
	ds_read_b64 v[84:85], v1
	s_waitcnt vmcnt(0) lgkmcnt(0)
	v_mul_f64 v[82:83], v[82:83], v[84:85]
	s_cbranch_execz .LBB38_394
	s_branch .LBB38_395
.LBB38_393:
                                        ; implicit-def: $vgpr82_vgpr83
.LBB38_394:
	ds_read_b64 v[82:83], v1
.LBB38_395:
	v_cmp_ne_u32_e32 vcc, 2, v0
	s_and_saveexec_b64 s[6:7], vcc
	s_cbranch_execz .LBB38_397
; %bb.396:
	scratch_load_dwordx2 v[84:85], v11, off offset:8
	scratch_load_dwordx2 v[86:87], off, off offset:16
	ds_read_b64 v[88:89], v1 offset:8
	v_mov_b32_e32 v90, 0
	ds_read_b64 v[90:91], v90 offset:336
	s_waitcnt vmcnt(1) lgkmcnt(1)
	v_fmac_f64_e32 v[82:83], v[84:85], v[88:89]
	s_waitcnt vmcnt(0) lgkmcnt(0)
	v_fma_f64 v[84:85], v[86:87], v[90:91], v[82:83]
	v_cndmask_b32_e64 v83, v83, v85, s[2:3]
	v_cndmask_b32_e64 v82, v82, v84, s[2:3]
.LBB38_397:
	s_or_b64 exec, exec, s[6:7]
	v_mov_b32_e32 v84, 0
	ds_read_b64 v[84:85], v84 offset:24
	s_waitcnt lgkmcnt(0)
	v_mul_f64 v[82:83], v[82:83], v[84:85]
	scratch_store_dwordx2 off, v[82:83], off offset:24
.LBB38_398:
	s_or_b64 exec, exec, s[4:5]
	scratch_load_dwordx2 v[82:83], off, off offset:32
	v_cmp_gt_u32_e32 vcc, 4, v0
	s_waitcnt vmcnt(0)
	ds_write_b64 v1, v[82:83]
	s_waitcnt lgkmcnt(0)
	; wave barrier
	s_and_saveexec_b64 s[2:3], vcc
	s_cbranch_execz .LBB38_408
; %bb.399:
	s_and_b64 vcc, exec, s[0:1]
	s_cbranch_vccnz .LBB38_401
; %bb.400:
	scratch_load_dwordx2 v[82:83], v11, off
	ds_read_b64 v[84:85], v1
	s_waitcnt vmcnt(0) lgkmcnt(0)
	v_mul_f64 v[82:83], v[82:83], v[84:85]
	s_cbranch_execz .LBB38_402
	s_branch .LBB38_403
.LBB38_401:
                                        ; implicit-def: $vgpr82_vgpr83
.LBB38_402:
	ds_read_b64 v[82:83], v1
.LBB38_403:
	v_cmp_ne_u32_e32 vcc, 3, v0
	s_and_saveexec_b64 s[4:5], vcc
	s_cbranch_execz .LBB38_407
; %bb.404:
	s_mov_b32 s6, 0
	v_add_u32_e32 v84, 0x148, v10
	v_add3_u32 v85, v10, s6, 8
	s_mov_b64 s[6:7], 0
	v_mov_b32_e32 v86, v0
.LBB38_405:                             ; =>This Inner Loop Header: Depth=1
	scratch_load_dwordx2 v[88:89], v85, off
	ds_read_b64 v[90:91], v84
	v_add_u32_e32 v86, 1, v86
	v_cmp_lt_u32_e32 vcc, 2, v86
	v_add_u32_e32 v84, 8, v84
	v_add_u32_e32 v85, 8, v85
	s_or_b64 s[6:7], vcc, s[6:7]
	s_waitcnt vmcnt(0) lgkmcnt(0)
	v_fmac_f64_e32 v[82:83], v[88:89], v[90:91]
	s_andn2_b64 exec, exec, s[6:7]
	s_cbranch_execnz .LBB38_405
; %bb.406:
	s_or_b64 exec, exec, s[6:7]
.LBB38_407:
	s_or_b64 exec, exec, s[4:5]
	v_mov_b32_e32 v84, 0
	ds_read_b64 v[84:85], v84 offset:32
	s_waitcnt lgkmcnt(0)
	v_mul_f64 v[82:83], v[82:83], v[84:85]
	scratch_store_dwordx2 off, v[82:83], off offset:32
.LBB38_408:
	s_or_b64 exec, exec, s[2:3]
	scratch_load_dwordx2 v[82:83], off, off offset:40
	v_cmp_gt_u32_e32 vcc, 5, v0
	s_waitcnt vmcnt(0)
	ds_write_b64 v1, v[82:83]
	s_waitcnt lgkmcnt(0)
	; wave barrier
	s_and_saveexec_b64 s[2:3], vcc
	s_cbranch_execz .LBB38_418
; %bb.409:
	s_and_b64 vcc, exec, s[0:1]
	s_cbranch_vccnz .LBB38_411
; %bb.410:
	scratch_load_dwordx2 v[82:83], v11, off
	ds_read_b64 v[84:85], v1
	s_waitcnt vmcnt(0) lgkmcnt(0)
	v_mul_f64 v[82:83], v[82:83], v[84:85]
	s_cbranch_execz .LBB38_412
	s_branch .LBB38_413
.LBB38_411:
                                        ; implicit-def: $vgpr82_vgpr83
.LBB38_412:
	ds_read_b64 v[82:83], v1
.LBB38_413:
	v_cmp_ne_u32_e32 vcc, 4, v0
	s_and_saveexec_b64 s[4:5], vcc
	s_cbranch_execz .LBB38_417
; %bb.414:
	s_mov_b32 s6, 0
	v_add_u32_e32 v84, 0x148, v10
	v_add3_u32 v85, v10, s6, 8
	s_mov_b64 s[6:7], 0
	v_mov_b32_e32 v86, v0
.LBB38_415:                             ; =>This Inner Loop Header: Depth=1
	scratch_load_dwordx2 v[88:89], v85, off
	ds_read_b64 v[90:91], v84
	v_add_u32_e32 v86, 1, v86
	v_cmp_lt_u32_e32 vcc, 3, v86
	v_add_u32_e32 v84, 8, v84
	v_add_u32_e32 v85, 8, v85
	s_or_b64 s[6:7], vcc, s[6:7]
	s_waitcnt vmcnt(0) lgkmcnt(0)
	v_fmac_f64_e32 v[82:83], v[88:89], v[90:91]
	s_andn2_b64 exec, exec, s[6:7]
	s_cbranch_execnz .LBB38_415
; %bb.416:
	s_or_b64 exec, exec, s[6:7]
.LBB38_417:
	s_or_b64 exec, exec, s[4:5]
	v_mov_b32_e32 v84, 0
	ds_read_b64 v[84:85], v84 offset:40
	s_waitcnt lgkmcnt(0)
	v_mul_f64 v[82:83], v[82:83], v[84:85]
	scratch_store_dwordx2 off, v[82:83], off offset:40
.LBB38_418:
	s_or_b64 exec, exec, s[2:3]
	scratch_load_dwordx2 v[82:83], off, off offset:48
	v_cmp_gt_u32_e32 vcc, 6, v0
	s_waitcnt vmcnt(0)
	ds_write_b64 v1, v[82:83]
	s_waitcnt lgkmcnt(0)
	; wave barrier
	s_and_saveexec_b64 s[2:3], vcc
	s_cbranch_execz .LBB38_428
; %bb.419:
	s_and_b64 vcc, exec, s[0:1]
	s_cbranch_vccnz .LBB38_421
; %bb.420:
	scratch_load_dwordx2 v[82:83], v11, off
	ds_read_b64 v[84:85], v1
	s_waitcnt vmcnt(0) lgkmcnt(0)
	v_mul_f64 v[82:83], v[82:83], v[84:85]
	s_cbranch_execz .LBB38_422
	s_branch .LBB38_423
.LBB38_421:
                                        ; implicit-def: $vgpr82_vgpr83
.LBB38_422:
	ds_read_b64 v[82:83], v1
.LBB38_423:
	v_cmp_ne_u32_e32 vcc, 5, v0
	s_and_saveexec_b64 s[4:5], vcc
	s_cbranch_execz .LBB38_427
; %bb.424:
	s_mov_b32 s6, 0
	v_add_u32_e32 v84, 0x148, v10
	v_add3_u32 v85, v10, s6, 8
	s_mov_b64 s[6:7], 0
	v_mov_b32_e32 v86, v0
.LBB38_425:                             ; =>This Inner Loop Header: Depth=1
	scratch_load_dwordx2 v[88:89], v85, off
	ds_read_b64 v[90:91], v84
	v_add_u32_e32 v86, 1, v86
	v_cmp_lt_u32_e32 vcc, 4, v86
	v_add_u32_e32 v84, 8, v84
	v_add_u32_e32 v85, 8, v85
	s_or_b64 s[6:7], vcc, s[6:7]
	s_waitcnt vmcnt(0) lgkmcnt(0)
	v_fmac_f64_e32 v[82:83], v[88:89], v[90:91]
	s_andn2_b64 exec, exec, s[6:7]
	s_cbranch_execnz .LBB38_425
; %bb.426:
	s_or_b64 exec, exec, s[6:7]
.LBB38_427:
	s_or_b64 exec, exec, s[4:5]
	v_mov_b32_e32 v84, 0
	ds_read_b64 v[84:85], v84 offset:48
	s_waitcnt lgkmcnt(0)
	v_mul_f64 v[82:83], v[82:83], v[84:85]
	scratch_store_dwordx2 off, v[82:83], off offset:48
.LBB38_428:
	s_or_b64 exec, exec, s[2:3]
	scratch_load_dwordx2 v[82:83], off, off offset:56
	v_cmp_gt_u32_e32 vcc, 7, v0
	s_waitcnt vmcnt(0)
	ds_write_b64 v1, v[82:83]
	s_waitcnt lgkmcnt(0)
	; wave barrier
	s_and_saveexec_b64 s[2:3], vcc
	s_cbranch_execz .LBB38_438
; %bb.429:
	s_and_b64 vcc, exec, s[0:1]
	s_cbranch_vccnz .LBB38_431
; %bb.430:
	scratch_load_dwordx2 v[82:83], v11, off
	ds_read_b64 v[84:85], v1
	s_waitcnt vmcnt(0) lgkmcnt(0)
	v_mul_f64 v[82:83], v[82:83], v[84:85]
	s_cbranch_execz .LBB38_432
	s_branch .LBB38_433
.LBB38_431:
                                        ; implicit-def: $vgpr82_vgpr83
.LBB38_432:
	ds_read_b64 v[82:83], v1
.LBB38_433:
	v_cmp_ne_u32_e32 vcc, 6, v0
	s_and_saveexec_b64 s[4:5], vcc
	s_cbranch_execz .LBB38_437
; %bb.434:
	s_mov_b32 s6, 0
	v_add_u32_e32 v84, 0x148, v10
	v_add3_u32 v85, v10, s6, 8
	s_mov_b64 s[6:7], 0
	v_mov_b32_e32 v86, v0
.LBB38_435:                             ; =>This Inner Loop Header: Depth=1
	scratch_load_dwordx2 v[88:89], v85, off
	ds_read_b64 v[90:91], v84
	v_add_u32_e32 v86, 1, v86
	v_cmp_lt_u32_e32 vcc, 5, v86
	v_add_u32_e32 v84, 8, v84
	v_add_u32_e32 v85, 8, v85
	s_or_b64 s[6:7], vcc, s[6:7]
	s_waitcnt vmcnt(0) lgkmcnt(0)
	v_fmac_f64_e32 v[82:83], v[88:89], v[90:91]
	s_andn2_b64 exec, exec, s[6:7]
	s_cbranch_execnz .LBB38_435
; %bb.436:
	s_or_b64 exec, exec, s[6:7]
.LBB38_437:
	s_or_b64 exec, exec, s[4:5]
	v_mov_b32_e32 v84, 0
	ds_read_b64 v[84:85], v84 offset:56
	s_waitcnt lgkmcnt(0)
	v_mul_f64 v[82:83], v[82:83], v[84:85]
	scratch_store_dwordx2 off, v[82:83], off offset:56
.LBB38_438:
	s_or_b64 exec, exec, s[2:3]
	scratch_load_dwordx2 v[82:83], off, off offset:64
	v_cmp_gt_u32_e32 vcc, 8, v0
	s_waitcnt vmcnt(0)
	ds_write_b64 v1, v[82:83]
	s_waitcnt lgkmcnt(0)
	; wave barrier
	s_and_saveexec_b64 s[2:3], vcc
	s_cbranch_execz .LBB38_448
; %bb.439:
	s_and_b64 vcc, exec, s[0:1]
	s_cbranch_vccnz .LBB38_441
; %bb.440:
	scratch_load_dwordx2 v[82:83], v11, off
	ds_read_b64 v[84:85], v1
	s_waitcnt vmcnt(0) lgkmcnt(0)
	v_mul_f64 v[82:83], v[82:83], v[84:85]
	s_cbranch_execz .LBB38_442
	s_branch .LBB38_443
.LBB38_441:
                                        ; implicit-def: $vgpr82_vgpr83
.LBB38_442:
	ds_read_b64 v[82:83], v1
.LBB38_443:
	v_cmp_ne_u32_e32 vcc, 7, v0
	s_and_saveexec_b64 s[4:5], vcc
	s_cbranch_execz .LBB38_447
; %bb.444:
	s_mov_b32 s6, 0
	v_add_u32_e32 v84, 0x148, v10
	v_add3_u32 v85, v10, s6, 8
	s_mov_b64 s[6:7], 0
	v_mov_b32_e32 v86, v0
.LBB38_445:                             ; =>This Inner Loop Header: Depth=1
	scratch_load_dwordx2 v[88:89], v85, off
	ds_read_b64 v[90:91], v84
	v_add_u32_e32 v86, 1, v86
	v_cmp_lt_u32_e32 vcc, 6, v86
	v_add_u32_e32 v84, 8, v84
	v_add_u32_e32 v85, 8, v85
	s_or_b64 s[6:7], vcc, s[6:7]
	s_waitcnt vmcnt(0) lgkmcnt(0)
	v_fmac_f64_e32 v[82:83], v[88:89], v[90:91]
	s_andn2_b64 exec, exec, s[6:7]
	s_cbranch_execnz .LBB38_445
; %bb.446:
	s_or_b64 exec, exec, s[6:7]
.LBB38_447:
	s_or_b64 exec, exec, s[4:5]
	v_mov_b32_e32 v84, 0
	ds_read_b64 v[84:85], v84 offset:64
	s_waitcnt lgkmcnt(0)
	v_mul_f64 v[82:83], v[82:83], v[84:85]
	scratch_store_dwordx2 off, v[82:83], off offset:64
.LBB38_448:
	s_or_b64 exec, exec, s[2:3]
	scratch_load_dwordx2 v[82:83], off, off offset:72
	v_cmp_gt_u32_e32 vcc, 9, v0
	s_waitcnt vmcnt(0)
	ds_write_b64 v1, v[82:83]
	s_waitcnt lgkmcnt(0)
	; wave barrier
	s_and_saveexec_b64 s[2:3], vcc
	s_cbranch_execz .LBB38_458
; %bb.449:
	s_and_b64 vcc, exec, s[0:1]
	s_cbranch_vccnz .LBB38_451
; %bb.450:
	scratch_load_dwordx2 v[82:83], v11, off
	ds_read_b64 v[84:85], v1
	s_waitcnt vmcnt(0) lgkmcnt(0)
	v_mul_f64 v[82:83], v[82:83], v[84:85]
	s_cbranch_execz .LBB38_452
	s_branch .LBB38_453
.LBB38_451:
                                        ; implicit-def: $vgpr82_vgpr83
.LBB38_452:
	ds_read_b64 v[82:83], v1
.LBB38_453:
	v_cmp_ne_u32_e32 vcc, 8, v0
	s_and_saveexec_b64 s[4:5], vcc
	s_cbranch_execz .LBB38_457
; %bb.454:
	s_mov_b32 s6, 0
	v_add_u32_e32 v84, 0x148, v10
	v_add3_u32 v85, v10, s6, 8
	s_mov_b64 s[6:7], 0
	v_mov_b32_e32 v86, v0
.LBB38_455:                             ; =>This Inner Loop Header: Depth=1
	scratch_load_dwordx2 v[88:89], v85, off
	ds_read_b64 v[90:91], v84
	v_add_u32_e32 v86, 1, v86
	v_cmp_lt_u32_e32 vcc, 7, v86
	v_add_u32_e32 v84, 8, v84
	v_add_u32_e32 v85, 8, v85
	s_or_b64 s[6:7], vcc, s[6:7]
	s_waitcnt vmcnt(0) lgkmcnt(0)
	v_fmac_f64_e32 v[82:83], v[88:89], v[90:91]
	s_andn2_b64 exec, exec, s[6:7]
	s_cbranch_execnz .LBB38_455
; %bb.456:
	s_or_b64 exec, exec, s[6:7]
.LBB38_457:
	s_or_b64 exec, exec, s[4:5]
	v_mov_b32_e32 v84, 0
	ds_read_b64 v[84:85], v84 offset:72
	s_waitcnt lgkmcnt(0)
	v_mul_f64 v[82:83], v[82:83], v[84:85]
	scratch_store_dwordx2 off, v[82:83], off offset:72
.LBB38_458:
	s_or_b64 exec, exec, s[2:3]
	scratch_load_dwordx2 v[82:83], off, off offset:80
	v_cmp_gt_u32_e32 vcc, 10, v0
	s_waitcnt vmcnt(0)
	ds_write_b64 v1, v[82:83]
	s_waitcnt lgkmcnt(0)
	; wave barrier
	s_and_saveexec_b64 s[2:3], vcc
	s_cbranch_execz .LBB38_468
; %bb.459:
	s_and_b64 vcc, exec, s[0:1]
	s_cbranch_vccnz .LBB38_461
; %bb.460:
	scratch_load_dwordx2 v[82:83], v11, off
	ds_read_b64 v[84:85], v1
	s_waitcnt vmcnt(0) lgkmcnt(0)
	v_mul_f64 v[82:83], v[82:83], v[84:85]
	s_cbranch_execz .LBB38_462
	s_branch .LBB38_463
.LBB38_461:
                                        ; implicit-def: $vgpr82_vgpr83
.LBB38_462:
	ds_read_b64 v[82:83], v1
.LBB38_463:
	v_cmp_ne_u32_e32 vcc, 9, v0
	s_and_saveexec_b64 s[4:5], vcc
	s_cbranch_execz .LBB38_467
; %bb.464:
	s_mov_b32 s6, 0
	v_add_u32_e32 v84, 0x148, v10
	v_add3_u32 v85, v10, s6, 8
	s_mov_b64 s[6:7], 0
	v_mov_b32_e32 v86, v0
.LBB38_465:                             ; =>This Inner Loop Header: Depth=1
	scratch_load_dwordx2 v[88:89], v85, off
	ds_read_b64 v[90:91], v84
	v_add_u32_e32 v86, 1, v86
	v_cmp_lt_u32_e32 vcc, 8, v86
	v_add_u32_e32 v84, 8, v84
	v_add_u32_e32 v85, 8, v85
	s_or_b64 s[6:7], vcc, s[6:7]
	s_waitcnt vmcnt(0) lgkmcnt(0)
	v_fmac_f64_e32 v[82:83], v[88:89], v[90:91]
	s_andn2_b64 exec, exec, s[6:7]
	s_cbranch_execnz .LBB38_465
; %bb.466:
	s_or_b64 exec, exec, s[6:7]
.LBB38_467:
	s_or_b64 exec, exec, s[4:5]
	v_mov_b32_e32 v84, 0
	ds_read_b64 v[84:85], v84 offset:80
	s_waitcnt lgkmcnt(0)
	v_mul_f64 v[82:83], v[82:83], v[84:85]
	scratch_store_dwordx2 off, v[82:83], off offset:80
.LBB38_468:
	s_or_b64 exec, exec, s[2:3]
	scratch_load_dwordx2 v[82:83], off, off offset:88
	v_cmp_gt_u32_e32 vcc, 11, v0
	s_waitcnt vmcnt(0)
	ds_write_b64 v1, v[82:83]
	s_waitcnt lgkmcnt(0)
	; wave barrier
	s_and_saveexec_b64 s[2:3], vcc
	s_cbranch_execz .LBB38_478
; %bb.469:
	s_and_b64 vcc, exec, s[0:1]
	s_cbranch_vccnz .LBB38_471
; %bb.470:
	scratch_load_dwordx2 v[82:83], v11, off
	ds_read_b64 v[84:85], v1
	s_waitcnt vmcnt(0) lgkmcnt(0)
	v_mul_f64 v[82:83], v[82:83], v[84:85]
	s_cbranch_execz .LBB38_472
	s_branch .LBB38_473
.LBB38_471:
                                        ; implicit-def: $vgpr82_vgpr83
.LBB38_472:
	ds_read_b64 v[82:83], v1
.LBB38_473:
	v_cmp_ne_u32_e32 vcc, 10, v0
	s_and_saveexec_b64 s[4:5], vcc
	s_cbranch_execz .LBB38_477
; %bb.474:
	s_mov_b32 s6, 0
	v_add_u32_e32 v84, 0x148, v10
	v_add3_u32 v85, v10, s6, 8
	s_mov_b64 s[6:7], 0
	v_mov_b32_e32 v86, v0
.LBB38_475:                             ; =>This Inner Loop Header: Depth=1
	scratch_load_dwordx2 v[88:89], v85, off
	ds_read_b64 v[90:91], v84
	v_add_u32_e32 v86, 1, v86
	v_cmp_lt_u32_e32 vcc, 9, v86
	v_add_u32_e32 v84, 8, v84
	v_add_u32_e32 v85, 8, v85
	s_or_b64 s[6:7], vcc, s[6:7]
	s_waitcnt vmcnt(0) lgkmcnt(0)
	v_fmac_f64_e32 v[82:83], v[88:89], v[90:91]
	s_andn2_b64 exec, exec, s[6:7]
	s_cbranch_execnz .LBB38_475
; %bb.476:
	s_or_b64 exec, exec, s[6:7]
.LBB38_477:
	s_or_b64 exec, exec, s[4:5]
	v_mov_b32_e32 v84, 0
	ds_read_b64 v[84:85], v84 offset:88
	s_waitcnt lgkmcnt(0)
	v_mul_f64 v[82:83], v[82:83], v[84:85]
	scratch_store_dwordx2 off, v[82:83], off offset:88
.LBB38_478:
	s_or_b64 exec, exec, s[2:3]
	scratch_load_dwordx2 v[82:83], off, off offset:96
	v_cmp_gt_u32_e32 vcc, 12, v0
	s_waitcnt vmcnt(0)
	ds_write_b64 v1, v[82:83]
	s_waitcnt lgkmcnt(0)
	; wave barrier
	s_and_saveexec_b64 s[2:3], vcc
	s_cbranch_execz .LBB38_488
; %bb.479:
	s_and_b64 vcc, exec, s[0:1]
	s_cbranch_vccnz .LBB38_481
; %bb.480:
	scratch_load_dwordx2 v[82:83], v11, off
	ds_read_b64 v[84:85], v1
	s_waitcnt vmcnt(0) lgkmcnt(0)
	v_mul_f64 v[82:83], v[82:83], v[84:85]
	s_cbranch_execz .LBB38_482
	s_branch .LBB38_483
.LBB38_481:
                                        ; implicit-def: $vgpr82_vgpr83
.LBB38_482:
	ds_read_b64 v[82:83], v1
.LBB38_483:
	v_cmp_ne_u32_e32 vcc, 11, v0
	s_and_saveexec_b64 s[4:5], vcc
	s_cbranch_execz .LBB38_487
; %bb.484:
	s_mov_b32 s6, 0
	v_add_u32_e32 v84, 0x148, v10
	v_add3_u32 v85, v10, s6, 8
	s_mov_b64 s[6:7], 0
	v_mov_b32_e32 v86, v0
.LBB38_485:                             ; =>This Inner Loop Header: Depth=1
	scratch_load_dwordx2 v[88:89], v85, off
	ds_read_b64 v[90:91], v84
	v_add_u32_e32 v86, 1, v86
	v_cmp_lt_u32_e32 vcc, 10, v86
	v_add_u32_e32 v84, 8, v84
	v_add_u32_e32 v85, 8, v85
	s_or_b64 s[6:7], vcc, s[6:7]
	s_waitcnt vmcnt(0) lgkmcnt(0)
	v_fmac_f64_e32 v[82:83], v[88:89], v[90:91]
	s_andn2_b64 exec, exec, s[6:7]
	s_cbranch_execnz .LBB38_485
; %bb.486:
	s_or_b64 exec, exec, s[6:7]
.LBB38_487:
	s_or_b64 exec, exec, s[4:5]
	v_mov_b32_e32 v84, 0
	ds_read_b64 v[84:85], v84 offset:96
	s_waitcnt lgkmcnt(0)
	v_mul_f64 v[82:83], v[82:83], v[84:85]
	scratch_store_dwordx2 off, v[82:83], off offset:96
.LBB38_488:
	s_or_b64 exec, exec, s[2:3]
	scratch_load_dwordx2 v[82:83], off, off offset:104
	v_cmp_gt_u32_e32 vcc, 13, v0
	s_waitcnt vmcnt(0)
	ds_write_b64 v1, v[82:83]
	s_waitcnt lgkmcnt(0)
	; wave barrier
	s_and_saveexec_b64 s[2:3], vcc
	s_cbranch_execz .LBB38_498
; %bb.489:
	s_and_b64 vcc, exec, s[0:1]
	s_cbranch_vccnz .LBB38_491
; %bb.490:
	scratch_load_dwordx2 v[82:83], v11, off
	ds_read_b64 v[84:85], v1
	s_waitcnt vmcnt(0) lgkmcnt(0)
	v_mul_f64 v[82:83], v[82:83], v[84:85]
	s_cbranch_execz .LBB38_492
	s_branch .LBB38_493
.LBB38_491:
                                        ; implicit-def: $vgpr82_vgpr83
.LBB38_492:
	ds_read_b64 v[82:83], v1
.LBB38_493:
	v_cmp_ne_u32_e32 vcc, 12, v0
	s_and_saveexec_b64 s[4:5], vcc
	s_cbranch_execz .LBB38_497
; %bb.494:
	s_mov_b32 s6, 0
	v_add_u32_e32 v84, 0x148, v10
	v_add3_u32 v85, v10, s6, 8
	s_mov_b64 s[6:7], 0
	v_mov_b32_e32 v86, v0
.LBB38_495:                             ; =>This Inner Loop Header: Depth=1
	scratch_load_dwordx2 v[88:89], v85, off
	ds_read_b64 v[90:91], v84
	v_add_u32_e32 v86, 1, v86
	v_cmp_lt_u32_e32 vcc, 11, v86
	v_add_u32_e32 v84, 8, v84
	v_add_u32_e32 v85, 8, v85
	s_or_b64 s[6:7], vcc, s[6:7]
	s_waitcnt vmcnt(0) lgkmcnt(0)
	v_fmac_f64_e32 v[82:83], v[88:89], v[90:91]
	s_andn2_b64 exec, exec, s[6:7]
	s_cbranch_execnz .LBB38_495
; %bb.496:
	s_or_b64 exec, exec, s[6:7]
.LBB38_497:
	s_or_b64 exec, exec, s[4:5]
	v_mov_b32_e32 v84, 0
	ds_read_b64 v[84:85], v84 offset:104
	s_waitcnt lgkmcnt(0)
	v_mul_f64 v[82:83], v[82:83], v[84:85]
	scratch_store_dwordx2 off, v[82:83], off offset:104
.LBB38_498:
	s_or_b64 exec, exec, s[2:3]
	scratch_load_dwordx2 v[82:83], off, off offset:112
	v_cmp_gt_u32_e32 vcc, 14, v0
	s_waitcnt vmcnt(0)
	ds_write_b64 v1, v[82:83]
	s_waitcnt lgkmcnt(0)
	; wave barrier
	s_and_saveexec_b64 s[2:3], vcc
	s_cbranch_execz .LBB38_508
; %bb.499:
	s_and_b64 vcc, exec, s[0:1]
	s_cbranch_vccnz .LBB38_501
; %bb.500:
	scratch_load_dwordx2 v[82:83], v11, off
	ds_read_b64 v[84:85], v1
	s_waitcnt vmcnt(0) lgkmcnt(0)
	v_mul_f64 v[82:83], v[82:83], v[84:85]
	s_cbranch_execz .LBB38_502
	s_branch .LBB38_503
.LBB38_501:
                                        ; implicit-def: $vgpr82_vgpr83
.LBB38_502:
	ds_read_b64 v[82:83], v1
.LBB38_503:
	v_cmp_ne_u32_e32 vcc, 13, v0
	s_and_saveexec_b64 s[4:5], vcc
	s_cbranch_execz .LBB38_507
; %bb.504:
	s_mov_b32 s6, 0
	v_add_u32_e32 v84, 0x148, v10
	v_add3_u32 v85, v10, s6, 8
	s_mov_b64 s[6:7], 0
	v_mov_b32_e32 v86, v0
.LBB38_505:                             ; =>This Inner Loop Header: Depth=1
	scratch_load_dwordx2 v[88:89], v85, off
	ds_read_b64 v[90:91], v84
	v_add_u32_e32 v86, 1, v86
	v_cmp_lt_u32_e32 vcc, 12, v86
	v_add_u32_e32 v84, 8, v84
	v_add_u32_e32 v85, 8, v85
	s_or_b64 s[6:7], vcc, s[6:7]
	s_waitcnt vmcnt(0) lgkmcnt(0)
	v_fmac_f64_e32 v[82:83], v[88:89], v[90:91]
	s_andn2_b64 exec, exec, s[6:7]
	s_cbranch_execnz .LBB38_505
; %bb.506:
	s_or_b64 exec, exec, s[6:7]
.LBB38_507:
	s_or_b64 exec, exec, s[4:5]
	v_mov_b32_e32 v84, 0
	ds_read_b64 v[84:85], v84 offset:112
	s_waitcnt lgkmcnt(0)
	v_mul_f64 v[82:83], v[82:83], v[84:85]
	scratch_store_dwordx2 off, v[82:83], off offset:112
.LBB38_508:
	s_or_b64 exec, exec, s[2:3]
	scratch_load_dwordx2 v[82:83], off, off offset:120
	v_cmp_gt_u32_e32 vcc, 15, v0
	s_waitcnt vmcnt(0)
	ds_write_b64 v1, v[82:83]
	s_waitcnt lgkmcnt(0)
	; wave barrier
	s_and_saveexec_b64 s[2:3], vcc
	s_cbranch_execz .LBB38_518
; %bb.509:
	s_and_b64 vcc, exec, s[0:1]
	s_cbranch_vccnz .LBB38_511
; %bb.510:
	scratch_load_dwordx2 v[82:83], v11, off
	ds_read_b64 v[84:85], v1
	s_waitcnt vmcnt(0) lgkmcnt(0)
	v_mul_f64 v[82:83], v[82:83], v[84:85]
	s_cbranch_execz .LBB38_512
	s_branch .LBB38_513
.LBB38_511:
                                        ; implicit-def: $vgpr82_vgpr83
.LBB38_512:
	ds_read_b64 v[82:83], v1
.LBB38_513:
	v_cmp_ne_u32_e32 vcc, 14, v0
	s_and_saveexec_b64 s[4:5], vcc
	s_cbranch_execz .LBB38_517
; %bb.514:
	s_mov_b32 s6, 0
	v_add_u32_e32 v84, 0x148, v10
	v_add3_u32 v85, v10, s6, 8
	s_mov_b64 s[6:7], 0
	v_mov_b32_e32 v86, v0
.LBB38_515:                             ; =>This Inner Loop Header: Depth=1
	scratch_load_dwordx2 v[88:89], v85, off
	ds_read_b64 v[90:91], v84
	v_add_u32_e32 v86, 1, v86
	v_cmp_lt_u32_e32 vcc, 13, v86
	v_add_u32_e32 v84, 8, v84
	v_add_u32_e32 v85, 8, v85
	s_or_b64 s[6:7], vcc, s[6:7]
	s_waitcnt vmcnt(0) lgkmcnt(0)
	v_fmac_f64_e32 v[82:83], v[88:89], v[90:91]
	s_andn2_b64 exec, exec, s[6:7]
	s_cbranch_execnz .LBB38_515
; %bb.516:
	s_or_b64 exec, exec, s[6:7]
.LBB38_517:
	s_or_b64 exec, exec, s[4:5]
	v_mov_b32_e32 v84, 0
	ds_read_b64 v[84:85], v84 offset:120
	s_waitcnt lgkmcnt(0)
	v_mul_f64 v[82:83], v[82:83], v[84:85]
	scratch_store_dwordx2 off, v[82:83], off offset:120
.LBB38_518:
	s_or_b64 exec, exec, s[2:3]
	scratch_load_dwordx2 v[82:83], off, off offset:128
	v_cmp_gt_u32_e32 vcc, 16, v0
	s_waitcnt vmcnt(0)
	ds_write_b64 v1, v[82:83]
	s_waitcnt lgkmcnt(0)
	; wave barrier
	s_and_saveexec_b64 s[2:3], vcc
	s_cbranch_execz .LBB38_528
; %bb.519:
	s_and_b64 vcc, exec, s[0:1]
	s_cbranch_vccnz .LBB38_521
; %bb.520:
	scratch_load_dwordx2 v[82:83], v11, off
	ds_read_b64 v[84:85], v1
	s_waitcnt vmcnt(0) lgkmcnt(0)
	v_mul_f64 v[82:83], v[82:83], v[84:85]
	s_cbranch_execz .LBB38_522
	s_branch .LBB38_523
.LBB38_521:
                                        ; implicit-def: $vgpr82_vgpr83
.LBB38_522:
	ds_read_b64 v[82:83], v1
.LBB38_523:
	v_cmp_ne_u32_e32 vcc, 15, v0
	s_and_saveexec_b64 s[4:5], vcc
	s_cbranch_execz .LBB38_527
; %bb.524:
	s_mov_b32 s6, 0
	v_add_u32_e32 v84, 0x148, v10
	v_add3_u32 v85, v10, s6, 8
	s_mov_b64 s[6:7], 0
	v_mov_b32_e32 v86, v0
.LBB38_525:                             ; =>This Inner Loop Header: Depth=1
	scratch_load_dwordx2 v[88:89], v85, off
	ds_read_b64 v[90:91], v84
	v_add_u32_e32 v86, 1, v86
	v_cmp_lt_u32_e32 vcc, 14, v86
	v_add_u32_e32 v84, 8, v84
	v_add_u32_e32 v85, 8, v85
	s_or_b64 s[6:7], vcc, s[6:7]
	s_waitcnt vmcnt(0) lgkmcnt(0)
	v_fmac_f64_e32 v[82:83], v[88:89], v[90:91]
	s_andn2_b64 exec, exec, s[6:7]
	s_cbranch_execnz .LBB38_525
; %bb.526:
	s_or_b64 exec, exec, s[6:7]
.LBB38_527:
	s_or_b64 exec, exec, s[4:5]
	v_mov_b32_e32 v84, 0
	ds_read_b64 v[84:85], v84 offset:128
	s_waitcnt lgkmcnt(0)
	v_mul_f64 v[82:83], v[82:83], v[84:85]
	scratch_store_dwordx2 off, v[82:83], off offset:128
.LBB38_528:
	s_or_b64 exec, exec, s[2:3]
	scratch_load_dwordx2 v[82:83], off, off offset:136
	v_cmp_gt_u32_e32 vcc, 17, v0
	s_waitcnt vmcnt(0)
	ds_write_b64 v1, v[82:83]
	s_waitcnt lgkmcnt(0)
	; wave barrier
	s_and_saveexec_b64 s[2:3], vcc
	s_cbranch_execz .LBB38_538
; %bb.529:
	s_and_b64 vcc, exec, s[0:1]
	s_cbranch_vccnz .LBB38_531
; %bb.530:
	scratch_load_dwordx2 v[82:83], v11, off
	ds_read_b64 v[84:85], v1
	s_waitcnt vmcnt(0) lgkmcnt(0)
	v_mul_f64 v[82:83], v[82:83], v[84:85]
	s_cbranch_execz .LBB38_532
	s_branch .LBB38_533
.LBB38_531:
                                        ; implicit-def: $vgpr82_vgpr83
.LBB38_532:
	ds_read_b64 v[82:83], v1
.LBB38_533:
	v_cmp_ne_u32_e32 vcc, 16, v0
	s_and_saveexec_b64 s[4:5], vcc
	s_cbranch_execz .LBB38_537
; %bb.534:
	s_mov_b32 s6, 0
	v_add_u32_e32 v84, 0x148, v10
	v_add3_u32 v85, v10, s6, 8
	s_mov_b64 s[6:7], 0
	v_mov_b32_e32 v86, v0
.LBB38_535:                             ; =>This Inner Loop Header: Depth=1
	scratch_load_dwordx2 v[88:89], v85, off
	ds_read_b64 v[90:91], v84
	v_add_u32_e32 v86, 1, v86
	v_cmp_lt_u32_e32 vcc, 15, v86
	v_add_u32_e32 v84, 8, v84
	v_add_u32_e32 v85, 8, v85
	s_or_b64 s[6:7], vcc, s[6:7]
	s_waitcnt vmcnt(0) lgkmcnt(0)
	v_fmac_f64_e32 v[82:83], v[88:89], v[90:91]
	s_andn2_b64 exec, exec, s[6:7]
	s_cbranch_execnz .LBB38_535
; %bb.536:
	s_or_b64 exec, exec, s[6:7]
.LBB38_537:
	s_or_b64 exec, exec, s[4:5]
	v_mov_b32_e32 v84, 0
	ds_read_b64 v[84:85], v84 offset:136
	s_waitcnt lgkmcnt(0)
	v_mul_f64 v[82:83], v[82:83], v[84:85]
	scratch_store_dwordx2 off, v[82:83], off offset:136
.LBB38_538:
	s_or_b64 exec, exec, s[2:3]
	scratch_load_dwordx2 v[82:83], off, off offset:144
	v_cmp_gt_u32_e32 vcc, 18, v0
	s_waitcnt vmcnt(0)
	ds_write_b64 v1, v[82:83]
	s_waitcnt lgkmcnt(0)
	; wave barrier
	s_and_saveexec_b64 s[2:3], vcc
	s_cbranch_execz .LBB38_548
; %bb.539:
	s_and_b64 vcc, exec, s[0:1]
	s_cbranch_vccnz .LBB38_541
; %bb.540:
	scratch_load_dwordx2 v[82:83], v11, off
	ds_read_b64 v[84:85], v1
	s_waitcnt vmcnt(0) lgkmcnt(0)
	v_mul_f64 v[82:83], v[82:83], v[84:85]
	s_cbranch_execz .LBB38_542
	s_branch .LBB38_543
.LBB38_541:
                                        ; implicit-def: $vgpr82_vgpr83
.LBB38_542:
	ds_read_b64 v[82:83], v1
.LBB38_543:
	v_cmp_ne_u32_e32 vcc, 17, v0
	s_and_saveexec_b64 s[4:5], vcc
	s_cbranch_execz .LBB38_547
; %bb.544:
	s_mov_b32 s6, 0
	v_add_u32_e32 v84, 0x148, v10
	v_add3_u32 v85, v10, s6, 8
	s_mov_b64 s[6:7], 0
	v_mov_b32_e32 v86, v0
.LBB38_545:                             ; =>This Inner Loop Header: Depth=1
	scratch_load_dwordx2 v[88:89], v85, off
	ds_read_b64 v[90:91], v84
	v_add_u32_e32 v86, 1, v86
	v_cmp_lt_u32_e32 vcc, 16, v86
	v_add_u32_e32 v84, 8, v84
	v_add_u32_e32 v85, 8, v85
	s_or_b64 s[6:7], vcc, s[6:7]
	s_waitcnt vmcnt(0) lgkmcnt(0)
	v_fmac_f64_e32 v[82:83], v[88:89], v[90:91]
	s_andn2_b64 exec, exec, s[6:7]
	s_cbranch_execnz .LBB38_545
; %bb.546:
	s_or_b64 exec, exec, s[6:7]
.LBB38_547:
	s_or_b64 exec, exec, s[4:5]
	v_mov_b32_e32 v84, 0
	ds_read_b64 v[84:85], v84 offset:144
	s_waitcnt lgkmcnt(0)
	v_mul_f64 v[82:83], v[82:83], v[84:85]
	scratch_store_dwordx2 off, v[82:83], off offset:144
.LBB38_548:
	s_or_b64 exec, exec, s[2:3]
	scratch_load_dwordx2 v[82:83], off, off offset:152
	v_cmp_gt_u32_e32 vcc, 19, v0
	s_waitcnt vmcnt(0)
	ds_write_b64 v1, v[82:83]
	s_waitcnt lgkmcnt(0)
	; wave barrier
	s_and_saveexec_b64 s[2:3], vcc
	s_cbranch_execz .LBB38_558
; %bb.549:
	s_and_b64 vcc, exec, s[0:1]
	s_cbranch_vccnz .LBB38_551
; %bb.550:
	scratch_load_dwordx2 v[82:83], v11, off
	ds_read_b64 v[84:85], v1
	s_waitcnt vmcnt(0) lgkmcnt(0)
	v_mul_f64 v[82:83], v[82:83], v[84:85]
	s_cbranch_execz .LBB38_552
	s_branch .LBB38_553
.LBB38_551:
                                        ; implicit-def: $vgpr82_vgpr83
.LBB38_552:
	ds_read_b64 v[82:83], v1
.LBB38_553:
	v_cmp_ne_u32_e32 vcc, 18, v0
	s_and_saveexec_b64 s[4:5], vcc
	s_cbranch_execz .LBB38_557
; %bb.554:
	s_mov_b32 s6, 0
	v_add_u32_e32 v84, 0x148, v10
	v_add3_u32 v85, v10, s6, 8
	s_mov_b64 s[6:7], 0
	v_mov_b32_e32 v86, v0
.LBB38_555:                             ; =>This Inner Loop Header: Depth=1
	scratch_load_dwordx2 v[88:89], v85, off
	ds_read_b64 v[90:91], v84
	v_add_u32_e32 v86, 1, v86
	v_cmp_lt_u32_e32 vcc, 17, v86
	v_add_u32_e32 v84, 8, v84
	v_add_u32_e32 v85, 8, v85
	s_or_b64 s[6:7], vcc, s[6:7]
	s_waitcnt vmcnt(0) lgkmcnt(0)
	v_fmac_f64_e32 v[82:83], v[88:89], v[90:91]
	s_andn2_b64 exec, exec, s[6:7]
	s_cbranch_execnz .LBB38_555
; %bb.556:
	s_or_b64 exec, exec, s[6:7]
.LBB38_557:
	s_or_b64 exec, exec, s[4:5]
	v_mov_b32_e32 v84, 0
	ds_read_b64 v[84:85], v84 offset:152
	s_waitcnt lgkmcnt(0)
	v_mul_f64 v[82:83], v[82:83], v[84:85]
	scratch_store_dwordx2 off, v[82:83], off offset:152
.LBB38_558:
	s_or_b64 exec, exec, s[2:3]
	scratch_load_dwordx2 v[82:83], off, off offset:160
	v_cmp_gt_u32_e32 vcc, 20, v0
	s_waitcnt vmcnt(0)
	ds_write_b64 v1, v[82:83]
	s_waitcnt lgkmcnt(0)
	; wave barrier
	s_and_saveexec_b64 s[2:3], vcc
	s_cbranch_execz .LBB38_568
; %bb.559:
	s_and_b64 vcc, exec, s[0:1]
	s_cbranch_vccnz .LBB38_561
; %bb.560:
	scratch_load_dwordx2 v[82:83], v11, off
	ds_read_b64 v[84:85], v1
	s_waitcnt vmcnt(0) lgkmcnt(0)
	v_mul_f64 v[82:83], v[82:83], v[84:85]
	s_cbranch_execz .LBB38_562
	s_branch .LBB38_563
.LBB38_561:
                                        ; implicit-def: $vgpr82_vgpr83
.LBB38_562:
	ds_read_b64 v[82:83], v1
.LBB38_563:
	v_cmp_ne_u32_e32 vcc, 19, v0
	s_and_saveexec_b64 s[4:5], vcc
	s_cbranch_execz .LBB38_567
; %bb.564:
	s_mov_b32 s6, 0
	v_add_u32_e32 v84, 0x148, v10
	v_add3_u32 v85, v10, s6, 8
	s_mov_b64 s[6:7], 0
	v_mov_b32_e32 v86, v0
.LBB38_565:                             ; =>This Inner Loop Header: Depth=1
	scratch_load_dwordx2 v[88:89], v85, off
	ds_read_b64 v[90:91], v84
	v_add_u32_e32 v86, 1, v86
	v_cmp_lt_u32_e32 vcc, 18, v86
	v_add_u32_e32 v84, 8, v84
	v_add_u32_e32 v85, 8, v85
	s_or_b64 s[6:7], vcc, s[6:7]
	s_waitcnt vmcnt(0) lgkmcnt(0)
	v_fmac_f64_e32 v[82:83], v[88:89], v[90:91]
	s_andn2_b64 exec, exec, s[6:7]
	s_cbranch_execnz .LBB38_565
; %bb.566:
	s_or_b64 exec, exec, s[6:7]
.LBB38_567:
	s_or_b64 exec, exec, s[4:5]
	v_mov_b32_e32 v84, 0
	ds_read_b64 v[84:85], v84 offset:160
	s_waitcnt lgkmcnt(0)
	v_mul_f64 v[82:83], v[82:83], v[84:85]
	scratch_store_dwordx2 off, v[82:83], off offset:160
.LBB38_568:
	s_or_b64 exec, exec, s[2:3]
	scratch_load_dwordx2 v[82:83], off, off offset:168
	v_cmp_gt_u32_e32 vcc, 21, v0
	s_waitcnt vmcnt(0)
	ds_write_b64 v1, v[82:83]
	s_waitcnt lgkmcnt(0)
	; wave barrier
	s_and_saveexec_b64 s[2:3], vcc
	s_cbranch_execz .LBB38_578
; %bb.569:
	s_and_b64 vcc, exec, s[0:1]
	s_cbranch_vccnz .LBB38_571
; %bb.570:
	scratch_load_dwordx2 v[82:83], v11, off
	ds_read_b64 v[84:85], v1
	s_waitcnt vmcnt(0) lgkmcnt(0)
	v_mul_f64 v[82:83], v[82:83], v[84:85]
	s_cbranch_execz .LBB38_572
	s_branch .LBB38_573
.LBB38_571:
                                        ; implicit-def: $vgpr82_vgpr83
.LBB38_572:
	ds_read_b64 v[82:83], v1
.LBB38_573:
	v_cmp_ne_u32_e32 vcc, 20, v0
	s_and_saveexec_b64 s[4:5], vcc
	s_cbranch_execz .LBB38_577
; %bb.574:
	s_mov_b32 s6, 0
	v_add_u32_e32 v84, 0x148, v10
	v_add3_u32 v85, v10, s6, 8
	s_mov_b64 s[6:7], 0
	v_mov_b32_e32 v86, v0
.LBB38_575:                             ; =>This Inner Loop Header: Depth=1
	scratch_load_dwordx2 v[88:89], v85, off
	ds_read_b64 v[90:91], v84
	v_add_u32_e32 v86, 1, v86
	v_cmp_lt_u32_e32 vcc, 19, v86
	v_add_u32_e32 v84, 8, v84
	v_add_u32_e32 v85, 8, v85
	s_or_b64 s[6:7], vcc, s[6:7]
	s_waitcnt vmcnt(0) lgkmcnt(0)
	v_fmac_f64_e32 v[82:83], v[88:89], v[90:91]
	s_andn2_b64 exec, exec, s[6:7]
	s_cbranch_execnz .LBB38_575
; %bb.576:
	s_or_b64 exec, exec, s[6:7]
.LBB38_577:
	s_or_b64 exec, exec, s[4:5]
	v_mov_b32_e32 v84, 0
	ds_read_b64 v[84:85], v84 offset:168
	s_waitcnt lgkmcnt(0)
	v_mul_f64 v[82:83], v[82:83], v[84:85]
	scratch_store_dwordx2 off, v[82:83], off offset:168
.LBB38_578:
	s_or_b64 exec, exec, s[2:3]
	scratch_load_dwordx2 v[82:83], off, off offset:176
	v_cmp_gt_u32_e32 vcc, 22, v0
	s_waitcnt vmcnt(0)
	ds_write_b64 v1, v[82:83]
	s_waitcnt lgkmcnt(0)
	; wave barrier
	s_and_saveexec_b64 s[2:3], vcc
	s_cbranch_execz .LBB38_588
; %bb.579:
	s_and_b64 vcc, exec, s[0:1]
	s_cbranch_vccnz .LBB38_581
; %bb.580:
	scratch_load_dwordx2 v[82:83], v11, off
	ds_read_b64 v[84:85], v1
	s_waitcnt vmcnt(0) lgkmcnt(0)
	v_mul_f64 v[82:83], v[82:83], v[84:85]
	s_cbranch_execz .LBB38_582
	s_branch .LBB38_583
.LBB38_581:
                                        ; implicit-def: $vgpr82_vgpr83
.LBB38_582:
	ds_read_b64 v[82:83], v1
.LBB38_583:
	v_cmp_ne_u32_e32 vcc, 21, v0
	s_and_saveexec_b64 s[4:5], vcc
	s_cbranch_execz .LBB38_587
; %bb.584:
	s_mov_b32 s6, 0
	v_add_u32_e32 v84, 0x148, v10
	v_add3_u32 v85, v10, s6, 8
	s_mov_b64 s[6:7], 0
	v_mov_b32_e32 v86, v0
.LBB38_585:                             ; =>This Inner Loop Header: Depth=1
	scratch_load_dwordx2 v[88:89], v85, off
	ds_read_b64 v[90:91], v84
	v_add_u32_e32 v86, 1, v86
	v_cmp_lt_u32_e32 vcc, 20, v86
	v_add_u32_e32 v84, 8, v84
	v_add_u32_e32 v85, 8, v85
	s_or_b64 s[6:7], vcc, s[6:7]
	s_waitcnt vmcnt(0) lgkmcnt(0)
	v_fmac_f64_e32 v[82:83], v[88:89], v[90:91]
	s_andn2_b64 exec, exec, s[6:7]
	s_cbranch_execnz .LBB38_585
; %bb.586:
	s_or_b64 exec, exec, s[6:7]
.LBB38_587:
	s_or_b64 exec, exec, s[4:5]
	v_mov_b32_e32 v84, 0
	ds_read_b64 v[84:85], v84 offset:176
	s_waitcnt lgkmcnt(0)
	v_mul_f64 v[82:83], v[82:83], v[84:85]
	scratch_store_dwordx2 off, v[82:83], off offset:176
.LBB38_588:
	s_or_b64 exec, exec, s[2:3]
	scratch_load_dwordx2 v[82:83], off, off offset:184
	v_cmp_gt_u32_e32 vcc, 23, v0
	s_waitcnt vmcnt(0)
	ds_write_b64 v1, v[82:83]
	s_waitcnt lgkmcnt(0)
	; wave barrier
	s_and_saveexec_b64 s[2:3], vcc
	s_cbranch_execz .LBB38_598
; %bb.589:
	s_and_b64 vcc, exec, s[0:1]
	s_cbranch_vccnz .LBB38_591
; %bb.590:
	scratch_load_dwordx2 v[82:83], v11, off
	ds_read_b64 v[84:85], v1
	s_waitcnt vmcnt(0) lgkmcnt(0)
	v_mul_f64 v[82:83], v[82:83], v[84:85]
	s_cbranch_execz .LBB38_592
	s_branch .LBB38_593
.LBB38_591:
                                        ; implicit-def: $vgpr82_vgpr83
.LBB38_592:
	ds_read_b64 v[82:83], v1
.LBB38_593:
	v_cmp_ne_u32_e32 vcc, 22, v0
	s_and_saveexec_b64 s[4:5], vcc
	s_cbranch_execz .LBB38_597
; %bb.594:
	s_mov_b32 s6, 0
	v_add_u32_e32 v84, 0x148, v10
	v_add3_u32 v85, v10, s6, 8
	s_mov_b64 s[6:7], 0
	v_mov_b32_e32 v86, v0
.LBB38_595:                             ; =>This Inner Loop Header: Depth=1
	scratch_load_dwordx2 v[88:89], v85, off
	ds_read_b64 v[90:91], v84
	v_add_u32_e32 v86, 1, v86
	v_cmp_lt_u32_e32 vcc, 21, v86
	v_add_u32_e32 v84, 8, v84
	v_add_u32_e32 v85, 8, v85
	s_or_b64 s[6:7], vcc, s[6:7]
	s_waitcnt vmcnt(0) lgkmcnt(0)
	v_fmac_f64_e32 v[82:83], v[88:89], v[90:91]
	s_andn2_b64 exec, exec, s[6:7]
	s_cbranch_execnz .LBB38_595
; %bb.596:
	s_or_b64 exec, exec, s[6:7]
.LBB38_597:
	s_or_b64 exec, exec, s[4:5]
	v_mov_b32_e32 v84, 0
	ds_read_b64 v[84:85], v84 offset:184
	s_waitcnt lgkmcnt(0)
	v_mul_f64 v[82:83], v[82:83], v[84:85]
	scratch_store_dwordx2 off, v[82:83], off offset:184
.LBB38_598:
	s_or_b64 exec, exec, s[2:3]
	scratch_load_dwordx2 v[82:83], off, off offset:192
	v_cmp_gt_u32_e32 vcc, 24, v0
	s_waitcnt vmcnt(0)
	ds_write_b64 v1, v[82:83]
	s_waitcnt lgkmcnt(0)
	; wave barrier
	s_and_saveexec_b64 s[2:3], vcc
	s_cbranch_execz .LBB38_608
; %bb.599:
	s_and_b64 vcc, exec, s[0:1]
	s_cbranch_vccnz .LBB38_601
; %bb.600:
	scratch_load_dwordx2 v[82:83], v11, off
	ds_read_b64 v[84:85], v1
	s_waitcnt vmcnt(0) lgkmcnt(0)
	v_mul_f64 v[82:83], v[82:83], v[84:85]
	s_cbranch_execz .LBB38_602
	s_branch .LBB38_603
.LBB38_601:
                                        ; implicit-def: $vgpr82_vgpr83
.LBB38_602:
	ds_read_b64 v[82:83], v1
.LBB38_603:
	v_cmp_ne_u32_e32 vcc, 23, v0
	s_and_saveexec_b64 s[4:5], vcc
	s_cbranch_execz .LBB38_607
; %bb.604:
	s_mov_b32 s6, 0
	v_add_u32_e32 v84, 0x148, v10
	v_add3_u32 v85, v10, s6, 8
	s_mov_b64 s[6:7], 0
	v_mov_b32_e32 v86, v0
.LBB38_605:                             ; =>This Inner Loop Header: Depth=1
	scratch_load_dwordx2 v[88:89], v85, off
	ds_read_b64 v[90:91], v84
	v_add_u32_e32 v86, 1, v86
	v_cmp_lt_u32_e32 vcc, 22, v86
	v_add_u32_e32 v84, 8, v84
	v_add_u32_e32 v85, 8, v85
	s_or_b64 s[6:7], vcc, s[6:7]
	s_waitcnt vmcnt(0) lgkmcnt(0)
	v_fmac_f64_e32 v[82:83], v[88:89], v[90:91]
	s_andn2_b64 exec, exec, s[6:7]
	s_cbranch_execnz .LBB38_605
; %bb.606:
	s_or_b64 exec, exec, s[6:7]
.LBB38_607:
	s_or_b64 exec, exec, s[4:5]
	v_mov_b32_e32 v84, 0
	ds_read_b64 v[84:85], v84 offset:192
	s_waitcnt lgkmcnt(0)
	v_mul_f64 v[82:83], v[82:83], v[84:85]
	scratch_store_dwordx2 off, v[82:83], off offset:192
.LBB38_608:
	s_or_b64 exec, exec, s[2:3]
	scratch_load_dwordx2 v[82:83], off, off offset:200
	v_cmp_gt_u32_e32 vcc, 25, v0
	s_waitcnt vmcnt(0)
	ds_write_b64 v1, v[82:83]
	s_waitcnt lgkmcnt(0)
	; wave barrier
	s_and_saveexec_b64 s[2:3], vcc
	s_cbranch_execz .LBB38_618
; %bb.609:
	s_and_b64 vcc, exec, s[0:1]
	s_cbranch_vccnz .LBB38_611
; %bb.610:
	scratch_load_dwordx2 v[82:83], v11, off
	ds_read_b64 v[84:85], v1
	s_waitcnt vmcnt(0) lgkmcnt(0)
	v_mul_f64 v[82:83], v[82:83], v[84:85]
	s_cbranch_execz .LBB38_612
	s_branch .LBB38_613
.LBB38_611:
                                        ; implicit-def: $vgpr82_vgpr83
.LBB38_612:
	ds_read_b64 v[82:83], v1
.LBB38_613:
	v_cmp_ne_u32_e32 vcc, 24, v0
	s_and_saveexec_b64 s[4:5], vcc
	s_cbranch_execz .LBB38_617
; %bb.614:
	s_mov_b32 s6, 0
	v_add_u32_e32 v84, 0x148, v10
	v_add3_u32 v85, v10, s6, 8
	s_mov_b64 s[6:7], 0
	v_mov_b32_e32 v86, v0
.LBB38_615:                             ; =>This Inner Loop Header: Depth=1
	scratch_load_dwordx2 v[88:89], v85, off
	ds_read_b64 v[90:91], v84
	v_add_u32_e32 v86, 1, v86
	v_cmp_lt_u32_e32 vcc, 23, v86
	v_add_u32_e32 v84, 8, v84
	v_add_u32_e32 v85, 8, v85
	s_or_b64 s[6:7], vcc, s[6:7]
	s_waitcnt vmcnt(0) lgkmcnt(0)
	v_fmac_f64_e32 v[82:83], v[88:89], v[90:91]
	s_andn2_b64 exec, exec, s[6:7]
	s_cbranch_execnz .LBB38_615
; %bb.616:
	s_or_b64 exec, exec, s[6:7]
.LBB38_617:
	s_or_b64 exec, exec, s[4:5]
	v_mov_b32_e32 v84, 0
	ds_read_b64 v[84:85], v84 offset:200
	s_waitcnt lgkmcnt(0)
	v_mul_f64 v[82:83], v[82:83], v[84:85]
	scratch_store_dwordx2 off, v[82:83], off offset:200
.LBB38_618:
	s_or_b64 exec, exec, s[2:3]
	scratch_load_dwordx2 v[82:83], off, off offset:208
	v_cmp_gt_u32_e32 vcc, 26, v0
	s_waitcnt vmcnt(0)
	ds_write_b64 v1, v[82:83]
	s_waitcnt lgkmcnt(0)
	; wave barrier
	s_and_saveexec_b64 s[2:3], vcc
	s_cbranch_execz .LBB38_628
; %bb.619:
	s_and_b64 vcc, exec, s[0:1]
	s_cbranch_vccnz .LBB38_621
; %bb.620:
	scratch_load_dwordx2 v[82:83], v11, off
	ds_read_b64 v[84:85], v1
	s_waitcnt vmcnt(0) lgkmcnt(0)
	v_mul_f64 v[82:83], v[82:83], v[84:85]
	s_cbranch_execz .LBB38_622
	s_branch .LBB38_623
.LBB38_621:
                                        ; implicit-def: $vgpr82_vgpr83
.LBB38_622:
	ds_read_b64 v[82:83], v1
.LBB38_623:
	v_cmp_ne_u32_e32 vcc, 25, v0
	s_and_saveexec_b64 s[4:5], vcc
	s_cbranch_execz .LBB38_627
; %bb.624:
	s_mov_b32 s6, 0
	v_add_u32_e32 v84, 0x148, v10
	v_add3_u32 v85, v10, s6, 8
	s_mov_b64 s[6:7], 0
	v_mov_b32_e32 v86, v0
.LBB38_625:                             ; =>This Inner Loop Header: Depth=1
	scratch_load_dwordx2 v[88:89], v85, off
	ds_read_b64 v[90:91], v84
	v_add_u32_e32 v86, 1, v86
	v_cmp_lt_u32_e32 vcc, 24, v86
	v_add_u32_e32 v84, 8, v84
	v_add_u32_e32 v85, 8, v85
	s_or_b64 s[6:7], vcc, s[6:7]
	s_waitcnt vmcnt(0) lgkmcnt(0)
	v_fmac_f64_e32 v[82:83], v[88:89], v[90:91]
	s_andn2_b64 exec, exec, s[6:7]
	s_cbranch_execnz .LBB38_625
; %bb.626:
	s_or_b64 exec, exec, s[6:7]
.LBB38_627:
	s_or_b64 exec, exec, s[4:5]
	v_mov_b32_e32 v84, 0
	ds_read_b64 v[84:85], v84 offset:208
	s_waitcnt lgkmcnt(0)
	v_mul_f64 v[82:83], v[82:83], v[84:85]
	scratch_store_dwordx2 off, v[82:83], off offset:208
.LBB38_628:
	s_or_b64 exec, exec, s[2:3]
	scratch_load_dwordx2 v[82:83], off, off offset:216
	v_cmp_gt_u32_e32 vcc, 27, v0
	s_waitcnt vmcnt(0)
	ds_write_b64 v1, v[82:83]
	s_waitcnt lgkmcnt(0)
	; wave barrier
	s_and_saveexec_b64 s[2:3], vcc
	s_cbranch_execz .LBB38_638
; %bb.629:
	s_and_b64 vcc, exec, s[0:1]
	s_cbranch_vccnz .LBB38_631
; %bb.630:
	scratch_load_dwordx2 v[82:83], v11, off
	ds_read_b64 v[84:85], v1
	s_waitcnt vmcnt(0) lgkmcnt(0)
	v_mul_f64 v[82:83], v[82:83], v[84:85]
	s_cbranch_execz .LBB38_632
	s_branch .LBB38_633
.LBB38_631:
                                        ; implicit-def: $vgpr82_vgpr83
.LBB38_632:
	ds_read_b64 v[82:83], v1
.LBB38_633:
	v_cmp_ne_u32_e32 vcc, 26, v0
	s_and_saveexec_b64 s[4:5], vcc
	s_cbranch_execz .LBB38_637
; %bb.634:
	s_mov_b32 s6, 0
	v_add_u32_e32 v84, 0x148, v10
	v_add3_u32 v85, v10, s6, 8
	s_mov_b64 s[6:7], 0
	v_mov_b32_e32 v86, v0
.LBB38_635:                             ; =>This Inner Loop Header: Depth=1
	scratch_load_dwordx2 v[88:89], v85, off
	ds_read_b64 v[90:91], v84
	v_add_u32_e32 v86, 1, v86
	v_cmp_lt_u32_e32 vcc, 25, v86
	v_add_u32_e32 v84, 8, v84
	v_add_u32_e32 v85, 8, v85
	s_or_b64 s[6:7], vcc, s[6:7]
	s_waitcnt vmcnt(0) lgkmcnt(0)
	v_fmac_f64_e32 v[82:83], v[88:89], v[90:91]
	s_andn2_b64 exec, exec, s[6:7]
	s_cbranch_execnz .LBB38_635
; %bb.636:
	s_or_b64 exec, exec, s[6:7]
.LBB38_637:
	s_or_b64 exec, exec, s[4:5]
	v_mov_b32_e32 v84, 0
	ds_read_b64 v[84:85], v84 offset:216
	s_waitcnt lgkmcnt(0)
	v_mul_f64 v[82:83], v[82:83], v[84:85]
	scratch_store_dwordx2 off, v[82:83], off offset:216
.LBB38_638:
	s_or_b64 exec, exec, s[2:3]
	scratch_load_dwordx2 v[82:83], off, off offset:224
	v_cmp_gt_u32_e32 vcc, 28, v0
	s_waitcnt vmcnt(0)
	ds_write_b64 v1, v[82:83]
	s_waitcnt lgkmcnt(0)
	; wave barrier
	s_and_saveexec_b64 s[2:3], vcc
	s_cbranch_execz .LBB38_648
; %bb.639:
	s_and_b64 vcc, exec, s[0:1]
	s_cbranch_vccnz .LBB38_641
; %bb.640:
	scratch_load_dwordx2 v[82:83], v11, off
	ds_read_b64 v[84:85], v1
	s_waitcnt vmcnt(0) lgkmcnt(0)
	v_mul_f64 v[82:83], v[82:83], v[84:85]
	s_cbranch_execz .LBB38_642
	s_branch .LBB38_643
.LBB38_641:
                                        ; implicit-def: $vgpr82_vgpr83
.LBB38_642:
	ds_read_b64 v[82:83], v1
.LBB38_643:
	v_cmp_ne_u32_e32 vcc, 27, v0
	s_and_saveexec_b64 s[4:5], vcc
	s_cbranch_execz .LBB38_647
; %bb.644:
	s_mov_b32 s6, 0
	v_add_u32_e32 v84, 0x148, v10
	v_add3_u32 v85, v10, s6, 8
	s_mov_b64 s[6:7], 0
	v_mov_b32_e32 v86, v0
.LBB38_645:                             ; =>This Inner Loop Header: Depth=1
	scratch_load_dwordx2 v[88:89], v85, off
	ds_read_b64 v[90:91], v84
	v_add_u32_e32 v86, 1, v86
	v_cmp_lt_u32_e32 vcc, 26, v86
	v_add_u32_e32 v84, 8, v84
	v_add_u32_e32 v85, 8, v85
	s_or_b64 s[6:7], vcc, s[6:7]
	s_waitcnt vmcnt(0) lgkmcnt(0)
	v_fmac_f64_e32 v[82:83], v[88:89], v[90:91]
	s_andn2_b64 exec, exec, s[6:7]
	s_cbranch_execnz .LBB38_645
; %bb.646:
	s_or_b64 exec, exec, s[6:7]
.LBB38_647:
	s_or_b64 exec, exec, s[4:5]
	v_mov_b32_e32 v84, 0
	ds_read_b64 v[84:85], v84 offset:224
	s_waitcnt lgkmcnt(0)
	v_mul_f64 v[82:83], v[82:83], v[84:85]
	scratch_store_dwordx2 off, v[82:83], off offset:224
.LBB38_648:
	s_or_b64 exec, exec, s[2:3]
	scratch_load_dwordx2 v[82:83], off, off offset:232
	v_cmp_gt_u32_e32 vcc, 29, v0
	s_waitcnt vmcnt(0)
	ds_write_b64 v1, v[82:83]
	s_waitcnt lgkmcnt(0)
	; wave barrier
	s_and_saveexec_b64 s[2:3], vcc
	s_cbranch_execz .LBB38_658
; %bb.649:
	s_and_b64 vcc, exec, s[0:1]
	s_cbranch_vccnz .LBB38_651
; %bb.650:
	scratch_load_dwordx2 v[82:83], v11, off
	ds_read_b64 v[84:85], v1
	s_waitcnt vmcnt(0) lgkmcnt(0)
	v_mul_f64 v[82:83], v[82:83], v[84:85]
	s_cbranch_execz .LBB38_652
	s_branch .LBB38_653
.LBB38_651:
                                        ; implicit-def: $vgpr82_vgpr83
.LBB38_652:
	ds_read_b64 v[82:83], v1
.LBB38_653:
	v_cmp_ne_u32_e32 vcc, 28, v0
	s_and_saveexec_b64 s[4:5], vcc
	s_cbranch_execz .LBB38_657
; %bb.654:
	s_mov_b32 s6, 0
	v_add_u32_e32 v84, 0x148, v10
	v_add3_u32 v85, v10, s6, 8
	s_mov_b64 s[6:7], 0
	v_mov_b32_e32 v86, v0
.LBB38_655:                             ; =>This Inner Loop Header: Depth=1
	scratch_load_dwordx2 v[88:89], v85, off
	ds_read_b64 v[90:91], v84
	v_add_u32_e32 v86, 1, v86
	v_cmp_lt_u32_e32 vcc, 27, v86
	v_add_u32_e32 v84, 8, v84
	v_add_u32_e32 v85, 8, v85
	s_or_b64 s[6:7], vcc, s[6:7]
	s_waitcnt vmcnt(0) lgkmcnt(0)
	v_fmac_f64_e32 v[82:83], v[88:89], v[90:91]
	s_andn2_b64 exec, exec, s[6:7]
	s_cbranch_execnz .LBB38_655
; %bb.656:
	s_or_b64 exec, exec, s[6:7]
.LBB38_657:
	s_or_b64 exec, exec, s[4:5]
	v_mov_b32_e32 v84, 0
	ds_read_b64 v[84:85], v84 offset:232
	s_waitcnt lgkmcnt(0)
	v_mul_f64 v[82:83], v[82:83], v[84:85]
	scratch_store_dwordx2 off, v[82:83], off offset:232
.LBB38_658:
	s_or_b64 exec, exec, s[2:3]
	scratch_load_dwordx2 v[82:83], off, off offset:240
	v_cmp_gt_u32_e32 vcc, 30, v0
	s_waitcnt vmcnt(0)
	ds_write_b64 v1, v[82:83]
	s_waitcnt lgkmcnt(0)
	; wave barrier
	s_and_saveexec_b64 s[2:3], vcc
	s_cbranch_execz .LBB38_668
; %bb.659:
	s_and_b64 vcc, exec, s[0:1]
	s_cbranch_vccnz .LBB38_661
; %bb.660:
	scratch_load_dwordx2 v[82:83], v11, off
	ds_read_b64 v[84:85], v1
	s_waitcnt vmcnt(0) lgkmcnt(0)
	v_mul_f64 v[82:83], v[82:83], v[84:85]
	s_cbranch_execz .LBB38_662
	s_branch .LBB38_663
.LBB38_661:
                                        ; implicit-def: $vgpr82_vgpr83
.LBB38_662:
	ds_read_b64 v[82:83], v1
.LBB38_663:
	v_cmp_ne_u32_e32 vcc, 29, v0
	s_and_saveexec_b64 s[4:5], vcc
	s_cbranch_execz .LBB38_667
; %bb.664:
	s_mov_b32 s6, 0
	v_add_u32_e32 v84, 0x148, v10
	v_add3_u32 v85, v10, s6, 8
	s_mov_b64 s[6:7], 0
	v_mov_b32_e32 v86, v0
.LBB38_665:                             ; =>This Inner Loop Header: Depth=1
	scratch_load_dwordx2 v[88:89], v85, off
	ds_read_b64 v[90:91], v84
	v_add_u32_e32 v86, 1, v86
	v_cmp_lt_u32_e32 vcc, 28, v86
	v_add_u32_e32 v84, 8, v84
	v_add_u32_e32 v85, 8, v85
	s_or_b64 s[6:7], vcc, s[6:7]
	s_waitcnt vmcnt(0) lgkmcnt(0)
	v_fmac_f64_e32 v[82:83], v[88:89], v[90:91]
	s_andn2_b64 exec, exec, s[6:7]
	s_cbranch_execnz .LBB38_665
; %bb.666:
	s_or_b64 exec, exec, s[6:7]
.LBB38_667:
	s_or_b64 exec, exec, s[4:5]
	v_mov_b32_e32 v84, 0
	ds_read_b64 v[84:85], v84 offset:240
	s_waitcnt lgkmcnt(0)
	v_mul_f64 v[82:83], v[82:83], v[84:85]
	scratch_store_dwordx2 off, v[82:83], off offset:240
.LBB38_668:
	s_or_b64 exec, exec, s[2:3]
	scratch_load_dwordx2 v[82:83], off, off offset:248
	v_cmp_gt_u32_e32 vcc, 31, v0
	s_waitcnt vmcnt(0)
	ds_write_b64 v1, v[82:83]
	s_waitcnt lgkmcnt(0)
	; wave barrier
	s_and_saveexec_b64 s[2:3], vcc
	s_cbranch_execz .LBB38_678
; %bb.669:
	s_and_b64 vcc, exec, s[0:1]
	s_cbranch_vccnz .LBB38_671
; %bb.670:
	scratch_load_dwordx2 v[82:83], v11, off
	ds_read_b64 v[84:85], v1
	s_waitcnt vmcnt(0) lgkmcnt(0)
	v_mul_f64 v[82:83], v[82:83], v[84:85]
	s_cbranch_execz .LBB38_672
	s_branch .LBB38_673
.LBB38_671:
                                        ; implicit-def: $vgpr82_vgpr83
.LBB38_672:
	ds_read_b64 v[82:83], v1
.LBB38_673:
	v_cmp_ne_u32_e32 vcc, 30, v0
	s_and_saveexec_b64 s[4:5], vcc
	s_cbranch_execz .LBB38_677
; %bb.674:
	s_mov_b32 s6, 0
	v_add_u32_e32 v84, 0x148, v10
	v_add3_u32 v85, v10, s6, 8
	s_mov_b64 s[6:7], 0
	v_mov_b32_e32 v86, v0
.LBB38_675:                             ; =>This Inner Loop Header: Depth=1
	scratch_load_dwordx2 v[88:89], v85, off
	ds_read_b64 v[90:91], v84
	v_add_u32_e32 v86, 1, v86
	v_cmp_lt_u32_e32 vcc, 29, v86
	v_add_u32_e32 v84, 8, v84
	v_add_u32_e32 v85, 8, v85
	s_or_b64 s[6:7], vcc, s[6:7]
	s_waitcnt vmcnt(0) lgkmcnt(0)
	v_fmac_f64_e32 v[82:83], v[88:89], v[90:91]
	s_andn2_b64 exec, exec, s[6:7]
	s_cbranch_execnz .LBB38_675
; %bb.676:
	s_or_b64 exec, exec, s[6:7]
.LBB38_677:
	s_or_b64 exec, exec, s[4:5]
	v_mov_b32_e32 v84, 0
	ds_read_b64 v[84:85], v84 offset:248
	s_waitcnt lgkmcnt(0)
	v_mul_f64 v[82:83], v[82:83], v[84:85]
	scratch_store_dwordx2 off, v[82:83], off offset:248
.LBB38_678:
	s_or_b64 exec, exec, s[2:3]
	scratch_load_dwordx2 v[82:83], off, off offset:256
	v_cmp_gt_u32_e32 vcc, 32, v0
	s_waitcnt vmcnt(0)
	ds_write_b64 v1, v[82:83]
	s_waitcnt lgkmcnt(0)
	; wave barrier
	s_and_saveexec_b64 s[2:3], vcc
	s_cbranch_execz .LBB38_688
; %bb.679:
	s_and_b64 vcc, exec, s[0:1]
	s_cbranch_vccnz .LBB38_681
; %bb.680:
	scratch_load_dwordx2 v[82:83], v11, off
	ds_read_b64 v[84:85], v1
	s_waitcnt vmcnt(0) lgkmcnt(0)
	v_mul_f64 v[82:83], v[82:83], v[84:85]
	s_cbranch_execz .LBB38_682
	s_branch .LBB38_683
.LBB38_681:
                                        ; implicit-def: $vgpr82_vgpr83
.LBB38_682:
	ds_read_b64 v[82:83], v1
.LBB38_683:
	v_cmp_ne_u32_e32 vcc, 31, v0
	s_and_saveexec_b64 s[4:5], vcc
	s_cbranch_execz .LBB38_687
; %bb.684:
	s_mov_b32 s6, 0
	v_add_u32_e32 v84, 0x148, v10
	v_add3_u32 v85, v10, s6, 8
	s_mov_b64 s[6:7], 0
	v_mov_b32_e32 v86, v0
.LBB38_685:                             ; =>This Inner Loop Header: Depth=1
	scratch_load_dwordx2 v[88:89], v85, off
	ds_read_b64 v[90:91], v84
	v_add_u32_e32 v86, 1, v86
	v_cmp_lt_u32_e32 vcc, 30, v86
	v_add_u32_e32 v84, 8, v84
	v_add_u32_e32 v85, 8, v85
	s_or_b64 s[6:7], vcc, s[6:7]
	s_waitcnt vmcnt(0) lgkmcnt(0)
	v_fmac_f64_e32 v[82:83], v[88:89], v[90:91]
	s_andn2_b64 exec, exec, s[6:7]
	s_cbranch_execnz .LBB38_685
; %bb.686:
	s_or_b64 exec, exec, s[6:7]
.LBB38_687:
	s_or_b64 exec, exec, s[4:5]
	v_mov_b32_e32 v84, 0
	ds_read_b64 v[84:85], v84 offset:256
	s_waitcnt lgkmcnt(0)
	v_mul_f64 v[82:83], v[82:83], v[84:85]
	scratch_store_dwordx2 off, v[82:83], off offset:256
.LBB38_688:
	s_or_b64 exec, exec, s[2:3]
	scratch_load_dwordx2 v[82:83], off, off offset:264
	v_cmp_gt_u32_e32 vcc, 33, v0
	s_waitcnt vmcnt(0)
	ds_write_b64 v1, v[82:83]
	s_waitcnt lgkmcnt(0)
	; wave barrier
	s_and_saveexec_b64 s[2:3], vcc
	s_cbranch_execz .LBB38_698
; %bb.689:
	s_and_b64 vcc, exec, s[0:1]
	s_cbranch_vccnz .LBB38_691
; %bb.690:
	scratch_load_dwordx2 v[82:83], v11, off
	ds_read_b64 v[84:85], v1
	s_waitcnt vmcnt(0) lgkmcnt(0)
	v_mul_f64 v[82:83], v[82:83], v[84:85]
	s_cbranch_execz .LBB38_692
	s_branch .LBB38_693
.LBB38_691:
                                        ; implicit-def: $vgpr82_vgpr83
.LBB38_692:
	ds_read_b64 v[82:83], v1
.LBB38_693:
	v_cmp_ne_u32_e32 vcc, 32, v0
	s_and_saveexec_b64 s[4:5], vcc
	s_cbranch_execz .LBB38_697
; %bb.694:
	s_mov_b32 s6, 0
	v_add_u32_e32 v84, 0x148, v10
	v_add3_u32 v85, v10, s6, 8
	s_mov_b64 s[6:7], 0
	v_mov_b32_e32 v86, v0
.LBB38_695:                             ; =>This Inner Loop Header: Depth=1
	scratch_load_dwordx2 v[88:89], v85, off
	ds_read_b64 v[90:91], v84
	v_add_u32_e32 v86, 1, v86
	v_cmp_lt_u32_e32 vcc, 31, v86
	v_add_u32_e32 v84, 8, v84
	v_add_u32_e32 v85, 8, v85
	s_or_b64 s[6:7], vcc, s[6:7]
	s_waitcnt vmcnt(0) lgkmcnt(0)
	v_fmac_f64_e32 v[82:83], v[88:89], v[90:91]
	s_andn2_b64 exec, exec, s[6:7]
	s_cbranch_execnz .LBB38_695
; %bb.696:
	s_or_b64 exec, exec, s[6:7]
.LBB38_697:
	s_or_b64 exec, exec, s[4:5]
	v_mov_b32_e32 v84, 0
	ds_read_b64 v[84:85], v84 offset:264
	s_waitcnt lgkmcnt(0)
	v_mul_f64 v[82:83], v[82:83], v[84:85]
	scratch_store_dwordx2 off, v[82:83], off offset:264
.LBB38_698:
	s_or_b64 exec, exec, s[2:3]
	scratch_load_dwordx2 v[82:83], off, off offset:272
	v_cmp_gt_u32_e32 vcc, 34, v0
	s_waitcnt vmcnt(0)
	ds_write_b64 v1, v[82:83]
	s_waitcnt lgkmcnt(0)
	; wave barrier
	s_and_saveexec_b64 s[2:3], vcc
	s_cbranch_execz .LBB38_708
; %bb.699:
	s_and_b64 vcc, exec, s[0:1]
	s_cbranch_vccnz .LBB38_701
; %bb.700:
	scratch_load_dwordx2 v[82:83], v11, off
	ds_read_b64 v[84:85], v1
	s_waitcnt vmcnt(0) lgkmcnt(0)
	v_mul_f64 v[82:83], v[82:83], v[84:85]
	s_cbranch_execz .LBB38_702
	s_branch .LBB38_703
.LBB38_701:
                                        ; implicit-def: $vgpr82_vgpr83
.LBB38_702:
	ds_read_b64 v[82:83], v1
.LBB38_703:
	v_cmp_ne_u32_e32 vcc, 33, v0
	s_and_saveexec_b64 s[4:5], vcc
	s_cbranch_execz .LBB38_707
; %bb.704:
	s_mov_b32 s6, 0
	v_add_u32_e32 v84, 0x148, v10
	v_add3_u32 v85, v10, s6, 8
	s_mov_b64 s[6:7], 0
	v_mov_b32_e32 v86, v0
.LBB38_705:                             ; =>This Inner Loop Header: Depth=1
	scratch_load_dwordx2 v[88:89], v85, off
	ds_read_b64 v[90:91], v84
	v_add_u32_e32 v86, 1, v86
	v_cmp_lt_u32_e32 vcc, 32, v86
	v_add_u32_e32 v84, 8, v84
	v_add_u32_e32 v85, 8, v85
	s_or_b64 s[6:7], vcc, s[6:7]
	s_waitcnt vmcnt(0) lgkmcnt(0)
	v_fmac_f64_e32 v[82:83], v[88:89], v[90:91]
	s_andn2_b64 exec, exec, s[6:7]
	s_cbranch_execnz .LBB38_705
; %bb.706:
	s_or_b64 exec, exec, s[6:7]
.LBB38_707:
	s_or_b64 exec, exec, s[4:5]
	v_mov_b32_e32 v84, 0
	ds_read_b64 v[84:85], v84 offset:272
	s_waitcnt lgkmcnt(0)
	v_mul_f64 v[82:83], v[82:83], v[84:85]
	scratch_store_dwordx2 off, v[82:83], off offset:272
.LBB38_708:
	s_or_b64 exec, exec, s[2:3]
	scratch_load_dwordx2 v[82:83], off, off offset:280
	v_cmp_gt_u32_e32 vcc, 35, v0
	s_waitcnt vmcnt(0)
	ds_write_b64 v1, v[82:83]
	s_waitcnt lgkmcnt(0)
	; wave barrier
	s_and_saveexec_b64 s[2:3], vcc
	s_cbranch_execz .LBB38_718
; %bb.709:
	s_and_b64 vcc, exec, s[0:1]
	s_cbranch_vccnz .LBB38_711
; %bb.710:
	scratch_load_dwordx2 v[82:83], v11, off
	ds_read_b64 v[84:85], v1
	s_waitcnt vmcnt(0) lgkmcnt(0)
	v_mul_f64 v[82:83], v[82:83], v[84:85]
	s_cbranch_execz .LBB38_712
	s_branch .LBB38_713
.LBB38_711:
                                        ; implicit-def: $vgpr82_vgpr83
.LBB38_712:
	ds_read_b64 v[82:83], v1
.LBB38_713:
	v_cmp_ne_u32_e32 vcc, 34, v0
	s_and_saveexec_b64 s[4:5], vcc
	s_cbranch_execz .LBB38_717
; %bb.714:
	s_mov_b32 s6, 0
	v_add_u32_e32 v84, 0x148, v10
	v_add3_u32 v85, v10, s6, 8
	s_mov_b64 s[6:7], 0
	v_mov_b32_e32 v86, v0
.LBB38_715:                             ; =>This Inner Loop Header: Depth=1
	scratch_load_dwordx2 v[88:89], v85, off
	ds_read_b64 v[90:91], v84
	v_add_u32_e32 v86, 1, v86
	v_cmp_lt_u32_e32 vcc, 33, v86
	v_add_u32_e32 v84, 8, v84
	v_add_u32_e32 v85, 8, v85
	s_or_b64 s[6:7], vcc, s[6:7]
	s_waitcnt vmcnt(0) lgkmcnt(0)
	v_fmac_f64_e32 v[82:83], v[88:89], v[90:91]
	s_andn2_b64 exec, exec, s[6:7]
	s_cbranch_execnz .LBB38_715
; %bb.716:
	s_or_b64 exec, exec, s[6:7]
.LBB38_717:
	s_or_b64 exec, exec, s[4:5]
	v_mov_b32_e32 v84, 0
	ds_read_b64 v[84:85], v84 offset:280
	s_waitcnt lgkmcnt(0)
	v_mul_f64 v[82:83], v[82:83], v[84:85]
	scratch_store_dwordx2 off, v[82:83], off offset:280
.LBB38_718:
	s_or_b64 exec, exec, s[2:3]
	scratch_load_dwordx2 v[82:83], off, off offset:288
	v_cmp_gt_u32_e32 vcc, 36, v0
	s_waitcnt vmcnt(0)
	ds_write_b64 v1, v[82:83]
	s_waitcnt lgkmcnt(0)
	; wave barrier
	s_and_saveexec_b64 s[2:3], vcc
	s_cbranch_execz .LBB38_728
; %bb.719:
	s_and_b64 vcc, exec, s[0:1]
	s_cbranch_vccnz .LBB38_721
; %bb.720:
	scratch_load_dwordx2 v[82:83], v11, off
	ds_read_b64 v[84:85], v1
	s_waitcnt vmcnt(0) lgkmcnt(0)
	v_mul_f64 v[82:83], v[82:83], v[84:85]
	s_cbranch_execz .LBB38_722
	s_branch .LBB38_723
.LBB38_721:
                                        ; implicit-def: $vgpr82_vgpr83
.LBB38_722:
	ds_read_b64 v[82:83], v1
.LBB38_723:
	v_cmp_ne_u32_e32 vcc, 35, v0
	s_and_saveexec_b64 s[4:5], vcc
	s_cbranch_execz .LBB38_727
; %bb.724:
	s_mov_b32 s6, 0
	v_add_u32_e32 v84, 0x148, v10
	v_add3_u32 v85, v10, s6, 8
	s_mov_b64 s[6:7], 0
	v_mov_b32_e32 v86, v0
.LBB38_725:                             ; =>This Inner Loop Header: Depth=1
	scratch_load_dwordx2 v[88:89], v85, off
	ds_read_b64 v[90:91], v84
	v_add_u32_e32 v86, 1, v86
	v_cmp_lt_u32_e32 vcc, 34, v86
	v_add_u32_e32 v84, 8, v84
	v_add_u32_e32 v85, 8, v85
	s_or_b64 s[6:7], vcc, s[6:7]
	s_waitcnt vmcnt(0) lgkmcnt(0)
	v_fmac_f64_e32 v[82:83], v[88:89], v[90:91]
	s_andn2_b64 exec, exec, s[6:7]
	s_cbranch_execnz .LBB38_725
; %bb.726:
	s_or_b64 exec, exec, s[6:7]
.LBB38_727:
	s_or_b64 exec, exec, s[4:5]
	v_mov_b32_e32 v84, 0
	ds_read_b64 v[84:85], v84 offset:288
	s_waitcnt lgkmcnt(0)
	v_mul_f64 v[82:83], v[82:83], v[84:85]
	scratch_store_dwordx2 off, v[82:83], off offset:288
.LBB38_728:
	s_or_b64 exec, exec, s[2:3]
	scratch_load_dwordx2 v[82:83], off, off offset:296
	v_cmp_gt_u32_e64 s[2:3], 37, v0
	s_waitcnt vmcnt(0)
	ds_write_b64 v1, v[82:83]
	s_waitcnt lgkmcnt(0)
	; wave barrier
	s_and_saveexec_b64 s[4:5], s[2:3]
	s_cbranch_execz .LBB38_738
; %bb.729:
	s_and_b64 vcc, exec, s[0:1]
	s_cbranch_vccnz .LBB38_731
; %bb.730:
	scratch_load_dwordx2 v[82:83], v11, off
	ds_read_b64 v[84:85], v1
	s_waitcnt vmcnt(0) lgkmcnt(0)
	v_mul_f64 v[82:83], v[82:83], v[84:85]
	s_cbranch_execz .LBB38_732
	s_branch .LBB38_733
.LBB38_731:
                                        ; implicit-def: $vgpr82_vgpr83
.LBB38_732:
	ds_read_b64 v[82:83], v1
.LBB38_733:
	v_cmp_ne_u32_e32 vcc, 36, v0
	s_and_saveexec_b64 s[6:7], vcc
	s_cbranch_execz .LBB38_737
; %bb.734:
	s_mov_b32 s8, 0
	v_add_u32_e32 v84, 0x148, v10
	v_add3_u32 v85, v10, s8, 8
	s_mov_b64 s[8:9], 0
	v_mov_b32_e32 v86, v0
.LBB38_735:                             ; =>This Inner Loop Header: Depth=1
	scratch_load_dwordx2 v[88:89], v85, off
	ds_read_b64 v[90:91], v84
	v_add_u32_e32 v86, 1, v86
	v_cmp_lt_u32_e32 vcc, 35, v86
	v_add_u32_e32 v84, 8, v84
	v_add_u32_e32 v85, 8, v85
	s_or_b64 s[8:9], vcc, s[8:9]
	s_waitcnt vmcnt(0) lgkmcnt(0)
	v_fmac_f64_e32 v[82:83], v[88:89], v[90:91]
	s_andn2_b64 exec, exec, s[8:9]
	s_cbranch_execnz .LBB38_735
; %bb.736:
	s_or_b64 exec, exec, s[8:9]
.LBB38_737:
	s_or_b64 exec, exec, s[6:7]
	v_mov_b32_e32 v84, 0
	ds_read_b64 v[84:85], v84 offset:296
	s_waitcnt lgkmcnt(0)
	v_mul_f64 v[82:83], v[82:83], v[84:85]
	scratch_store_dwordx2 off, v[82:83], off offset:296
.LBB38_738:
	s_or_b64 exec, exec, s[4:5]
	scratch_load_dwordx2 v[82:83], off, off offset:304
	v_cmp_ne_u32_e32 vcc, 38, v0
	s_waitcnt vmcnt(0)
	ds_write_b64 v1, v[82:83]
	s_waitcnt lgkmcnt(0)
	; wave barrier
	s_and_saveexec_b64 s[4:5], vcc
	s_cbranch_execz .LBB38_748
; %bb.739:
	s_and_b64 vcc, exec, s[0:1]
	s_cbranch_vccnz .LBB38_741
; %bb.740:
	scratch_load_dwordx2 v[82:83], v11, off
	ds_read_b64 v[84:85], v1
	s_waitcnt vmcnt(0) lgkmcnt(0)
	v_mul_f64 v[82:83], v[82:83], v[84:85]
	s_cbranch_execz .LBB38_742
	s_branch .LBB38_743
.LBB38_741:
                                        ; implicit-def: $vgpr82_vgpr83
.LBB38_742:
	ds_read_b64 v[82:83], v1
.LBB38_743:
	s_and_saveexec_b64 s[0:1], s[2:3]
	s_cbranch_execz .LBB38_747
; %bb.744:
	s_mov_b32 s2, 0
	v_add_u32_e32 v1, 0x148, v10
	v_add3_u32 v10, v10, s2, 8
	s_mov_b64 s[2:3], 0
.LBB38_745:                             ; =>This Inner Loop Header: Depth=1
	scratch_load_dwordx2 v[84:85], v10, off
	ds_read_b64 v[86:87], v1
	v_add_u32_e32 v0, 1, v0
	v_cmp_lt_u32_e32 vcc, 36, v0
	v_add_u32_e32 v1, 8, v1
	v_add_u32_e32 v10, 8, v10
	s_or_b64 s[2:3], vcc, s[2:3]
	s_waitcnt vmcnt(0) lgkmcnt(0)
	v_fmac_f64_e32 v[82:83], v[84:85], v[86:87]
	s_andn2_b64 exec, exec, s[2:3]
	s_cbranch_execnz .LBB38_745
; %bb.746:
	s_or_b64 exec, exec, s[2:3]
.LBB38_747:
	s_or_b64 exec, exec, s[0:1]
	v_mov_b32_e32 v0, 0
	ds_read_b64 v[0:1], v0 offset:304
	s_waitcnt lgkmcnt(0)
	v_mul_f64 v[0:1], v[82:83], v[0:1]
	scratch_store_dwordx2 off, v[0:1], off offset:304
.LBB38_748:
	s_or_b64 exec, exec, s[4:5]
.LBB38_749:
	scratch_load_dwordx4 v[82:85], off, off
	s_waitcnt vmcnt(0)
	global_store_dwordx2 v[2:3], v[82:83], off
	global_store_dwordx2 v[4:5], v[84:85], off
	scratch_load_dwordx4 v[0:3], off, off offset:16
	s_waitcnt vmcnt(0)
	global_store_dwordx2 v[6:7], v[0:1], off
	global_store_dwordx2 v[8:9], v[2:3], off
	scratch_load_dwordx4 v[0:3], off, off offset:32
	;; [unrolled: 4-line block ×18, first 2 shown]
	s_waitcnt vmcnt(0)
	global_store_dwordx2 v[78:79], v[0:1], off
	global_store_dwordx2 v[80:81], v[2:3], off
	scratch_load_dwordx2 v[0:1], off, off offset:304
	s_waitcnt vmcnt(0)
	global_store_dwordx2 v[76:77], v[0:1], off
.LBB38_750:
	s_endpgm
	.section	.rodata,"a",@progbits
	.p2align	6, 0x0
	.amdhsa_kernel _ZN9rocsolver6v33100L18trti2_kernel_smallILi39EdPdEEv13rocblas_fill_17rocblas_diagonal_T1_iil
		.amdhsa_group_segment_fixed_size 632
		.amdhsa_private_segment_fixed_size 320
		.amdhsa_kernarg_size 32
		.amdhsa_user_sgpr_count 2
		.amdhsa_user_sgpr_dispatch_ptr 0
		.amdhsa_user_sgpr_queue_ptr 0
		.amdhsa_user_sgpr_kernarg_segment_ptr 1
		.amdhsa_user_sgpr_dispatch_id 0
		.amdhsa_user_sgpr_kernarg_preload_length 0
		.amdhsa_user_sgpr_kernarg_preload_offset 0
		.amdhsa_user_sgpr_private_segment_size 0
		.amdhsa_uses_dynamic_stack 0
		.amdhsa_enable_private_segment 1
		.amdhsa_system_sgpr_workgroup_id_x 1
		.amdhsa_system_sgpr_workgroup_id_y 0
		.amdhsa_system_sgpr_workgroup_id_z 0
		.amdhsa_system_sgpr_workgroup_info 0
		.amdhsa_system_vgpr_workitem_id 0
		.amdhsa_next_free_vgpr 92
		.amdhsa_next_free_sgpr 29
		.amdhsa_accum_offset 92
		.amdhsa_reserve_vcc 1
		.amdhsa_float_round_mode_32 0
		.amdhsa_float_round_mode_16_64 0
		.amdhsa_float_denorm_mode_32 3
		.amdhsa_float_denorm_mode_16_64 3
		.amdhsa_dx10_clamp 1
		.amdhsa_ieee_mode 1
		.amdhsa_fp16_overflow 0
		.amdhsa_tg_split 0
		.amdhsa_exception_fp_ieee_invalid_op 0
		.amdhsa_exception_fp_denorm_src 0
		.amdhsa_exception_fp_ieee_div_zero 0
		.amdhsa_exception_fp_ieee_overflow 0
		.amdhsa_exception_fp_ieee_underflow 0
		.amdhsa_exception_fp_ieee_inexact 0
		.amdhsa_exception_int_div_zero 0
	.end_amdhsa_kernel
	.section	.text._ZN9rocsolver6v33100L18trti2_kernel_smallILi39EdPdEEv13rocblas_fill_17rocblas_diagonal_T1_iil,"axG",@progbits,_ZN9rocsolver6v33100L18trti2_kernel_smallILi39EdPdEEv13rocblas_fill_17rocblas_diagonal_T1_iil,comdat
.Lfunc_end38:
	.size	_ZN9rocsolver6v33100L18trti2_kernel_smallILi39EdPdEEv13rocblas_fill_17rocblas_diagonal_T1_iil, .Lfunc_end38-_ZN9rocsolver6v33100L18trti2_kernel_smallILi39EdPdEEv13rocblas_fill_17rocblas_diagonal_T1_iil
                                        ; -- End function
	.set _ZN9rocsolver6v33100L18trti2_kernel_smallILi39EdPdEEv13rocblas_fill_17rocblas_diagonal_T1_iil.num_vgpr, 92
	.set _ZN9rocsolver6v33100L18trti2_kernel_smallILi39EdPdEEv13rocblas_fill_17rocblas_diagonal_T1_iil.num_agpr, 0
	.set _ZN9rocsolver6v33100L18trti2_kernel_smallILi39EdPdEEv13rocblas_fill_17rocblas_diagonal_T1_iil.numbered_sgpr, 29
	.set _ZN9rocsolver6v33100L18trti2_kernel_smallILi39EdPdEEv13rocblas_fill_17rocblas_diagonal_T1_iil.num_named_barrier, 0
	.set _ZN9rocsolver6v33100L18trti2_kernel_smallILi39EdPdEEv13rocblas_fill_17rocblas_diagonal_T1_iil.private_seg_size, 320
	.set _ZN9rocsolver6v33100L18trti2_kernel_smallILi39EdPdEEv13rocblas_fill_17rocblas_diagonal_T1_iil.uses_vcc, 1
	.set _ZN9rocsolver6v33100L18trti2_kernel_smallILi39EdPdEEv13rocblas_fill_17rocblas_diagonal_T1_iil.uses_flat_scratch, 0
	.set _ZN9rocsolver6v33100L18trti2_kernel_smallILi39EdPdEEv13rocblas_fill_17rocblas_diagonal_T1_iil.has_dyn_sized_stack, 0
	.set _ZN9rocsolver6v33100L18trti2_kernel_smallILi39EdPdEEv13rocblas_fill_17rocblas_diagonal_T1_iil.has_recursion, 0
	.set _ZN9rocsolver6v33100L18trti2_kernel_smallILi39EdPdEEv13rocblas_fill_17rocblas_diagonal_T1_iil.has_indirect_call, 0
	.section	.AMDGPU.csdata,"",@progbits
; Kernel info:
; codeLenInByte = 18476
; TotalNumSgprs: 35
; NumVgprs: 92
; NumAgprs: 0
; TotalNumVgprs: 92
; ScratchSize: 320
; MemoryBound: 0
; FloatMode: 240
; IeeeMode: 1
; LDSByteSize: 632 bytes/workgroup (compile time only)
; SGPRBlocks: 4
; VGPRBlocks: 11
; NumSGPRsForWavesPerEU: 35
; NumVGPRsForWavesPerEU: 92
; AccumOffset: 92
; Occupancy: 5
; WaveLimiterHint : 0
; COMPUTE_PGM_RSRC2:SCRATCH_EN: 1
; COMPUTE_PGM_RSRC2:USER_SGPR: 2
; COMPUTE_PGM_RSRC2:TRAP_HANDLER: 0
; COMPUTE_PGM_RSRC2:TGID_X_EN: 1
; COMPUTE_PGM_RSRC2:TGID_Y_EN: 0
; COMPUTE_PGM_RSRC2:TGID_Z_EN: 0
; COMPUTE_PGM_RSRC2:TIDIG_COMP_CNT: 0
; COMPUTE_PGM_RSRC3_GFX90A:ACCUM_OFFSET: 22
; COMPUTE_PGM_RSRC3_GFX90A:TG_SPLIT: 0
	.section	.text._ZN9rocsolver6v33100L18trti2_kernel_smallILi40EdPdEEv13rocblas_fill_17rocblas_diagonal_T1_iil,"axG",@progbits,_ZN9rocsolver6v33100L18trti2_kernel_smallILi40EdPdEEv13rocblas_fill_17rocblas_diagonal_T1_iil,comdat
	.globl	_ZN9rocsolver6v33100L18trti2_kernel_smallILi40EdPdEEv13rocblas_fill_17rocblas_diagonal_T1_iil ; -- Begin function _ZN9rocsolver6v33100L18trti2_kernel_smallILi40EdPdEEv13rocblas_fill_17rocblas_diagonal_T1_iil
	.p2align	8
	.type	_ZN9rocsolver6v33100L18trti2_kernel_smallILi40EdPdEEv13rocblas_fill_17rocblas_diagonal_T1_iil,@function
_ZN9rocsolver6v33100L18trti2_kernel_smallILi40EdPdEEv13rocblas_fill_17rocblas_diagonal_T1_iil: ; @_ZN9rocsolver6v33100L18trti2_kernel_smallILi40EdPdEEv13rocblas_fill_17rocblas_diagonal_T1_iil
; %bb.0:
	v_cmp_gt_u32_e32 vcc, 40, v0
	s_and_saveexec_b64 s[4:5], vcc
	s_cbranch_execz .LBB39_770
; %bb.1:
	s_load_dwordx8 s[4:11], s[0:1], 0x0
	s_ashr_i32 s3, s2, 31
	v_lshlrev_b32_e32 v16, 3, v0
	v_mov_b32_e32 v17, 0
	s_waitcnt lgkmcnt(0)
	s_ashr_i32 s1, s8, 31
	s_mov_b32 s0, s8
	s_mul_hi_u32 s8, s10, s2
	s_mul_i32 s3, s10, s3
	s_add_i32 s3, s8, s3
	s_mul_i32 s8, s11, s2
	s_add_i32 s3, s3, s8
	s_mul_i32 s2, s10, s2
	s_lshl_b64 s[2:3], s[2:3], 3
	s_add_u32 s2, s6, s2
	s_addc_u32 s3, s7, s3
	s_lshl_b64 s[0:1], s[0:1], 3
	s_add_u32 s0, s2, s0
	s_addc_u32 s1, s3, s1
	v_lshl_add_u64 v[2:3], s[0:1], 0, v[16:17]
	s_ashr_i32 s3, s9, 31
	s_mov_b32 s2, s9
	v_lshl_add_u64 v[4:5], s[2:3], 3, v[2:3]
	global_load_dwordx2 v[6:7], v16, s[0:1]
	global_load_dwordx2 v[8:9], v[4:5], off
	s_add_i32 s2, s9, s9
	s_cmpk_lg_i32 s5, 0x84
	s_cselect_b64 s[6:7], -1, 0
	s_cmpk_eq_i32 s5, 0x84
	s_waitcnt vmcnt(0)
	scratch_store_dwordx4 off, v[6:9], off
	s_nop 1
	v_add_u32_e32 v8, s2, v0
	v_add_u32_e32 v10, s9, v8
	v_ashrrev_i32_e32 v9, 31, v8
	v_ashrrev_i32_e32 v11, 31, v10
	v_lshl_add_u64 v[6:7], v[8:9], 3, s[0:1]
	v_lshl_add_u64 v[8:9], v[10:11], 3, s[0:1]
	global_load_dwordx2 v[12:13], v[6:7], off
	global_load_dwordx2 v[14:15], v[8:9], off
	s_waitcnt vmcnt(0)
	scratch_store_dwordx4 off, v[12:15], off offset:16
	s_nop 1
	v_add_u32_e32 v12, s9, v10
	v_add_u32_e32 v14, s9, v12
	v_ashrrev_i32_e32 v13, 31, v12
	v_ashrrev_i32_e32 v15, 31, v14
	v_lshl_add_u64 v[10:11], v[12:13], 3, s[0:1]
	v_lshl_add_u64 v[12:13], v[14:15], 3, s[0:1]
	global_load_dwordx2 v[18:19], v[10:11], off
	global_load_dwordx2 v[20:21], v[12:13], off
	s_waitcnt vmcnt(0)
	scratch_store_dwordx4 off, v[18:21], off offset:32
	;; [unrolled: 11-line block ×15, first 2 shown]
	s_nop 1
	v_add_u32_e32 v70, s9, v68
	v_ashrrev_i32_e32 v71, 31, v70
	v_lshl_add_u64 v[68:69], v[70:71], 3, s[0:1]
	v_add_u32_e32 v70, s9, v70
	v_ashrrev_i32_e32 v71, 31, v70
	v_lshl_add_u64 v[72:73], v[70:71], 3, s[0:1]
	global_load_dwordx2 v[74:75], v[68:69], off
	global_load_dwordx2 v[76:77], v[72:73], off
	v_add_u32_e32 v70, s9, v70
	v_ashrrev_i32_e32 v71, 31, v70
	s_waitcnt vmcnt(0)
	scratch_store_dwordx4 off, v[74:77], off offset:256
	s_nop 1
	v_lshl_add_u64 v[76:77], v[70:71], 3, s[0:1]
	v_add_u32_e32 v70, s9, v70
	v_ashrrev_i32_e32 v71, 31, v70
	v_lshl_add_u64 v[78:79], v[70:71], 3, s[0:1]
	global_load_dwordx2 v[80:81], v[76:77], off
	global_load_dwordx2 v[82:83], v[78:79], off
	v_add_u32_e32 v70, s9, v70
	v_ashrrev_i32_e32 v71, 31, v70
	s_waitcnt vmcnt(0)
	scratch_store_dwordx4 off, v[80:83], off offset:272
	s_nop 1
	v_lshl_add_u64 v[80:81], v[70:71], 3, s[0:1]
	v_add_u32_e32 v70, s9, v70
	v_ashrrev_i32_e32 v71, 31, v70
	v_lshl_add_u64 v[82:83], v[70:71], 3, s[0:1]
	global_load_dwordx2 v[84:85], v[80:81], off
	global_load_dwordx2 v[86:87], v[82:83], off
	v_add_u32_e32 v74, s9, v70
	v_ashrrev_i32_e32 v75, 31, v74
	v_lshl_add_u64 v[70:71], v[74:75], 3, s[0:1]
	v_add_u32_e32 v74, s9, v74
	v_ashrrev_i32_e32 v75, 31, v74
	v_lshl_add_u64 v[74:75], v[74:75], 3, s[0:1]
	s_waitcnt vmcnt(0)
	scratch_store_dwordx4 off, v[84:87], off offset:288
	global_load_dwordx2 v[84:85], v[70:71], off
	s_nop 0
	global_load_dwordx2 v[86:87], v[74:75], off
	s_waitcnt vmcnt(0)
	scratch_store_dwordx4 off, v[84:87], off offset:304
	s_nop 1
	v_mov_b64_e32 v[84:85], -1.0
	s_cbranch_scc1 .LBB39_3
; %bb.2:
	scratch_load_dwordx2 v[84:85], v16, off
	s_waitcnt vmcnt(0)
	v_div_scale_f64 v[86:87], s[0:1], v[84:85], v[84:85], 1.0
	v_rcp_f64_e32 v[88:89], v[86:87]
	v_div_scale_f64 v[90:91], vcc, 1.0, v[84:85], 1.0
	v_fma_f64 v[92:93], -v[86:87], v[88:89], 1.0
	v_fmac_f64_e32 v[88:89], v[88:89], v[92:93]
	v_fma_f64 v[92:93], -v[86:87], v[88:89], 1.0
	v_fmac_f64_e32 v[88:89], v[88:89], v[92:93]
	v_mul_f64 v[92:93], v[90:91], v[88:89]
	v_fma_f64 v[86:87], -v[86:87], v[92:93], v[90:91]
	v_div_fmas_f64 v[86:87], v[86:87], v[88:89], v[92:93]
	v_div_fixup_f64 v[84:85], v[86:87], v[84:85], 1.0
	scratch_store_dwordx2 v16, v[84:85], off
	v_xor_b32_e32 v85, 0x80000000, v85
.LBB39_3:
	s_cmpk_eq_i32 s4, 0x79
	v_add_u32_e32 v1, 0x140, v16
	v_mov_b32_e32 v17, v16
	s_mov_b64 s[0:1], -1
	ds_write_b64 v16, v[84:85]
	s_cbranch_scc1 .LBB39_387
; %bb.4:
	scratch_load_dwordx2 v[84:85], off, off offset:304
	s_movk_i32 s8, 0x50
	s_movk_i32 s9, 0x60
	;; [unrolled: 1-line block ×14, first 2 shown]
	v_cmp_eq_u32_e64 s[0:1], 39, v0
	s_waitcnt vmcnt(0)
	ds_write_b64 v1, v[84:85]
	s_waitcnt lgkmcnt(0)
	; wave barrier
	s_and_saveexec_b64 s[2:3], s[0:1]
	s_cbranch_execz .LBB39_10
; %bb.5:
	s_and_b64 vcc, exec, s[6:7]
	s_cbranch_vccz .LBB39_7
; %bb.6:
	scratch_load_dwordx2 v[84:85], v17, off
	ds_read_b64 v[86:87], v1
	s_waitcnt vmcnt(0) lgkmcnt(0)
	v_mul_f64 v[84:85], v[84:85], v[86:87]
	s_cbranch_execz .LBB39_8
	s_branch .LBB39_9
.LBB39_7:
                                        ; implicit-def: $vgpr84_vgpr85
.LBB39_8:
	ds_read_b64 v[84:85], v1
.LBB39_9:
	v_mov_b32_e32 v86, 0
	ds_read_b64 v[86:87], v86 offset:304
	s_waitcnt lgkmcnt(0)
	v_mul_f64 v[84:85], v[84:85], v[86:87]
	scratch_store_dwordx2 off, v[84:85], off offset:304
.LBB39_10:
	s_or_b64 exec, exec, s[2:3]
	scratch_load_dwordx2 v[84:85], off, off offset:296
	s_mov_b32 s10, 16
	s_mov_b32 s11, 32
	;; [unrolled: 1-line block ×6, first 2 shown]
	v_cmp_lt_u32_e64 s[2:3], 37, v0
	s_waitcnt vmcnt(0)
	ds_write_b64 v1, v[84:85]
	s_waitcnt lgkmcnt(0)
	; wave barrier
	s_and_saveexec_b64 s[4:5], s[2:3]
	s_cbranch_execz .LBB39_16
; %bb.11:
	s_andn2_b64 vcc, exec, s[6:7]
	s_cbranch_vccnz .LBB39_13
; %bb.12:
	scratch_load_dwordx2 v[84:85], v17, off
	ds_read_b64 v[86:87], v1
	s_waitcnt vmcnt(0) lgkmcnt(0)
	v_mul_f64 v[84:85], v[84:85], v[86:87]
	s_cbranch_execz .LBB39_14
	s_branch .LBB39_15
.LBB39_13:
                                        ; implicit-def: $vgpr84_vgpr85
.LBB39_14:
	ds_read_b64 v[84:85], v1
.LBB39_15:
	scratch_load_dwordx2 v[90:91], off, off offset:304
	v_mov_b32_e32 v86, 0
	ds_read2_b64 v[86:89], v86 offset0:37 offset1:78
	s_waitcnt vmcnt(0) lgkmcnt(0)
	v_fma_f64 v[88:89], v[90:91], v[88:89], v[84:85]
	v_cndmask_b32_e64 v85, v85, v89, s[0:1]
	v_cndmask_b32_e64 v84, v84, v88, s[0:1]
	v_mul_f64 v[84:85], v[84:85], v[86:87]
	scratch_store_dwordx2 off, v[84:85], off offset:296
.LBB39_16:
	s_or_b64 exec, exec, s[4:5]
	scratch_load_dwordx2 v[84:85], off, off offset:288
	v_cmp_lt_u32_e64 s[0:1], 36, v0
	s_waitcnt vmcnt(0)
	ds_write_b64 v1, v[84:85]
	s_waitcnt lgkmcnt(0)
	; wave barrier
	s_and_saveexec_b64 s[4:5], s[0:1]
	s_cbranch_execz .LBB39_26
; %bb.17:
	s_andn2_b64 vcc, exec, s[6:7]
	s_cbranch_vccnz .LBB39_19
; %bb.18:
	scratch_load_dwordx2 v[84:85], v17, off
	ds_read_b64 v[86:87], v1
	s_waitcnt vmcnt(0) lgkmcnt(0)
	v_mul_f64 v[84:85], v[84:85], v[86:87]
	s_cbranch_execz .LBB39_20
	s_branch .LBB39_21
.LBB39_19:
                                        ; implicit-def: $vgpr84_vgpr85
.LBB39_20:
	ds_read_b64 v[84:85], v1
.LBB39_21:
	s_and_saveexec_b64 s[8:9], s[2:3]
	s_cbranch_execz .LBB39_25
; %bb.22:
	s_movk_i32 s28, 0x128
	v_subrev_u32_e32 v86, 37, v0
	s_movk_i32 s29, 0x268
	s_mov_b64 s[2:3], 0
.LBB39_23:                              ; =>This Inner Loop Header: Depth=1
	scratch_load_dwordx2 v[88:89], off, s28
	v_mov_b32_e32 v87, s29
	ds_read_b64 v[90:91], v87
	v_add_u32_e32 v86, -1, v86
	s_add_i32 s29, s29, 8
	s_add_i32 s28, s28, 8
	v_cmp_eq_u32_e32 vcc, 0, v86
	s_or_b64 s[2:3], vcc, s[2:3]
	s_waitcnt vmcnt(0) lgkmcnt(0)
	v_fmac_f64_e32 v[84:85], v[88:89], v[90:91]
	s_andn2_b64 exec, exec, s[2:3]
	s_cbranch_execnz .LBB39_23
; %bb.24:
	s_or_b64 exec, exec, s[2:3]
.LBB39_25:
	s_or_b64 exec, exec, s[8:9]
	v_mov_b32_e32 v86, 0
	ds_read_b64 v[86:87], v86 offset:288
	s_waitcnt lgkmcnt(0)
	v_mul_f64 v[84:85], v[84:85], v[86:87]
	scratch_store_dwordx2 off, v[84:85], off offset:288
.LBB39_26:
	s_or_b64 exec, exec, s[4:5]
	scratch_load_dwordx2 v[84:85], off, off offset:280
	v_cmp_lt_u32_e64 s[2:3], 35, v0
	s_waitcnt vmcnt(0)
	ds_write_b64 v1, v[84:85]
	s_waitcnt lgkmcnt(0)
	; wave barrier
	s_and_saveexec_b64 s[4:5], s[2:3]
	s_cbranch_execz .LBB39_36
; %bb.27:
	s_andn2_b64 vcc, exec, s[6:7]
	s_cbranch_vccnz .LBB39_29
; %bb.28:
	scratch_load_dwordx2 v[84:85], v17, off
	ds_read_b64 v[86:87], v1
	s_waitcnt vmcnt(0) lgkmcnt(0)
	v_mul_f64 v[84:85], v[84:85], v[86:87]
	s_cbranch_execz .LBB39_30
	s_branch .LBB39_31
.LBB39_29:
                                        ; implicit-def: $vgpr84_vgpr85
.LBB39_30:
	ds_read_b64 v[84:85], v1
.LBB39_31:
	s_and_saveexec_b64 s[8:9], s[0:1]
	s_cbranch_execz .LBB39_35
; %bb.32:
	v_subrev_u32_e32 v86, 36, v0
	s_movk_i32 s28, 0x260
	s_mov_b64 s[0:1], 0
.LBB39_33:                              ; =>This Inner Loop Header: Depth=1
	scratch_load_dwordx2 v[88:89], off, s27
	v_mov_b32_e32 v87, s28
	ds_read_b64 v[90:91], v87
	v_add_u32_e32 v86, -1, v86
	s_add_i32 s28, s28, 8
	s_add_i32 s27, s27, 8
	v_cmp_eq_u32_e32 vcc, 0, v86
	s_or_b64 s[0:1], vcc, s[0:1]
	s_waitcnt vmcnt(0) lgkmcnt(0)
	v_fmac_f64_e32 v[84:85], v[88:89], v[90:91]
	s_andn2_b64 exec, exec, s[0:1]
	s_cbranch_execnz .LBB39_33
; %bb.34:
	s_or_b64 exec, exec, s[0:1]
.LBB39_35:
	s_or_b64 exec, exec, s[8:9]
	v_mov_b32_e32 v86, 0
	ds_read_b64 v[86:87], v86 offset:280
	s_waitcnt lgkmcnt(0)
	v_mul_f64 v[84:85], v[84:85], v[86:87]
	scratch_store_dwordx2 off, v[84:85], off offset:280
.LBB39_36:
	s_or_b64 exec, exec, s[4:5]
	scratch_load_dwordx2 v[84:85], off, off offset:272
	v_cmp_lt_u32_e64 s[0:1], 34, v0
	s_waitcnt vmcnt(0)
	ds_write_b64 v1, v[84:85]
	s_waitcnt lgkmcnt(0)
	; wave barrier
	s_and_saveexec_b64 s[4:5], s[0:1]
	s_cbranch_execz .LBB39_46
; %bb.37:
	s_andn2_b64 vcc, exec, s[6:7]
	s_cbranch_vccnz .LBB39_39
; %bb.38:
	scratch_load_dwordx2 v[84:85], v17, off
	ds_read_b64 v[86:87], v1
	s_waitcnt vmcnt(0) lgkmcnt(0)
	v_mul_f64 v[84:85], v[84:85], v[86:87]
	s_cbranch_execz .LBB39_40
	s_branch .LBB39_41
.LBB39_39:
                                        ; implicit-def: $vgpr84_vgpr85
.LBB39_40:
	ds_read_b64 v[84:85], v1
.LBB39_41:
	s_and_saveexec_b64 s[8:9], s[2:3]
	s_cbranch_execz .LBB39_45
; %bb.42:
	s_movk_i32 s27, 0x118
	v_subrev_u32_e32 v86, 35, v0
	s_movk_i32 s28, 0x258
	s_mov_b64 s[2:3], 0
.LBB39_43:                              ; =>This Inner Loop Header: Depth=1
	scratch_load_dwordx2 v[88:89], off, s27
	v_mov_b32_e32 v87, s28
	ds_read_b64 v[90:91], v87
	v_add_u32_e32 v86, -1, v86
	s_add_i32 s28, s28, 8
	s_add_i32 s27, s27, 8
	v_cmp_eq_u32_e32 vcc, 0, v86
	s_or_b64 s[2:3], vcc, s[2:3]
	s_waitcnt vmcnt(0) lgkmcnt(0)
	v_fmac_f64_e32 v[84:85], v[88:89], v[90:91]
	s_andn2_b64 exec, exec, s[2:3]
	s_cbranch_execnz .LBB39_43
; %bb.44:
	s_or_b64 exec, exec, s[2:3]
.LBB39_45:
	s_or_b64 exec, exec, s[8:9]
	v_mov_b32_e32 v86, 0
	ds_read_b64 v[86:87], v86 offset:272
	s_waitcnt lgkmcnt(0)
	v_mul_f64 v[84:85], v[84:85], v[86:87]
	scratch_store_dwordx2 off, v[84:85], off offset:272
.LBB39_46:
	s_or_b64 exec, exec, s[4:5]
	scratch_load_dwordx2 v[84:85], off, off offset:264
	v_cmp_lt_u32_e64 s[2:3], 33, v0
	s_waitcnt vmcnt(0)
	ds_write_b64 v1, v[84:85]
	s_waitcnt lgkmcnt(0)
	; wave barrier
	s_and_saveexec_b64 s[4:5], s[2:3]
	s_cbranch_execz .LBB39_56
; %bb.47:
	s_andn2_b64 vcc, exec, s[6:7]
	s_cbranch_vccnz .LBB39_49
; %bb.48:
	scratch_load_dwordx2 v[84:85], v17, off
	ds_read_b64 v[86:87], v1
	s_waitcnt vmcnt(0) lgkmcnt(0)
	v_mul_f64 v[84:85], v[84:85], v[86:87]
	s_cbranch_execz .LBB39_50
	s_branch .LBB39_51
.LBB39_49:
                                        ; implicit-def: $vgpr84_vgpr85
.LBB39_50:
	ds_read_b64 v[84:85], v1
.LBB39_51:
	s_and_saveexec_b64 s[8:9], s[0:1]
	s_cbranch_execz .LBB39_55
; %bb.52:
	v_subrev_u32_e32 v86, 34, v0
	s_movk_i32 s27, 0x250
	s_mov_b64 s[0:1], 0
.LBB39_53:                              ; =>This Inner Loop Header: Depth=1
	scratch_load_dwordx2 v[88:89], off, s26
	v_mov_b32_e32 v87, s27
	ds_read_b64 v[90:91], v87
	v_add_u32_e32 v86, -1, v86
	s_add_i32 s27, s27, 8
	s_add_i32 s26, s26, 8
	v_cmp_eq_u32_e32 vcc, 0, v86
	s_or_b64 s[0:1], vcc, s[0:1]
	s_waitcnt vmcnt(0) lgkmcnt(0)
	v_fmac_f64_e32 v[84:85], v[88:89], v[90:91]
	s_andn2_b64 exec, exec, s[0:1]
	s_cbranch_execnz .LBB39_53
; %bb.54:
	s_or_b64 exec, exec, s[0:1]
.LBB39_55:
	s_or_b64 exec, exec, s[8:9]
	v_mov_b32_e32 v86, 0
	ds_read_b64 v[86:87], v86 offset:264
	s_waitcnt lgkmcnt(0)
	v_mul_f64 v[84:85], v[84:85], v[86:87]
	scratch_store_dwordx2 off, v[84:85], off offset:264
.LBB39_56:
	s_or_b64 exec, exec, s[4:5]
	scratch_load_dwordx2 v[84:85], off, off offset:256
	v_cmp_lt_u32_e64 s[0:1], 32, v0
	s_waitcnt vmcnt(0)
	ds_write_b64 v1, v[84:85]
	s_waitcnt lgkmcnt(0)
	; wave barrier
	s_and_saveexec_b64 s[4:5], s[0:1]
	s_cbranch_execz .LBB39_66
; %bb.57:
	s_andn2_b64 vcc, exec, s[6:7]
	s_cbranch_vccnz .LBB39_59
; %bb.58:
	scratch_load_dwordx2 v[84:85], v17, off
	ds_read_b64 v[86:87], v1
	s_waitcnt vmcnt(0) lgkmcnt(0)
	v_mul_f64 v[84:85], v[84:85], v[86:87]
	s_cbranch_execz .LBB39_60
	s_branch .LBB39_61
.LBB39_59:
                                        ; implicit-def: $vgpr84_vgpr85
.LBB39_60:
	ds_read_b64 v[84:85], v1
.LBB39_61:
	s_and_saveexec_b64 s[8:9], s[2:3]
	s_cbranch_execz .LBB39_65
; %bb.62:
	s_movk_i32 s26, 0x108
	v_subrev_u32_e32 v86, 33, v0
	s_movk_i32 s27, 0x248
	s_mov_b64 s[2:3], 0
.LBB39_63:                              ; =>This Inner Loop Header: Depth=1
	scratch_load_dwordx2 v[88:89], off, s26
	v_mov_b32_e32 v87, s27
	ds_read_b64 v[90:91], v87
	v_add_u32_e32 v86, -1, v86
	s_add_i32 s27, s27, 8
	s_add_i32 s26, s26, 8
	v_cmp_eq_u32_e32 vcc, 0, v86
	s_or_b64 s[2:3], vcc, s[2:3]
	s_waitcnt vmcnt(0) lgkmcnt(0)
	v_fmac_f64_e32 v[84:85], v[88:89], v[90:91]
	s_andn2_b64 exec, exec, s[2:3]
	s_cbranch_execnz .LBB39_63
; %bb.64:
	s_or_b64 exec, exec, s[2:3]
.LBB39_65:
	s_or_b64 exec, exec, s[8:9]
	v_mov_b32_e32 v86, 0
	ds_read_b64 v[86:87], v86 offset:256
	s_waitcnt lgkmcnt(0)
	v_mul_f64 v[84:85], v[84:85], v[86:87]
	scratch_store_dwordx2 off, v[84:85], off offset:256
.LBB39_66:
	s_or_b64 exec, exec, s[4:5]
	scratch_load_dwordx2 v[84:85], off, off offset:248
	v_cmp_lt_u32_e64 s[2:3], 31, v0
	s_waitcnt vmcnt(0)
	ds_write_b64 v1, v[84:85]
	s_waitcnt lgkmcnt(0)
	; wave barrier
	s_and_saveexec_b64 s[4:5], s[2:3]
	s_cbranch_execz .LBB39_76
; %bb.67:
	s_andn2_b64 vcc, exec, s[6:7]
	s_cbranch_vccnz .LBB39_69
; %bb.68:
	scratch_load_dwordx2 v[84:85], v17, off
	ds_read_b64 v[86:87], v1
	s_waitcnt vmcnt(0) lgkmcnt(0)
	v_mul_f64 v[84:85], v[84:85], v[86:87]
	s_cbranch_execz .LBB39_70
	s_branch .LBB39_71
.LBB39_69:
                                        ; implicit-def: $vgpr84_vgpr85
.LBB39_70:
	ds_read_b64 v[84:85], v1
.LBB39_71:
	s_and_saveexec_b64 s[8:9], s[0:1]
	s_cbranch_execz .LBB39_75
; %bb.72:
	v_subrev_u32_e32 v86, 32, v0
	s_movk_i32 s26, 0x240
	s_mov_b64 s[0:1], 0
.LBB39_73:                              ; =>This Inner Loop Header: Depth=1
	scratch_load_dwordx2 v[88:89], off, s25
	v_mov_b32_e32 v87, s26
	ds_read_b64 v[90:91], v87
	v_add_u32_e32 v86, -1, v86
	s_add_i32 s26, s26, 8
	s_add_i32 s25, s25, 8
	v_cmp_eq_u32_e32 vcc, 0, v86
	s_or_b64 s[0:1], vcc, s[0:1]
	s_waitcnt vmcnt(0) lgkmcnt(0)
	v_fmac_f64_e32 v[84:85], v[88:89], v[90:91]
	s_andn2_b64 exec, exec, s[0:1]
	s_cbranch_execnz .LBB39_73
; %bb.74:
	s_or_b64 exec, exec, s[0:1]
.LBB39_75:
	s_or_b64 exec, exec, s[8:9]
	v_mov_b32_e32 v86, 0
	ds_read_b64 v[86:87], v86 offset:248
	s_waitcnt lgkmcnt(0)
	v_mul_f64 v[84:85], v[84:85], v[86:87]
	scratch_store_dwordx2 off, v[84:85], off offset:248
.LBB39_76:
	s_or_b64 exec, exec, s[4:5]
	scratch_load_dwordx2 v[84:85], off, off offset:240
	v_cmp_lt_u32_e64 s[0:1], 30, v0
	s_waitcnt vmcnt(0)
	ds_write_b64 v1, v[84:85]
	s_waitcnt lgkmcnt(0)
	; wave barrier
	s_and_saveexec_b64 s[4:5], s[0:1]
	s_cbranch_execz .LBB39_86
; %bb.77:
	s_andn2_b64 vcc, exec, s[6:7]
	s_cbranch_vccnz .LBB39_79
; %bb.78:
	scratch_load_dwordx2 v[84:85], v17, off
	ds_read_b64 v[86:87], v1
	s_waitcnt vmcnt(0) lgkmcnt(0)
	v_mul_f64 v[84:85], v[84:85], v[86:87]
	s_cbranch_execz .LBB39_80
	s_branch .LBB39_81
.LBB39_79:
                                        ; implicit-def: $vgpr84_vgpr85
.LBB39_80:
	ds_read_b64 v[84:85], v1
.LBB39_81:
	s_and_saveexec_b64 s[8:9], s[2:3]
	s_cbranch_execz .LBB39_85
; %bb.82:
	s_movk_i32 s25, 0xf8
	v_subrev_u32_e32 v86, 31, v0
	s_movk_i32 s26, 0x238
	s_mov_b64 s[2:3], 0
.LBB39_83:                              ; =>This Inner Loop Header: Depth=1
	scratch_load_dwordx2 v[88:89], off, s25
	v_mov_b32_e32 v87, s26
	ds_read_b64 v[90:91], v87
	v_add_u32_e32 v86, -1, v86
	s_add_i32 s26, s26, 8
	s_add_i32 s25, s25, 8
	v_cmp_eq_u32_e32 vcc, 0, v86
	s_or_b64 s[2:3], vcc, s[2:3]
	s_waitcnt vmcnt(0) lgkmcnt(0)
	v_fmac_f64_e32 v[84:85], v[88:89], v[90:91]
	s_andn2_b64 exec, exec, s[2:3]
	s_cbranch_execnz .LBB39_83
; %bb.84:
	s_or_b64 exec, exec, s[2:3]
.LBB39_85:
	s_or_b64 exec, exec, s[8:9]
	v_mov_b32_e32 v86, 0
	ds_read_b64 v[86:87], v86 offset:240
	s_waitcnt lgkmcnt(0)
	v_mul_f64 v[84:85], v[84:85], v[86:87]
	scratch_store_dwordx2 off, v[84:85], off offset:240
.LBB39_86:
	s_or_b64 exec, exec, s[4:5]
	scratch_load_dwordx2 v[84:85], off, off offset:232
	v_cmp_lt_u32_e64 s[2:3], 29, v0
	s_waitcnt vmcnt(0)
	ds_write_b64 v1, v[84:85]
	s_waitcnt lgkmcnt(0)
	; wave barrier
	s_and_saveexec_b64 s[4:5], s[2:3]
	s_cbranch_execz .LBB39_96
; %bb.87:
	s_andn2_b64 vcc, exec, s[6:7]
	s_cbranch_vccnz .LBB39_89
; %bb.88:
	scratch_load_dwordx2 v[84:85], v17, off
	ds_read_b64 v[86:87], v1
	s_waitcnt vmcnt(0) lgkmcnt(0)
	v_mul_f64 v[84:85], v[84:85], v[86:87]
	s_cbranch_execz .LBB39_90
	s_branch .LBB39_91
.LBB39_89:
                                        ; implicit-def: $vgpr84_vgpr85
.LBB39_90:
	ds_read_b64 v[84:85], v1
.LBB39_91:
	s_and_saveexec_b64 s[8:9], s[0:1]
	s_cbranch_execz .LBB39_95
; %bb.92:
	v_subrev_u32_e32 v86, 30, v0
	s_movk_i32 s25, 0x230
	s_mov_b64 s[0:1], 0
.LBB39_93:                              ; =>This Inner Loop Header: Depth=1
	scratch_load_dwordx2 v[88:89], off, s24
	v_mov_b32_e32 v87, s25
	ds_read_b64 v[90:91], v87
	v_add_u32_e32 v86, -1, v86
	s_add_i32 s25, s25, 8
	s_add_i32 s24, s24, 8
	v_cmp_eq_u32_e32 vcc, 0, v86
	s_or_b64 s[0:1], vcc, s[0:1]
	s_waitcnt vmcnt(0) lgkmcnt(0)
	v_fmac_f64_e32 v[84:85], v[88:89], v[90:91]
	s_andn2_b64 exec, exec, s[0:1]
	s_cbranch_execnz .LBB39_93
; %bb.94:
	s_or_b64 exec, exec, s[0:1]
.LBB39_95:
	s_or_b64 exec, exec, s[8:9]
	v_mov_b32_e32 v86, 0
	ds_read_b64 v[86:87], v86 offset:232
	s_waitcnt lgkmcnt(0)
	v_mul_f64 v[84:85], v[84:85], v[86:87]
	scratch_store_dwordx2 off, v[84:85], off offset:232
.LBB39_96:
	s_or_b64 exec, exec, s[4:5]
	scratch_load_dwordx2 v[84:85], off, off offset:224
	v_cmp_lt_u32_e64 s[0:1], 28, v0
	s_waitcnt vmcnt(0)
	ds_write_b64 v1, v[84:85]
	s_waitcnt lgkmcnt(0)
	; wave barrier
	s_and_saveexec_b64 s[4:5], s[0:1]
	s_cbranch_execz .LBB39_106
; %bb.97:
	s_andn2_b64 vcc, exec, s[6:7]
	s_cbranch_vccnz .LBB39_99
; %bb.98:
	scratch_load_dwordx2 v[84:85], v17, off
	ds_read_b64 v[86:87], v1
	s_waitcnt vmcnt(0) lgkmcnt(0)
	v_mul_f64 v[84:85], v[84:85], v[86:87]
	s_cbranch_execz .LBB39_100
	s_branch .LBB39_101
.LBB39_99:
                                        ; implicit-def: $vgpr84_vgpr85
.LBB39_100:
	ds_read_b64 v[84:85], v1
.LBB39_101:
	s_and_saveexec_b64 s[8:9], s[2:3]
	s_cbranch_execz .LBB39_105
; %bb.102:
	s_movk_i32 s24, 0xe8
	v_subrev_u32_e32 v86, 29, v0
	s_movk_i32 s25, 0x228
	s_mov_b64 s[2:3], 0
.LBB39_103:                             ; =>This Inner Loop Header: Depth=1
	scratch_load_dwordx2 v[88:89], off, s24
	v_mov_b32_e32 v87, s25
	ds_read_b64 v[90:91], v87
	v_add_u32_e32 v86, -1, v86
	s_add_i32 s25, s25, 8
	s_add_i32 s24, s24, 8
	v_cmp_eq_u32_e32 vcc, 0, v86
	s_or_b64 s[2:3], vcc, s[2:3]
	s_waitcnt vmcnt(0) lgkmcnt(0)
	v_fmac_f64_e32 v[84:85], v[88:89], v[90:91]
	s_andn2_b64 exec, exec, s[2:3]
	s_cbranch_execnz .LBB39_103
; %bb.104:
	s_or_b64 exec, exec, s[2:3]
.LBB39_105:
	s_or_b64 exec, exec, s[8:9]
	v_mov_b32_e32 v86, 0
	ds_read_b64 v[86:87], v86 offset:224
	s_waitcnt lgkmcnt(0)
	v_mul_f64 v[84:85], v[84:85], v[86:87]
	scratch_store_dwordx2 off, v[84:85], off offset:224
.LBB39_106:
	s_or_b64 exec, exec, s[4:5]
	scratch_load_dwordx2 v[84:85], off, off offset:216
	v_cmp_lt_u32_e64 s[2:3], 27, v0
	s_waitcnt vmcnt(0)
	ds_write_b64 v1, v[84:85]
	s_waitcnt lgkmcnt(0)
	; wave barrier
	s_and_saveexec_b64 s[4:5], s[2:3]
	s_cbranch_execz .LBB39_116
; %bb.107:
	s_andn2_b64 vcc, exec, s[6:7]
	s_cbranch_vccnz .LBB39_109
; %bb.108:
	scratch_load_dwordx2 v[84:85], v17, off
	ds_read_b64 v[86:87], v1
	s_waitcnt vmcnt(0) lgkmcnt(0)
	v_mul_f64 v[84:85], v[84:85], v[86:87]
	s_cbranch_execz .LBB39_110
	s_branch .LBB39_111
.LBB39_109:
                                        ; implicit-def: $vgpr84_vgpr85
.LBB39_110:
	ds_read_b64 v[84:85], v1
.LBB39_111:
	s_and_saveexec_b64 s[8:9], s[0:1]
	s_cbranch_execz .LBB39_115
; %bb.112:
	v_subrev_u32_e32 v86, 28, v0
	s_movk_i32 s24, 0x220
	s_mov_b64 s[0:1], 0
.LBB39_113:                             ; =>This Inner Loop Header: Depth=1
	scratch_load_dwordx2 v[88:89], off, s23
	v_mov_b32_e32 v87, s24
	ds_read_b64 v[90:91], v87
	v_add_u32_e32 v86, -1, v86
	s_add_i32 s24, s24, 8
	s_add_i32 s23, s23, 8
	v_cmp_eq_u32_e32 vcc, 0, v86
	s_or_b64 s[0:1], vcc, s[0:1]
	s_waitcnt vmcnt(0) lgkmcnt(0)
	v_fmac_f64_e32 v[84:85], v[88:89], v[90:91]
	s_andn2_b64 exec, exec, s[0:1]
	s_cbranch_execnz .LBB39_113
; %bb.114:
	s_or_b64 exec, exec, s[0:1]
.LBB39_115:
	s_or_b64 exec, exec, s[8:9]
	v_mov_b32_e32 v86, 0
	ds_read_b64 v[86:87], v86 offset:216
	s_waitcnt lgkmcnt(0)
	v_mul_f64 v[84:85], v[84:85], v[86:87]
	scratch_store_dwordx2 off, v[84:85], off offset:216
.LBB39_116:
	s_or_b64 exec, exec, s[4:5]
	scratch_load_dwordx2 v[84:85], off, off offset:208
	v_cmp_lt_u32_e64 s[0:1], 26, v0
	s_waitcnt vmcnt(0)
	ds_write_b64 v1, v[84:85]
	s_waitcnt lgkmcnt(0)
	; wave barrier
	s_and_saveexec_b64 s[4:5], s[0:1]
	s_cbranch_execz .LBB39_126
; %bb.117:
	s_andn2_b64 vcc, exec, s[6:7]
	s_cbranch_vccnz .LBB39_119
; %bb.118:
	scratch_load_dwordx2 v[84:85], v17, off
	ds_read_b64 v[86:87], v1
	s_waitcnt vmcnt(0) lgkmcnt(0)
	v_mul_f64 v[84:85], v[84:85], v[86:87]
	s_cbranch_execz .LBB39_120
	s_branch .LBB39_121
.LBB39_119:
                                        ; implicit-def: $vgpr84_vgpr85
.LBB39_120:
	ds_read_b64 v[84:85], v1
.LBB39_121:
	s_and_saveexec_b64 s[8:9], s[2:3]
	s_cbranch_execz .LBB39_125
; %bb.122:
	s_movk_i32 s23, 0xd8
	v_subrev_u32_e32 v86, 27, v0
	s_movk_i32 s24, 0x218
	s_mov_b64 s[2:3], 0
.LBB39_123:                             ; =>This Inner Loop Header: Depth=1
	scratch_load_dwordx2 v[88:89], off, s23
	v_mov_b32_e32 v87, s24
	ds_read_b64 v[90:91], v87
	v_add_u32_e32 v86, -1, v86
	s_add_i32 s24, s24, 8
	s_add_i32 s23, s23, 8
	v_cmp_eq_u32_e32 vcc, 0, v86
	s_or_b64 s[2:3], vcc, s[2:3]
	s_waitcnt vmcnt(0) lgkmcnt(0)
	v_fmac_f64_e32 v[84:85], v[88:89], v[90:91]
	s_andn2_b64 exec, exec, s[2:3]
	s_cbranch_execnz .LBB39_123
; %bb.124:
	s_or_b64 exec, exec, s[2:3]
.LBB39_125:
	s_or_b64 exec, exec, s[8:9]
	v_mov_b32_e32 v86, 0
	ds_read_b64 v[86:87], v86 offset:208
	s_waitcnt lgkmcnt(0)
	v_mul_f64 v[84:85], v[84:85], v[86:87]
	scratch_store_dwordx2 off, v[84:85], off offset:208
.LBB39_126:
	s_or_b64 exec, exec, s[4:5]
	scratch_load_dwordx2 v[84:85], off, off offset:200
	v_cmp_lt_u32_e64 s[2:3], 25, v0
	s_waitcnt vmcnt(0)
	ds_write_b64 v1, v[84:85]
	s_waitcnt lgkmcnt(0)
	; wave barrier
	s_and_saveexec_b64 s[4:5], s[2:3]
	s_cbranch_execz .LBB39_136
; %bb.127:
	s_andn2_b64 vcc, exec, s[6:7]
	s_cbranch_vccnz .LBB39_129
; %bb.128:
	scratch_load_dwordx2 v[84:85], v17, off
	ds_read_b64 v[86:87], v1
	s_waitcnt vmcnt(0) lgkmcnt(0)
	v_mul_f64 v[84:85], v[84:85], v[86:87]
	s_cbranch_execz .LBB39_130
	s_branch .LBB39_131
.LBB39_129:
                                        ; implicit-def: $vgpr84_vgpr85
.LBB39_130:
	ds_read_b64 v[84:85], v1
.LBB39_131:
	s_and_saveexec_b64 s[8:9], s[0:1]
	s_cbranch_execz .LBB39_135
; %bb.132:
	v_subrev_u32_e32 v86, 26, v0
	s_movk_i32 s23, 0x210
	s_mov_b64 s[0:1], 0
.LBB39_133:                             ; =>This Inner Loop Header: Depth=1
	scratch_load_dwordx2 v[88:89], off, s22
	v_mov_b32_e32 v87, s23
	ds_read_b64 v[90:91], v87
	v_add_u32_e32 v86, -1, v86
	s_add_i32 s23, s23, 8
	s_add_i32 s22, s22, 8
	v_cmp_eq_u32_e32 vcc, 0, v86
	s_or_b64 s[0:1], vcc, s[0:1]
	s_waitcnt vmcnt(0) lgkmcnt(0)
	v_fmac_f64_e32 v[84:85], v[88:89], v[90:91]
	s_andn2_b64 exec, exec, s[0:1]
	s_cbranch_execnz .LBB39_133
; %bb.134:
	s_or_b64 exec, exec, s[0:1]
.LBB39_135:
	s_or_b64 exec, exec, s[8:9]
	v_mov_b32_e32 v86, 0
	ds_read_b64 v[86:87], v86 offset:200
	s_waitcnt lgkmcnt(0)
	v_mul_f64 v[84:85], v[84:85], v[86:87]
	scratch_store_dwordx2 off, v[84:85], off offset:200
.LBB39_136:
	s_or_b64 exec, exec, s[4:5]
	scratch_load_dwordx2 v[84:85], off, off offset:192
	v_cmp_lt_u32_e64 s[0:1], 24, v0
	s_waitcnt vmcnt(0)
	ds_write_b64 v1, v[84:85]
	s_waitcnt lgkmcnt(0)
	; wave barrier
	s_and_saveexec_b64 s[4:5], s[0:1]
	s_cbranch_execz .LBB39_146
; %bb.137:
	s_andn2_b64 vcc, exec, s[6:7]
	s_cbranch_vccnz .LBB39_139
; %bb.138:
	scratch_load_dwordx2 v[84:85], v17, off
	ds_read_b64 v[86:87], v1
	s_waitcnt vmcnt(0) lgkmcnt(0)
	v_mul_f64 v[84:85], v[84:85], v[86:87]
	s_cbranch_execz .LBB39_140
	s_branch .LBB39_141
.LBB39_139:
                                        ; implicit-def: $vgpr84_vgpr85
.LBB39_140:
	ds_read_b64 v[84:85], v1
.LBB39_141:
	s_and_saveexec_b64 s[8:9], s[2:3]
	s_cbranch_execz .LBB39_145
; %bb.142:
	s_movk_i32 s22, 0xc8
	v_subrev_u32_e32 v86, 25, v0
	s_movk_i32 s23, 0x208
	s_mov_b64 s[2:3], 0
.LBB39_143:                             ; =>This Inner Loop Header: Depth=1
	scratch_load_dwordx2 v[88:89], off, s22
	v_mov_b32_e32 v87, s23
	ds_read_b64 v[90:91], v87
	v_add_u32_e32 v86, -1, v86
	s_add_i32 s23, s23, 8
	s_add_i32 s22, s22, 8
	v_cmp_eq_u32_e32 vcc, 0, v86
	s_or_b64 s[2:3], vcc, s[2:3]
	s_waitcnt vmcnt(0) lgkmcnt(0)
	v_fmac_f64_e32 v[84:85], v[88:89], v[90:91]
	s_andn2_b64 exec, exec, s[2:3]
	s_cbranch_execnz .LBB39_143
; %bb.144:
	s_or_b64 exec, exec, s[2:3]
.LBB39_145:
	s_or_b64 exec, exec, s[8:9]
	v_mov_b32_e32 v86, 0
	ds_read_b64 v[86:87], v86 offset:192
	s_waitcnt lgkmcnt(0)
	v_mul_f64 v[84:85], v[84:85], v[86:87]
	scratch_store_dwordx2 off, v[84:85], off offset:192
.LBB39_146:
	s_or_b64 exec, exec, s[4:5]
	scratch_load_dwordx2 v[84:85], off, off offset:184
	v_cmp_lt_u32_e64 s[2:3], 23, v0
	s_waitcnt vmcnt(0)
	ds_write_b64 v1, v[84:85]
	s_waitcnt lgkmcnt(0)
	; wave barrier
	s_and_saveexec_b64 s[4:5], s[2:3]
	s_cbranch_execz .LBB39_156
; %bb.147:
	s_andn2_b64 vcc, exec, s[6:7]
	s_cbranch_vccnz .LBB39_149
; %bb.148:
	scratch_load_dwordx2 v[84:85], v17, off
	ds_read_b64 v[86:87], v1
	s_waitcnt vmcnt(0) lgkmcnt(0)
	v_mul_f64 v[84:85], v[84:85], v[86:87]
	s_cbranch_execz .LBB39_150
	s_branch .LBB39_151
.LBB39_149:
                                        ; implicit-def: $vgpr84_vgpr85
.LBB39_150:
	ds_read_b64 v[84:85], v1
.LBB39_151:
	s_and_saveexec_b64 s[8:9], s[0:1]
	s_cbranch_execz .LBB39_155
; %bb.152:
	v_subrev_u32_e32 v86, 24, v0
	s_movk_i32 s22, 0x200
	s_mov_b64 s[0:1], 0
.LBB39_153:                             ; =>This Inner Loop Header: Depth=1
	scratch_load_dwordx2 v[88:89], off, s21
	v_mov_b32_e32 v87, s22
	ds_read_b64 v[90:91], v87
	v_add_u32_e32 v86, -1, v86
	s_add_i32 s22, s22, 8
	s_add_i32 s21, s21, 8
	v_cmp_eq_u32_e32 vcc, 0, v86
	s_or_b64 s[0:1], vcc, s[0:1]
	s_waitcnt vmcnt(0) lgkmcnt(0)
	v_fmac_f64_e32 v[84:85], v[88:89], v[90:91]
	s_andn2_b64 exec, exec, s[0:1]
	s_cbranch_execnz .LBB39_153
; %bb.154:
	s_or_b64 exec, exec, s[0:1]
.LBB39_155:
	s_or_b64 exec, exec, s[8:9]
	v_mov_b32_e32 v86, 0
	ds_read_b64 v[86:87], v86 offset:184
	s_waitcnt lgkmcnt(0)
	v_mul_f64 v[84:85], v[84:85], v[86:87]
	scratch_store_dwordx2 off, v[84:85], off offset:184
.LBB39_156:
	s_or_b64 exec, exec, s[4:5]
	scratch_load_dwordx2 v[84:85], off, off offset:176
	v_cmp_lt_u32_e64 s[0:1], 22, v0
	s_waitcnt vmcnt(0)
	ds_write_b64 v1, v[84:85]
	s_waitcnt lgkmcnt(0)
	; wave barrier
	s_and_saveexec_b64 s[4:5], s[0:1]
	s_cbranch_execz .LBB39_166
; %bb.157:
	s_andn2_b64 vcc, exec, s[6:7]
	s_cbranch_vccnz .LBB39_159
; %bb.158:
	scratch_load_dwordx2 v[84:85], v17, off
	ds_read_b64 v[86:87], v1
	s_waitcnt vmcnt(0) lgkmcnt(0)
	v_mul_f64 v[84:85], v[84:85], v[86:87]
	s_cbranch_execz .LBB39_160
	s_branch .LBB39_161
.LBB39_159:
                                        ; implicit-def: $vgpr84_vgpr85
.LBB39_160:
	ds_read_b64 v[84:85], v1
.LBB39_161:
	s_and_saveexec_b64 s[8:9], s[2:3]
	s_cbranch_execz .LBB39_165
; %bb.162:
	s_movk_i32 s21, 0xb8
	v_subrev_u32_e32 v86, 23, v0
	s_movk_i32 s22, 0x1f8
	s_mov_b64 s[2:3], 0
.LBB39_163:                             ; =>This Inner Loop Header: Depth=1
	scratch_load_dwordx2 v[88:89], off, s21
	v_mov_b32_e32 v87, s22
	ds_read_b64 v[90:91], v87
	v_add_u32_e32 v86, -1, v86
	s_add_i32 s22, s22, 8
	s_add_i32 s21, s21, 8
	v_cmp_eq_u32_e32 vcc, 0, v86
	s_or_b64 s[2:3], vcc, s[2:3]
	s_waitcnt vmcnt(0) lgkmcnt(0)
	v_fmac_f64_e32 v[84:85], v[88:89], v[90:91]
	s_andn2_b64 exec, exec, s[2:3]
	s_cbranch_execnz .LBB39_163
; %bb.164:
	s_or_b64 exec, exec, s[2:3]
.LBB39_165:
	s_or_b64 exec, exec, s[8:9]
	v_mov_b32_e32 v86, 0
	ds_read_b64 v[86:87], v86 offset:176
	s_waitcnt lgkmcnt(0)
	v_mul_f64 v[84:85], v[84:85], v[86:87]
	scratch_store_dwordx2 off, v[84:85], off offset:176
.LBB39_166:
	s_or_b64 exec, exec, s[4:5]
	scratch_load_dwordx2 v[84:85], off, off offset:168
	v_cmp_lt_u32_e64 s[2:3], 21, v0
	s_waitcnt vmcnt(0)
	ds_write_b64 v1, v[84:85]
	s_waitcnt lgkmcnt(0)
	; wave barrier
	s_and_saveexec_b64 s[4:5], s[2:3]
	s_cbranch_execz .LBB39_176
; %bb.167:
	s_andn2_b64 vcc, exec, s[6:7]
	s_cbranch_vccnz .LBB39_169
; %bb.168:
	scratch_load_dwordx2 v[84:85], v17, off
	ds_read_b64 v[86:87], v1
	s_waitcnt vmcnt(0) lgkmcnt(0)
	v_mul_f64 v[84:85], v[84:85], v[86:87]
	s_cbranch_execz .LBB39_170
	s_branch .LBB39_171
.LBB39_169:
                                        ; implicit-def: $vgpr84_vgpr85
.LBB39_170:
	ds_read_b64 v[84:85], v1
.LBB39_171:
	s_and_saveexec_b64 s[8:9], s[0:1]
	s_cbranch_execz .LBB39_175
; %bb.172:
	v_subrev_u32_e32 v86, 22, v0
	s_movk_i32 s21, 0x1f0
	s_mov_b64 s[0:1], 0
.LBB39_173:                             ; =>This Inner Loop Header: Depth=1
	scratch_load_dwordx2 v[88:89], off, s20
	v_mov_b32_e32 v87, s21
	ds_read_b64 v[90:91], v87
	v_add_u32_e32 v86, -1, v86
	s_add_i32 s21, s21, 8
	s_add_i32 s20, s20, 8
	v_cmp_eq_u32_e32 vcc, 0, v86
	s_or_b64 s[0:1], vcc, s[0:1]
	s_waitcnt vmcnt(0) lgkmcnt(0)
	v_fmac_f64_e32 v[84:85], v[88:89], v[90:91]
	s_andn2_b64 exec, exec, s[0:1]
	s_cbranch_execnz .LBB39_173
; %bb.174:
	s_or_b64 exec, exec, s[0:1]
.LBB39_175:
	s_or_b64 exec, exec, s[8:9]
	v_mov_b32_e32 v86, 0
	ds_read_b64 v[86:87], v86 offset:168
	s_waitcnt lgkmcnt(0)
	v_mul_f64 v[84:85], v[84:85], v[86:87]
	scratch_store_dwordx2 off, v[84:85], off offset:168
.LBB39_176:
	s_or_b64 exec, exec, s[4:5]
	scratch_load_dwordx2 v[84:85], off, off offset:160
	v_cmp_lt_u32_e64 s[0:1], 20, v0
	s_waitcnt vmcnt(0)
	ds_write_b64 v1, v[84:85]
	s_waitcnt lgkmcnt(0)
	; wave barrier
	s_and_saveexec_b64 s[4:5], s[0:1]
	s_cbranch_execz .LBB39_186
; %bb.177:
	s_andn2_b64 vcc, exec, s[6:7]
	s_cbranch_vccnz .LBB39_179
; %bb.178:
	scratch_load_dwordx2 v[84:85], v17, off
	ds_read_b64 v[86:87], v1
	s_waitcnt vmcnt(0) lgkmcnt(0)
	v_mul_f64 v[84:85], v[84:85], v[86:87]
	s_cbranch_execz .LBB39_180
	s_branch .LBB39_181
.LBB39_179:
                                        ; implicit-def: $vgpr84_vgpr85
.LBB39_180:
	ds_read_b64 v[84:85], v1
.LBB39_181:
	s_and_saveexec_b64 s[8:9], s[2:3]
	s_cbranch_execz .LBB39_185
; %bb.182:
	s_movk_i32 s20, 0xa8
	v_subrev_u32_e32 v86, 21, v0
	s_movk_i32 s21, 0x1e8
	s_mov_b64 s[2:3], 0
.LBB39_183:                             ; =>This Inner Loop Header: Depth=1
	scratch_load_dwordx2 v[88:89], off, s20
	v_mov_b32_e32 v87, s21
	ds_read_b64 v[90:91], v87
	v_add_u32_e32 v86, -1, v86
	s_add_i32 s21, s21, 8
	s_add_i32 s20, s20, 8
	v_cmp_eq_u32_e32 vcc, 0, v86
	s_or_b64 s[2:3], vcc, s[2:3]
	s_waitcnt vmcnt(0) lgkmcnt(0)
	v_fmac_f64_e32 v[84:85], v[88:89], v[90:91]
	s_andn2_b64 exec, exec, s[2:3]
	s_cbranch_execnz .LBB39_183
; %bb.184:
	s_or_b64 exec, exec, s[2:3]
.LBB39_185:
	s_or_b64 exec, exec, s[8:9]
	v_mov_b32_e32 v86, 0
	ds_read_b64 v[86:87], v86 offset:160
	s_waitcnt lgkmcnt(0)
	v_mul_f64 v[84:85], v[84:85], v[86:87]
	scratch_store_dwordx2 off, v[84:85], off offset:160
.LBB39_186:
	s_or_b64 exec, exec, s[4:5]
	scratch_load_dwordx2 v[84:85], off, off offset:152
	v_cmp_lt_u32_e64 s[2:3], 19, v0
	s_waitcnt vmcnt(0)
	ds_write_b64 v1, v[84:85]
	s_waitcnt lgkmcnt(0)
	; wave barrier
	s_and_saveexec_b64 s[4:5], s[2:3]
	s_cbranch_execz .LBB39_196
; %bb.187:
	s_andn2_b64 vcc, exec, s[6:7]
	s_cbranch_vccnz .LBB39_189
; %bb.188:
	scratch_load_dwordx2 v[84:85], v17, off
	ds_read_b64 v[86:87], v1
	s_waitcnt vmcnt(0) lgkmcnt(0)
	v_mul_f64 v[84:85], v[84:85], v[86:87]
	s_cbranch_execz .LBB39_190
	s_branch .LBB39_191
.LBB39_189:
                                        ; implicit-def: $vgpr84_vgpr85
.LBB39_190:
	ds_read_b64 v[84:85], v1
.LBB39_191:
	s_and_saveexec_b64 s[8:9], s[0:1]
	s_cbranch_execz .LBB39_195
; %bb.192:
	v_subrev_u32_e32 v86, 20, v0
	s_movk_i32 s20, 0x1e0
	s_mov_b64 s[0:1], 0
.LBB39_193:                             ; =>This Inner Loop Header: Depth=1
	scratch_load_dwordx2 v[88:89], off, s19
	v_mov_b32_e32 v87, s20
	ds_read_b64 v[90:91], v87
	v_add_u32_e32 v86, -1, v86
	s_add_i32 s20, s20, 8
	s_add_i32 s19, s19, 8
	v_cmp_eq_u32_e32 vcc, 0, v86
	s_or_b64 s[0:1], vcc, s[0:1]
	s_waitcnt vmcnt(0) lgkmcnt(0)
	v_fmac_f64_e32 v[84:85], v[88:89], v[90:91]
	s_andn2_b64 exec, exec, s[0:1]
	s_cbranch_execnz .LBB39_193
; %bb.194:
	s_or_b64 exec, exec, s[0:1]
.LBB39_195:
	s_or_b64 exec, exec, s[8:9]
	v_mov_b32_e32 v86, 0
	ds_read_b64 v[86:87], v86 offset:152
	s_waitcnt lgkmcnt(0)
	v_mul_f64 v[84:85], v[84:85], v[86:87]
	scratch_store_dwordx2 off, v[84:85], off offset:152
.LBB39_196:
	s_or_b64 exec, exec, s[4:5]
	scratch_load_dwordx2 v[84:85], off, off offset:144
	v_cmp_lt_u32_e64 s[0:1], 18, v0
	s_waitcnt vmcnt(0)
	ds_write_b64 v1, v[84:85]
	s_waitcnt lgkmcnt(0)
	; wave barrier
	s_and_saveexec_b64 s[4:5], s[0:1]
	s_cbranch_execz .LBB39_206
; %bb.197:
	s_andn2_b64 vcc, exec, s[6:7]
	s_cbranch_vccnz .LBB39_199
; %bb.198:
	scratch_load_dwordx2 v[84:85], v17, off
	ds_read_b64 v[86:87], v1
	s_waitcnt vmcnt(0) lgkmcnt(0)
	v_mul_f64 v[84:85], v[84:85], v[86:87]
	s_cbranch_execz .LBB39_200
	s_branch .LBB39_201
.LBB39_199:
                                        ; implicit-def: $vgpr84_vgpr85
.LBB39_200:
	ds_read_b64 v[84:85], v1
.LBB39_201:
	s_and_saveexec_b64 s[8:9], s[2:3]
	s_cbranch_execz .LBB39_205
; %bb.202:
	s_movk_i32 s19, 0x98
	v_subrev_u32_e32 v86, 19, v0
	s_movk_i32 s20, 0x1d8
	s_mov_b64 s[2:3], 0
.LBB39_203:                             ; =>This Inner Loop Header: Depth=1
	scratch_load_dwordx2 v[88:89], off, s19
	v_mov_b32_e32 v87, s20
	ds_read_b64 v[90:91], v87
	v_add_u32_e32 v86, -1, v86
	s_add_i32 s20, s20, 8
	s_add_i32 s19, s19, 8
	v_cmp_eq_u32_e32 vcc, 0, v86
	s_or_b64 s[2:3], vcc, s[2:3]
	s_waitcnt vmcnt(0) lgkmcnt(0)
	v_fmac_f64_e32 v[84:85], v[88:89], v[90:91]
	s_andn2_b64 exec, exec, s[2:3]
	s_cbranch_execnz .LBB39_203
; %bb.204:
	s_or_b64 exec, exec, s[2:3]
.LBB39_205:
	s_or_b64 exec, exec, s[8:9]
	v_mov_b32_e32 v86, 0
	ds_read_b64 v[86:87], v86 offset:144
	s_waitcnt lgkmcnt(0)
	v_mul_f64 v[84:85], v[84:85], v[86:87]
	scratch_store_dwordx2 off, v[84:85], off offset:144
.LBB39_206:
	s_or_b64 exec, exec, s[4:5]
	scratch_load_dwordx2 v[84:85], off, off offset:136
	v_cmp_lt_u32_e64 s[2:3], 17, v0
	s_waitcnt vmcnt(0)
	ds_write_b64 v1, v[84:85]
	s_waitcnt lgkmcnt(0)
	; wave barrier
	s_and_saveexec_b64 s[4:5], s[2:3]
	s_cbranch_execz .LBB39_216
; %bb.207:
	s_andn2_b64 vcc, exec, s[6:7]
	s_cbranch_vccnz .LBB39_209
; %bb.208:
	scratch_load_dwordx2 v[84:85], v17, off
	ds_read_b64 v[86:87], v1
	s_waitcnt vmcnt(0) lgkmcnt(0)
	v_mul_f64 v[84:85], v[84:85], v[86:87]
	s_cbranch_execz .LBB39_210
	s_branch .LBB39_211
.LBB39_209:
                                        ; implicit-def: $vgpr84_vgpr85
.LBB39_210:
	ds_read_b64 v[84:85], v1
.LBB39_211:
	s_and_saveexec_b64 s[8:9], s[0:1]
	s_cbranch_execz .LBB39_215
; %bb.212:
	v_subrev_u32_e32 v86, 18, v0
	s_movk_i32 s19, 0x1d0
	s_mov_b64 s[0:1], 0
.LBB39_213:                             ; =>This Inner Loop Header: Depth=1
	scratch_load_dwordx2 v[88:89], off, s18
	v_mov_b32_e32 v87, s19
	ds_read_b64 v[90:91], v87
	v_add_u32_e32 v86, -1, v86
	s_add_i32 s19, s19, 8
	s_add_i32 s18, s18, 8
	v_cmp_eq_u32_e32 vcc, 0, v86
	s_or_b64 s[0:1], vcc, s[0:1]
	s_waitcnt vmcnt(0) lgkmcnt(0)
	v_fmac_f64_e32 v[84:85], v[88:89], v[90:91]
	s_andn2_b64 exec, exec, s[0:1]
	s_cbranch_execnz .LBB39_213
; %bb.214:
	s_or_b64 exec, exec, s[0:1]
.LBB39_215:
	s_or_b64 exec, exec, s[8:9]
	v_mov_b32_e32 v86, 0
	ds_read_b64 v[86:87], v86 offset:136
	s_waitcnt lgkmcnt(0)
	v_mul_f64 v[84:85], v[84:85], v[86:87]
	scratch_store_dwordx2 off, v[84:85], off offset:136
.LBB39_216:
	s_or_b64 exec, exec, s[4:5]
	scratch_load_dwordx2 v[84:85], off, off offset:128
	v_cmp_lt_u32_e64 s[0:1], 16, v0
	s_waitcnt vmcnt(0)
	ds_write_b64 v1, v[84:85]
	s_waitcnt lgkmcnt(0)
	; wave barrier
	s_and_saveexec_b64 s[4:5], s[0:1]
	s_cbranch_execz .LBB39_226
; %bb.217:
	s_andn2_b64 vcc, exec, s[6:7]
	s_cbranch_vccnz .LBB39_219
; %bb.218:
	scratch_load_dwordx2 v[84:85], v17, off
	ds_read_b64 v[86:87], v1
	s_waitcnt vmcnt(0) lgkmcnt(0)
	v_mul_f64 v[84:85], v[84:85], v[86:87]
	s_cbranch_execz .LBB39_220
	s_branch .LBB39_221
.LBB39_219:
                                        ; implicit-def: $vgpr84_vgpr85
.LBB39_220:
	ds_read_b64 v[84:85], v1
.LBB39_221:
	s_and_saveexec_b64 s[8:9], s[2:3]
	s_cbranch_execz .LBB39_225
; %bb.222:
	s_movk_i32 s18, 0x88
	v_subrev_u32_e32 v86, 17, v0
	s_movk_i32 s19, 0x1c8
	s_mov_b64 s[2:3], 0
.LBB39_223:                             ; =>This Inner Loop Header: Depth=1
	scratch_load_dwordx2 v[88:89], off, s18
	v_mov_b32_e32 v87, s19
	ds_read_b64 v[90:91], v87
	v_add_u32_e32 v86, -1, v86
	s_add_i32 s19, s19, 8
	s_add_i32 s18, s18, 8
	v_cmp_eq_u32_e32 vcc, 0, v86
	s_or_b64 s[2:3], vcc, s[2:3]
	s_waitcnt vmcnt(0) lgkmcnt(0)
	v_fmac_f64_e32 v[84:85], v[88:89], v[90:91]
	s_andn2_b64 exec, exec, s[2:3]
	s_cbranch_execnz .LBB39_223
; %bb.224:
	s_or_b64 exec, exec, s[2:3]
.LBB39_225:
	s_or_b64 exec, exec, s[8:9]
	v_mov_b32_e32 v86, 0
	ds_read_b64 v[86:87], v86 offset:128
	s_waitcnt lgkmcnt(0)
	v_mul_f64 v[84:85], v[84:85], v[86:87]
	scratch_store_dwordx2 off, v[84:85], off offset:128
.LBB39_226:
	s_or_b64 exec, exec, s[4:5]
	scratch_load_dwordx2 v[84:85], off, off offset:120
	v_cmp_lt_u32_e64 s[2:3], 15, v0
	s_waitcnt vmcnt(0)
	ds_write_b64 v1, v[84:85]
	s_waitcnt lgkmcnt(0)
	; wave barrier
	s_and_saveexec_b64 s[4:5], s[2:3]
	s_cbranch_execz .LBB39_236
; %bb.227:
	s_andn2_b64 vcc, exec, s[6:7]
	s_cbranch_vccnz .LBB39_229
; %bb.228:
	scratch_load_dwordx2 v[84:85], v17, off
	ds_read_b64 v[86:87], v1
	s_waitcnt vmcnt(0) lgkmcnt(0)
	v_mul_f64 v[84:85], v[84:85], v[86:87]
	s_cbranch_execz .LBB39_230
	s_branch .LBB39_231
.LBB39_229:
                                        ; implicit-def: $vgpr84_vgpr85
.LBB39_230:
	ds_read_b64 v[84:85], v1
.LBB39_231:
	s_and_saveexec_b64 s[8:9], s[0:1]
	s_cbranch_execz .LBB39_235
; %bb.232:
	v_add_u32_e32 v86, -16, v0
	s_movk_i32 s18, 0x1c0
	s_mov_b64 s[0:1], 0
.LBB39_233:                             ; =>This Inner Loop Header: Depth=1
	scratch_load_dwordx2 v[88:89], off, s17
	v_mov_b32_e32 v87, s18
	ds_read_b64 v[90:91], v87
	v_add_u32_e32 v86, -1, v86
	s_add_i32 s18, s18, 8
	s_add_i32 s17, s17, 8
	v_cmp_eq_u32_e32 vcc, 0, v86
	s_or_b64 s[0:1], vcc, s[0:1]
	s_waitcnt vmcnt(0) lgkmcnt(0)
	v_fmac_f64_e32 v[84:85], v[88:89], v[90:91]
	s_andn2_b64 exec, exec, s[0:1]
	s_cbranch_execnz .LBB39_233
; %bb.234:
	s_or_b64 exec, exec, s[0:1]
.LBB39_235:
	s_or_b64 exec, exec, s[8:9]
	v_mov_b32_e32 v86, 0
	ds_read_b64 v[86:87], v86 offset:120
	s_waitcnt lgkmcnt(0)
	v_mul_f64 v[84:85], v[84:85], v[86:87]
	scratch_store_dwordx2 off, v[84:85], off offset:120
.LBB39_236:
	s_or_b64 exec, exec, s[4:5]
	scratch_load_dwordx2 v[84:85], off, off offset:112
	v_cmp_lt_u32_e64 s[0:1], 14, v0
	s_waitcnt vmcnt(0)
	ds_write_b64 v1, v[84:85]
	s_waitcnt lgkmcnt(0)
	; wave barrier
	s_and_saveexec_b64 s[4:5], s[0:1]
	s_cbranch_execz .LBB39_246
; %bb.237:
	s_andn2_b64 vcc, exec, s[6:7]
	s_cbranch_vccnz .LBB39_239
; %bb.238:
	scratch_load_dwordx2 v[84:85], v17, off
	ds_read_b64 v[86:87], v1
	s_waitcnt vmcnt(0) lgkmcnt(0)
	v_mul_f64 v[84:85], v[84:85], v[86:87]
	s_cbranch_execz .LBB39_240
	s_branch .LBB39_241
.LBB39_239:
                                        ; implicit-def: $vgpr84_vgpr85
.LBB39_240:
	ds_read_b64 v[84:85], v1
.LBB39_241:
	s_and_saveexec_b64 s[8:9], s[2:3]
	s_cbranch_execz .LBB39_245
; %bb.242:
	s_movk_i32 s17, 0x78
	v_add_u32_e32 v86, -15, v0
	s_movk_i32 s18, 0x1b8
	s_mov_b64 s[2:3], 0
.LBB39_243:                             ; =>This Inner Loop Header: Depth=1
	scratch_load_dwordx2 v[88:89], off, s17
	v_mov_b32_e32 v87, s18
	ds_read_b64 v[90:91], v87
	v_add_u32_e32 v86, -1, v86
	s_add_i32 s18, s18, 8
	s_add_i32 s17, s17, 8
	v_cmp_eq_u32_e32 vcc, 0, v86
	s_or_b64 s[2:3], vcc, s[2:3]
	s_waitcnt vmcnt(0) lgkmcnt(0)
	v_fmac_f64_e32 v[84:85], v[88:89], v[90:91]
	s_andn2_b64 exec, exec, s[2:3]
	s_cbranch_execnz .LBB39_243
; %bb.244:
	s_or_b64 exec, exec, s[2:3]
.LBB39_245:
	s_or_b64 exec, exec, s[8:9]
	v_mov_b32_e32 v86, 0
	ds_read_b64 v[86:87], v86 offset:112
	s_waitcnt lgkmcnt(0)
	v_mul_f64 v[84:85], v[84:85], v[86:87]
	scratch_store_dwordx2 off, v[84:85], off offset:112
.LBB39_246:
	s_or_b64 exec, exec, s[4:5]
	scratch_load_dwordx2 v[84:85], off, off offset:104
	v_cmp_lt_u32_e64 s[2:3], 13, v0
	s_waitcnt vmcnt(0)
	ds_write_b64 v1, v[84:85]
	s_waitcnt lgkmcnt(0)
	; wave barrier
	s_and_saveexec_b64 s[4:5], s[2:3]
	s_cbranch_execz .LBB39_256
; %bb.247:
	s_andn2_b64 vcc, exec, s[6:7]
	s_cbranch_vccnz .LBB39_249
; %bb.248:
	scratch_load_dwordx2 v[84:85], v17, off
	ds_read_b64 v[86:87], v1
	s_waitcnt vmcnt(0) lgkmcnt(0)
	v_mul_f64 v[84:85], v[84:85], v[86:87]
	s_cbranch_execz .LBB39_250
	s_branch .LBB39_251
.LBB39_249:
                                        ; implicit-def: $vgpr84_vgpr85
.LBB39_250:
	ds_read_b64 v[84:85], v1
.LBB39_251:
	s_and_saveexec_b64 s[8:9], s[0:1]
	s_cbranch_execz .LBB39_255
; %bb.252:
	v_add_u32_e32 v86, -14, v0
	s_movk_i32 s17, 0x1b0
	s_mov_b64 s[0:1], 0
.LBB39_253:                             ; =>This Inner Loop Header: Depth=1
	scratch_load_dwordx2 v[88:89], off, s16
	v_mov_b32_e32 v87, s17
	ds_read_b64 v[90:91], v87
	v_add_u32_e32 v86, -1, v86
	s_add_i32 s17, s17, 8
	s_add_i32 s16, s16, 8
	v_cmp_eq_u32_e32 vcc, 0, v86
	s_or_b64 s[0:1], vcc, s[0:1]
	s_waitcnt vmcnt(0) lgkmcnt(0)
	v_fmac_f64_e32 v[84:85], v[88:89], v[90:91]
	s_andn2_b64 exec, exec, s[0:1]
	s_cbranch_execnz .LBB39_253
; %bb.254:
	s_or_b64 exec, exec, s[0:1]
.LBB39_255:
	s_or_b64 exec, exec, s[8:9]
	v_mov_b32_e32 v86, 0
	ds_read_b64 v[86:87], v86 offset:104
	s_waitcnt lgkmcnt(0)
	v_mul_f64 v[84:85], v[84:85], v[86:87]
	scratch_store_dwordx2 off, v[84:85], off offset:104
.LBB39_256:
	s_or_b64 exec, exec, s[4:5]
	scratch_load_dwordx2 v[84:85], off, off offset:96
	v_cmp_lt_u32_e64 s[0:1], 12, v0
	s_waitcnt vmcnt(0)
	ds_write_b64 v1, v[84:85]
	s_waitcnt lgkmcnt(0)
	; wave barrier
	s_and_saveexec_b64 s[4:5], s[0:1]
	s_cbranch_execz .LBB39_266
; %bb.257:
	s_andn2_b64 vcc, exec, s[6:7]
	s_cbranch_vccnz .LBB39_259
; %bb.258:
	scratch_load_dwordx2 v[84:85], v17, off
	ds_read_b64 v[86:87], v1
	s_waitcnt vmcnt(0) lgkmcnt(0)
	v_mul_f64 v[84:85], v[84:85], v[86:87]
	s_cbranch_execz .LBB39_260
	s_branch .LBB39_261
.LBB39_259:
                                        ; implicit-def: $vgpr84_vgpr85
.LBB39_260:
	ds_read_b64 v[84:85], v1
.LBB39_261:
	s_and_saveexec_b64 s[8:9], s[2:3]
	s_cbranch_execz .LBB39_265
; %bb.262:
	s_movk_i32 s16, 0x68
	v_add_u32_e32 v86, -13, v0
	s_movk_i32 s17, 0x1a8
	s_mov_b64 s[2:3], 0
.LBB39_263:                             ; =>This Inner Loop Header: Depth=1
	scratch_load_dwordx2 v[88:89], off, s16
	v_mov_b32_e32 v87, s17
	ds_read_b64 v[90:91], v87
	v_add_u32_e32 v86, -1, v86
	s_add_i32 s17, s17, 8
	s_add_i32 s16, s16, 8
	v_cmp_eq_u32_e32 vcc, 0, v86
	s_or_b64 s[2:3], vcc, s[2:3]
	s_waitcnt vmcnt(0) lgkmcnt(0)
	v_fmac_f64_e32 v[84:85], v[88:89], v[90:91]
	s_andn2_b64 exec, exec, s[2:3]
	s_cbranch_execnz .LBB39_263
; %bb.264:
	s_or_b64 exec, exec, s[2:3]
.LBB39_265:
	s_or_b64 exec, exec, s[8:9]
	v_mov_b32_e32 v86, 0
	ds_read_b64 v[86:87], v86 offset:96
	s_waitcnt lgkmcnt(0)
	v_mul_f64 v[84:85], v[84:85], v[86:87]
	scratch_store_dwordx2 off, v[84:85], off offset:96
.LBB39_266:
	s_or_b64 exec, exec, s[4:5]
	scratch_load_dwordx2 v[84:85], off, off offset:88
	v_cmp_lt_u32_e64 s[2:3], 11, v0
	s_waitcnt vmcnt(0)
	ds_write_b64 v1, v[84:85]
	s_waitcnt lgkmcnt(0)
	; wave barrier
	s_and_saveexec_b64 s[4:5], s[2:3]
	s_cbranch_execz .LBB39_276
; %bb.267:
	s_andn2_b64 vcc, exec, s[6:7]
	s_cbranch_vccnz .LBB39_269
; %bb.268:
	scratch_load_dwordx2 v[84:85], v17, off
	ds_read_b64 v[86:87], v1
	s_waitcnt vmcnt(0) lgkmcnt(0)
	v_mul_f64 v[84:85], v[84:85], v[86:87]
	s_cbranch_execz .LBB39_270
	s_branch .LBB39_271
.LBB39_269:
                                        ; implicit-def: $vgpr84_vgpr85
.LBB39_270:
	ds_read_b64 v[84:85], v1
.LBB39_271:
	s_and_saveexec_b64 s[8:9], s[0:1]
	s_cbranch_execz .LBB39_275
; %bb.272:
	v_add_u32_e32 v86, -12, v0
	s_movk_i32 s16, 0x1a0
	s_mov_b64 s[0:1], 0
.LBB39_273:                             ; =>This Inner Loop Header: Depth=1
	scratch_load_dwordx2 v[88:89], off, s15
	v_mov_b32_e32 v87, s16
	ds_read_b64 v[90:91], v87
	v_add_u32_e32 v86, -1, v86
	s_add_i32 s16, s16, 8
	s_add_i32 s15, s15, 8
	v_cmp_eq_u32_e32 vcc, 0, v86
	s_or_b64 s[0:1], vcc, s[0:1]
	s_waitcnt vmcnt(0) lgkmcnt(0)
	v_fmac_f64_e32 v[84:85], v[88:89], v[90:91]
	s_andn2_b64 exec, exec, s[0:1]
	s_cbranch_execnz .LBB39_273
; %bb.274:
	s_or_b64 exec, exec, s[0:1]
.LBB39_275:
	s_or_b64 exec, exec, s[8:9]
	v_mov_b32_e32 v86, 0
	ds_read_b64 v[86:87], v86 offset:88
	s_waitcnt lgkmcnt(0)
	v_mul_f64 v[84:85], v[84:85], v[86:87]
	scratch_store_dwordx2 off, v[84:85], off offset:88
.LBB39_276:
	s_or_b64 exec, exec, s[4:5]
	scratch_load_dwordx2 v[84:85], off, off offset:80
	v_cmp_lt_u32_e64 s[0:1], 10, v0
	s_waitcnt vmcnt(0)
	ds_write_b64 v1, v[84:85]
	s_waitcnt lgkmcnt(0)
	; wave barrier
	s_and_saveexec_b64 s[4:5], s[0:1]
	s_cbranch_execz .LBB39_286
; %bb.277:
	s_andn2_b64 vcc, exec, s[6:7]
	s_cbranch_vccnz .LBB39_279
; %bb.278:
	scratch_load_dwordx2 v[84:85], v17, off
	ds_read_b64 v[86:87], v1
	s_waitcnt vmcnt(0) lgkmcnt(0)
	v_mul_f64 v[84:85], v[84:85], v[86:87]
	s_cbranch_execz .LBB39_280
	s_branch .LBB39_281
.LBB39_279:
                                        ; implicit-def: $vgpr84_vgpr85
.LBB39_280:
	ds_read_b64 v[84:85], v1
.LBB39_281:
	s_and_saveexec_b64 s[8:9], s[2:3]
	s_cbranch_execz .LBB39_285
; %bb.282:
	s_movk_i32 s15, 0x58
	v_add_u32_e32 v86, -11, v0
	s_movk_i32 s16, 0x198
	s_mov_b64 s[2:3], 0
.LBB39_283:                             ; =>This Inner Loop Header: Depth=1
	scratch_load_dwordx2 v[88:89], off, s15
	v_mov_b32_e32 v87, s16
	ds_read_b64 v[90:91], v87
	v_add_u32_e32 v86, -1, v86
	s_add_i32 s16, s16, 8
	s_add_i32 s15, s15, 8
	v_cmp_eq_u32_e32 vcc, 0, v86
	s_or_b64 s[2:3], vcc, s[2:3]
	s_waitcnt vmcnt(0) lgkmcnt(0)
	v_fmac_f64_e32 v[84:85], v[88:89], v[90:91]
	s_andn2_b64 exec, exec, s[2:3]
	s_cbranch_execnz .LBB39_283
; %bb.284:
	s_or_b64 exec, exec, s[2:3]
.LBB39_285:
	s_or_b64 exec, exec, s[8:9]
	v_mov_b32_e32 v86, 0
	ds_read_b64 v[86:87], v86 offset:80
	s_waitcnt lgkmcnt(0)
	v_mul_f64 v[84:85], v[84:85], v[86:87]
	scratch_store_dwordx2 off, v[84:85], off offset:80
.LBB39_286:
	s_or_b64 exec, exec, s[4:5]
	scratch_load_dwordx2 v[84:85], off, off offset:72
	v_cmp_lt_u32_e64 s[2:3], 9, v0
	s_waitcnt vmcnt(0)
	ds_write_b64 v1, v[84:85]
	s_waitcnt lgkmcnt(0)
	; wave barrier
	s_and_saveexec_b64 s[4:5], s[2:3]
	s_cbranch_execz .LBB39_296
; %bb.287:
	s_andn2_b64 vcc, exec, s[6:7]
	s_cbranch_vccnz .LBB39_289
; %bb.288:
	scratch_load_dwordx2 v[84:85], v17, off
	ds_read_b64 v[86:87], v1
	s_waitcnt vmcnt(0) lgkmcnt(0)
	v_mul_f64 v[84:85], v[84:85], v[86:87]
	s_cbranch_execz .LBB39_290
	s_branch .LBB39_291
.LBB39_289:
                                        ; implicit-def: $vgpr84_vgpr85
.LBB39_290:
	ds_read_b64 v[84:85], v1
.LBB39_291:
	s_and_saveexec_b64 s[8:9], s[0:1]
	s_cbranch_execz .LBB39_295
; %bb.292:
	v_add_u32_e32 v86, -10, v0
	s_movk_i32 s15, 0x190
	s_mov_b64 s[0:1], 0
.LBB39_293:                             ; =>This Inner Loop Header: Depth=1
	scratch_load_dwordx2 v[88:89], off, s14
	v_mov_b32_e32 v87, s15
	ds_read_b64 v[90:91], v87
	v_add_u32_e32 v86, -1, v86
	s_add_i32 s15, s15, 8
	s_add_i32 s14, s14, 8
	v_cmp_eq_u32_e32 vcc, 0, v86
	s_or_b64 s[0:1], vcc, s[0:1]
	s_waitcnt vmcnt(0) lgkmcnt(0)
	v_fmac_f64_e32 v[84:85], v[88:89], v[90:91]
	s_andn2_b64 exec, exec, s[0:1]
	s_cbranch_execnz .LBB39_293
; %bb.294:
	s_or_b64 exec, exec, s[0:1]
.LBB39_295:
	s_or_b64 exec, exec, s[8:9]
	v_mov_b32_e32 v86, 0
	ds_read_b64 v[86:87], v86 offset:72
	s_waitcnt lgkmcnt(0)
	v_mul_f64 v[84:85], v[84:85], v[86:87]
	scratch_store_dwordx2 off, v[84:85], off offset:72
.LBB39_296:
	s_or_b64 exec, exec, s[4:5]
	scratch_load_dwordx2 v[84:85], off, off offset:64
	v_cmp_lt_u32_e64 s[0:1], 8, v0
	s_waitcnt vmcnt(0)
	ds_write_b64 v1, v[84:85]
	s_waitcnt lgkmcnt(0)
	; wave barrier
	s_and_saveexec_b64 s[4:5], s[0:1]
	s_cbranch_execz .LBB39_306
; %bb.297:
	s_andn2_b64 vcc, exec, s[6:7]
	s_cbranch_vccnz .LBB39_299
; %bb.298:
	scratch_load_dwordx2 v[84:85], v17, off
	ds_read_b64 v[86:87], v1
	s_waitcnt vmcnt(0) lgkmcnt(0)
	v_mul_f64 v[84:85], v[84:85], v[86:87]
	s_cbranch_execz .LBB39_300
	s_branch .LBB39_301
.LBB39_299:
                                        ; implicit-def: $vgpr84_vgpr85
.LBB39_300:
	ds_read_b64 v[84:85], v1
.LBB39_301:
	s_and_saveexec_b64 s[8:9], s[2:3]
	s_cbranch_execz .LBB39_305
; %bb.302:
	s_movk_i32 s14, 0x48
	v_add_u32_e32 v86, -9, v0
	s_movk_i32 s15, 0x188
	s_mov_b64 s[2:3], 0
.LBB39_303:                             ; =>This Inner Loop Header: Depth=1
	scratch_load_dwordx2 v[88:89], off, s14
	v_mov_b32_e32 v87, s15
	ds_read_b64 v[90:91], v87
	v_add_u32_e32 v86, -1, v86
	s_add_i32 s15, s15, 8
	s_add_i32 s14, s14, 8
	v_cmp_eq_u32_e32 vcc, 0, v86
	s_or_b64 s[2:3], vcc, s[2:3]
	s_waitcnt vmcnt(0) lgkmcnt(0)
	v_fmac_f64_e32 v[84:85], v[88:89], v[90:91]
	s_andn2_b64 exec, exec, s[2:3]
	s_cbranch_execnz .LBB39_303
; %bb.304:
	s_or_b64 exec, exec, s[2:3]
.LBB39_305:
	s_or_b64 exec, exec, s[8:9]
	v_mov_b32_e32 v86, 0
	ds_read_b64 v[86:87], v86 offset:64
	s_waitcnt lgkmcnt(0)
	v_mul_f64 v[84:85], v[84:85], v[86:87]
	scratch_store_dwordx2 off, v[84:85], off offset:64
.LBB39_306:
	s_or_b64 exec, exec, s[4:5]
	scratch_load_dwordx2 v[84:85], off, off offset:56
	v_cmp_lt_u32_e64 s[2:3], 7, v0
	s_waitcnt vmcnt(0)
	ds_write_b64 v1, v[84:85]
	s_waitcnt lgkmcnt(0)
	; wave barrier
	s_and_saveexec_b64 s[4:5], s[2:3]
	s_cbranch_execz .LBB39_316
; %bb.307:
	s_andn2_b64 vcc, exec, s[6:7]
	s_cbranch_vccnz .LBB39_309
; %bb.308:
	scratch_load_dwordx2 v[84:85], v17, off
	ds_read_b64 v[86:87], v1
	s_waitcnt vmcnt(0) lgkmcnt(0)
	v_mul_f64 v[84:85], v[84:85], v[86:87]
	s_cbranch_execz .LBB39_310
	s_branch .LBB39_311
.LBB39_309:
                                        ; implicit-def: $vgpr84_vgpr85
.LBB39_310:
	ds_read_b64 v[84:85], v1
.LBB39_311:
	s_and_saveexec_b64 s[8:9], s[0:1]
	s_cbranch_execz .LBB39_315
; %bb.312:
	v_add_u32_e32 v86, -8, v0
	s_movk_i32 s14, 0x180
	s_mov_b64 s[0:1], 0
.LBB39_313:                             ; =>This Inner Loop Header: Depth=1
	scratch_load_dwordx2 v[88:89], off, s13
	v_mov_b32_e32 v87, s14
	ds_read_b64 v[90:91], v87
	v_add_u32_e32 v86, -1, v86
	s_add_i32 s14, s14, 8
	s_add_i32 s13, s13, 8
	v_cmp_eq_u32_e32 vcc, 0, v86
	s_or_b64 s[0:1], vcc, s[0:1]
	s_waitcnt vmcnt(0) lgkmcnt(0)
	v_fmac_f64_e32 v[84:85], v[88:89], v[90:91]
	s_andn2_b64 exec, exec, s[0:1]
	s_cbranch_execnz .LBB39_313
; %bb.314:
	s_or_b64 exec, exec, s[0:1]
.LBB39_315:
	s_or_b64 exec, exec, s[8:9]
	v_mov_b32_e32 v86, 0
	ds_read_b64 v[86:87], v86 offset:56
	s_waitcnt lgkmcnt(0)
	v_mul_f64 v[84:85], v[84:85], v[86:87]
	scratch_store_dwordx2 off, v[84:85], off offset:56
.LBB39_316:
	s_or_b64 exec, exec, s[4:5]
	scratch_load_dwordx2 v[84:85], off, off offset:48
	v_cmp_lt_u32_e64 s[0:1], 6, v0
	s_waitcnt vmcnt(0)
	ds_write_b64 v1, v[84:85]
	s_waitcnt lgkmcnt(0)
	; wave barrier
	s_and_saveexec_b64 s[4:5], s[0:1]
	s_cbranch_execz .LBB39_326
; %bb.317:
	s_andn2_b64 vcc, exec, s[6:7]
	s_cbranch_vccnz .LBB39_319
; %bb.318:
	scratch_load_dwordx2 v[84:85], v17, off
	ds_read_b64 v[86:87], v1
	s_waitcnt vmcnt(0) lgkmcnt(0)
	v_mul_f64 v[84:85], v[84:85], v[86:87]
	s_cbranch_execz .LBB39_320
	s_branch .LBB39_321
.LBB39_319:
                                        ; implicit-def: $vgpr84_vgpr85
.LBB39_320:
	ds_read_b64 v[84:85], v1
.LBB39_321:
	s_and_saveexec_b64 s[8:9], s[2:3]
	s_cbranch_execz .LBB39_325
; %bb.322:
	s_mov_b32 s13, 56
	v_add_u32_e32 v86, -7, v0
	s_movk_i32 s14, 0x178
	s_mov_b64 s[2:3], 0
.LBB39_323:                             ; =>This Inner Loop Header: Depth=1
	scratch_load_dwordx2 v[88:89], off, s13
	v_mov_b32_e32 v87, s14
	ds_read_b64 v[90:91], v87
	v_add_u32_e32 v86, -1, v86
	s_add_i32 s14, s14, 8
	s_add_i32 s13, s13, 8
	v_cmp_eq_u32_e32 vcc, 0, v86
	s_or_b64 s[2:3], vcc, s[2:3]
	s_waitcnt vmcnt(0) lgkmcnt(0)
	v_fmac_f64_e32 v[84:85], v[88:89], v[90:91]
	s_andn2_b64 exec, exec, s[2:3]
	s_cbranch_execnz .LBB39_323
; %bb.324:
	s_or_b64 exec, exec, s[2:3]
.LBB39_325:
	s_or_b64 exec, exec, s[8:9]
	v_mov_b32_e32 v86, 0
	ds_read_b64 v[86:87], v86 offset:48
	s_waitcnt lgkmcnt(0)
	v_mul_f64 v[84:85], v[84:85], v[86:87]
	scratch_store_dwordx2 off, v[84:85], off offset:48
.LBB39_326:
	s_or_b64 exec, exec, s[4:5]
	scratch_load_dwordx2 v[84:85], off, off offset:40
	v_cmp_lt_u32_e64 s[2:3], 5, v0
	s_waitcnt vmcnt(0)
	ds_write_b64 v1, v[84:85]
	s_waitcnt lgkmcnt(0)
	; wave barrier
	s_and_saveexec_b64 s[4:5], s[2:3]
	s_cbranch_execz .LBB39_336
; %bb.327:
	s_andn2_b64 vcc, exec, s[6:7]
	s_cbranch_vccnz .LBB39_329
; %bb.328:
	scratch_load_dwordx2 v[84:85], v17, off
	ds_read_b64 v[86:87], v1
	s_waitcnt vmcnt(0) lgkmcnt(0)
	v_mul_f64 v[84:85], v[84:85], v[86:87]
	s_cbranch_execz .LBB39_330
	s_branch .LBB39_331
.LBB39_329:
                                        ; implicit-def: $vgpr84_vgpr85
.LBB39_330:
	ds_read_b64 v[84:85], v1
.LBB39_331:
	s_and_saveexec_b64 s[8:9], s[0:1]
	s_cbranch_execz .LBB39_335
; %bb.332:
	v_add_u32_e32 v86, -6, v0
	s_movk_i32 s13, 0x170
	s_mov_b64 s[0:1], 0
.LBB39_333:                             ; =>This Inner Loop Header: Depth=1
	scratch_load_dwordx2 v[88:89], off, s12
	v_mov_b32_e32 v87, s13
	ds_read_b64 v[90:91], v87
	v_add_u32_e32 v86, -1, v86
	s_add_i32 s13, s13, 8
	s_add_i32 s12, s12, 8
	v_cmp_eq_u32_e32 vcc, 0, v86
	s_or_b64 s[0:1], vcc, s[0:1]
	s_waitcnt vmcnt(0) lgkmcnt(0)
	v_fmac_f64_e32 v[84:85], v[88:89], v[90:91]
	s_andn2_b64 exec, exec, s[0:1]
	s_cbranch_execnz .LBB39_333
; %bb.334:
	s_or_b64 exec, exec, s[0:1]
.LBB39_335:
	s_or_b64 exec, exec, s[8:9]
	v_mov_b32_e32 v86, 0
	ds_read_b64 v[86:87], v86 offset:40
	s_waitcnt lgkmcnt(0)
	v_mul_f64 v[84:85], v[84:85], v[86:87]
	scratch_store_dwordx2 off, v[84:85], off offset:40
.LBB39_336:
	s_or_b64 exec, exec, s[4:5]
	scratch_load_dwordx2 v[84:85], off, off offset:32
	v_cmp_lt_u32_e64 s[0:1], 4, v0
	s_waitcnt vmcnt(0)
	ds_write_b64 v1, v[84:85]
	s_waitcnt lgkmcnt(0)
	; wave barrier
	s_and_saveexec_b64 s[4:5], s[0:1]
	s_cbranch_execz .LBB39_346
; %bb.337:
	s_andn2_b64 vcc, exec, s[6:7]
	s_cbranch_vccnz .LBB39_339
; %bb.338:
	scratch_load_dwordx2 v[84:85], v17, off
	ds_read_b64 v[86:87], v1
	s_waitcnt vmcnt(0) lgkmcnt(0)
	v_mul_f64 v[84:85], v[84:85], v[86:87]
	s_cbranch_execz .LBB39_340
	s_branch .LBB39_341
.LBB39_339:
                                        ; implicit-def: $vgpr84_vgpr85
.LBB39_340:
	ds_read_b64 v[84:85], v1
.LBB39_341:
	s_and_saveexec_b64 s[8:9], s[2:3]
	s_cbranch_execz .LBB39_345
; %bb.342:
	s_mov_b32 s12, 40
	v_add_u32_e32 v86, -5, v0
	s_movk_i32 s13, 0x168
	s_mov_b64 s[2:3], 0
.LBB39_343:                             ; =>This Inner Loop Header: Depth=1
	scratch_load_dwordx2 v[88:89], off, s12
	v_mov_b32_e32 v87, s13
	ds_read_b64 v[90:91], v87
	v_add_u32_e32 v86, -1, v86
	s_add_i32 s13, s13, 8
	s_add_i32 s12, s12, 8
	v_cmp_eq_u32_e32 vcc, 0, v86
	s_or_b64 s[2:3], vcc, s[2:3]
	s_waitcnt vmcnt(0) lgkmcnt(0)
	v_fmac_f64_e32 v[84:85], v[88:89], v[90:91]
	s_andn2_b64 exec, exec, s[2:3]
	s_cbranch_execnz .LBB39_343
; %bb.344:
	s_or_b64 exec, exec, s[2:3]
.LBB39_345:
	s_or_b64 exec, exec, s[8:9]
	v_mov_b32_e32 v86, 0
	ds_read_b64 v[86:87], v86 offset:32
	s_waitcnt lgkmcnt(0)
	v_mul_f64 v[84:85], v[84:85], v[86:87]
	scratch_store_dwordx2 off, v[84:85], off offset:32
.LBB39_346:
	s_or_b64 exec, exec, s[4:5]
	scratch_load_dwordx2 v[84:85], off, off offset:24
	v_cmp_lt_u32_e64 s[2:3], 3, v0
	s_waitcnt vmcnt(0)
	ds_write_b64 v1, v[84:85]
	s_waitcnt lgkmcnt(0)
	; wave barrier
	s_and_saveexec_b64 s[4:5], s[2:3]
	s_cbranch_execz .LBB39_356
; %bb.347:
	s_andn2_b64 vcc, exec, s[6:7]
	s_cbranch_vccnz .LBB39_349
; %bb.348:
	scratch_load_dwordx2 v[84:85], v17, off
	ds_read_b64 v[86:87], v1
	s_waitcnt vmcnt(0) lgkmcnt(0)
	v_mul_f64 v[84:85], v[84:85], v[86:87]
	s_cbranch_execz .LBB39_350
	s_branch .LBB39_351
.LBB39_349:
                                        ; implicit-def: $vgpr84_vgpr85
.LBB39_350:
	ds_read_b64 v[84:85], v1
.LBB39_351:
	s_and_saveexec_b64 s[8:9], s[0:1]
	s_cbranch_execz .LBB39_355
; %bb.352:
	v_add_u32_e32 v86, -4, v0
	s_movk_i32 s12, 0x160
	s_mov_b64 s[0:1], 0
.LBB39_353:                             ; =>This Inner Loop Header: Depth=1
	scratch_load_dwordx2 v[88:89], off, s11
	v_mov_b32_e32 v87, s12
	ds_read_b64 v[90:91], v87
	v_add_u32_e32 v86, -1, v86
	s_add_i32 s12, s12, 8
	s_add_i32 s11, s11, 8
	v_cmp_eq_u32_e32 vcc, 0, v86
	s_or_b64 s[0:1], vcc, s[0:1]
	s_waitcnt vmcnt(0) lgkmcnt(0)
	v_fmac_f64_e32 v[84:85], v[88:89], v[90:91]
	s_andn2_b64 exec, exec, s[0:1]
	s_cbranch_execnz .LBB39_353
; %bb.354:
	s_or_b64 exec, exec, s[0:1]
.LBB39_355:
	s_or_b64 exec, exec, s[8:9]
	v_mov_b32_e32 v86, 0
	ds_read_b64 v[86:87], v86 offset:24
	s_waitcnt lgkmcnt(0)
	v_mul_f64 v[84:85], v[84:85], v[86:87]
	scratch_store_dwordx2 off, v[84:85], off offset:24
.LBB39_356:
	s_or_b64 exec, exec, s[4:5]
	scratch_load_dwordx2 v[84:85], off, off offset:16
	v_cmp_lt_u32_e64 s[0:1], 2, v0
	s_waitcnt vmcnt(0)
	ds_write_b64 v1, v[84:85]
	s_waitcnt lgkmcnt(0)
	; wave barrier
	s_and_saveexec_b64 s[4:5], s[0:1]
	s_cbranch_execz .LBB39_366
; %bb.357:
	s_andn2_b64 vcc, exec, s[6:7]
	s_cbranch_vccnz .LBB39_359
; %bb.358:
	scratch_load_dwordx2 v[84:85], v17, off
	ds_read_b64 v[86:87], v1
	s_waitcnt vmcnt(0) lgkmcnt(0)
	v_mul_f64 v[84:85], v[84:85], v[86:87]
	s_cbranch_execz .LBB39_360
	s_branch .LBB39_361
.LBB39_359:
                                        ; implicit-def: $vgpr84_vgpr85
.LBB39_360:
	ds_read_b64 v[84:85], v1
.LBB39_361:
	s_and_saveexec_b64 s[8:9], s[2:3]
	s_cbranch_execz .LBB39_365
; %bb.362:
	s_mov_b32 s11, 24
	v_add_u32_e32 v86, -3, v0
	s_movk_i32 s12, 0x158
	s_mov_b64 s[2:3], 0
.LBB39_363:                             ; =>This Inner Loop Header: Depth=1
	scratch_load_dwordx2 v[88:89], off, s11
	v_mov_b32_e32 v87, s12
	ds_read_b64 v[90:91], v87
	v_add_u32_e32 v86, -1, v86
	s_add_i32 s12, s12, 8
	s_add_i32 s11, s11, 8
	v_cmp_eq_u32_e32 vcc, 0, v86
	s_or_b64 s[2:3], vcc, s[2:3]
	s_waitcnt vmcnt(0) lgkmcnt(0)
	v_fmac_f64_e32 v[84:85], v[88:89], v[90:91]
	s_andn2_b64 exec, exec, s[2:3]
	s_cbranch_execnz .LBB39_363
; %bb.364:
	s_or_b64 exec, exec, s[2:3]
.LBB39_365:
	s_or_b64 exec, exec, s[8:9]
	v_mov_b32_e32 v86, 0
	ds_read_b64 v[86:87], v86 offset:16
	s_waitcnt lgkmcnt(0)
	v_mul_f64 v[84:85], v[84:85], v[86:87]
	scratch_store_dwordx2 off, v[84:85], off offset:16
.LBB39_366:
	s_or_b64 exec, exec, s[4:5]
	scratch_load_dwordx2 v[84:85], off, off offset:8
	v_cmp_lt_u32_e64 s[2:3], 1, v0
	s_waitcnt vmcnt(0)
	ds_write_b64 v1, v[84:85]
	s_waitcnt lgkmcnt(0)
	; wave barrier
	s_and_saveexec_b64 s[4:5], s[2:3]
	s_cbranch_execz .LBB39_376
; %bb.367:
	s_andn2_b64 vcc, exec, s[6:7]
	s_cbranch_vccnz .LBB39_369
; %bb.368:
	scratch_load_dwordx2 v[84:85], v17, off
	ds_read_b64 v[86:87], v1
	s_waitcnt vmcnt(0) lgkmcnt(0)
	v_mul_f64 v[84:85], v[84:85], v[86:87]
	s_cbranch_execz .LBB39_370
	s_branch .LBB39_371
.LBB39_369:
                                        ; implicit-def: $vgpr84_vgpr85
.LBB39_370:
	ds_read_b64 v[84:85], v1
.LBB39_371:
	s_and_saveexec_b64 s[8:9], s[0:1]
	s_cbranch_execz .LBB39_375
; %bb.372:
	v_add_u32_e32 v86, -2, v0
	s_movk_i32 s11, 0x150
	s_mov_b64 s[0:1], 0
.LBB39_373:                             ; =>This Inner Loop Header: Depth=1
	scratch_load_dwordx2 v[88:89], off, s10
	v_mov_b32_e32 v87, s11
	ds_read_b64 v[90:91], v87
	v_add_u32_e32 v86, -1, v86
	s_add_i32 s11, s11, 8
	s_add_i32 s10, s10, 8
	v_cmp_eq_u32_e32 vcc, 0, v86
	s_or_b64 s[0:1], vcc, s[0:1]
	s_waitcnt vmcnt(0) lgkmcnt(0)
	v_fmac_f64_e32 v[84:85], v[88:89], v[90:91]
	s_andn2_b64 exec, exec, s[0:1]
	s_cbranch_execnz .LBB39_373
; %bb.374:
	s_or_b64 exec, exec, s[0:1]
.LBB39_375:
	s_or_b64 exec, exec, s[8:9]
	v_mov_b32_e32 v86, 0
	ds_read_b64 v[86:87], v86 offset:8
	s_waitcnt lgkmcnt(0)
	v_mul_f64 v[84:85], v[84:85], v[86:87]
	scratch_store_dwordx2 off, v[84:85], off offset:8
.LBB39_376:
	s_or_b64 exec, exec, s[4:5]
	scratch_load_dwordx2 v[84:85], off, off
	v_cmp_ne_u32_e32 vcc, 0, v0
	s_waitcnt vmcnt(0)
	ds_write_b64 v1, v[84:85]
	s_waitcnt lgkmcnt(0)
	; wave barrier
	s_and_saveexec_b64 s[0:1], vcc
	s_cbranch_execz .LBB39_386
; %bb.377:
	s_andn2_b64 vcc, exec, s[6:7]
	s_cbranch_vccnz .LBB39_379
; %bb.378:
	scratch_load_dwordx2 v[84:85], v17, off
	ds_read_b64 v[86:87], v1
	s_waitcnt vmcnt(0) lgkmcnt(0)
	v_mul_f64 v[84:85], v[84:85], v[86:87]
	s_cbranch_execz .LBB39_380
	s_branch .LBB39_381
.LBB39_379:
                                        ; implicit-def: $vgpr84_vgpr85
.LBB39_380:
	ds_read_b64 v[84:85], v1
.LBB39_381:
	s_and_saveexec_b64 s[4:5], s[2:3]
	s_cbranch_execz .LBB39_385
; %bb.382:
	s_or_b32 s8, 0, 8
	v_add_u32_e32 v86, -1, v0
	s_movk_i32 s9, 0x148
	s_mov_b64 s[2:3], 0
.LBB39_383:                             ; =>This Inner Loop Header: Depth=1
	scratch_load_dwordx2 v[88:89], off, s8
	v_mov_b32_e32 v87, s9
	ds_read_b64 v[90:91], v87
	v_add_u32_e32 v86, -1, v86
	s_add_i32 s9, s9, 8
	s_add_i32 s8, s8, 8
	v_cmp_eq_u32_e32 vcc, 0, v86
	s_or_b64 s[2:3], vcc, s[2:3]
	s_waitcnt vmcnt(0) lgkmcnt(0)
	v_fmac_f64_e32 v[84:85], v[88:89], v[90:91]
	s_andn2_b64 exec, exec, s[2:3]
	s_cbranch_execnz .LBB39_383
; %bb.384:
	s_or_b64 exec, exec, s[2:3]
.LBB39_385:
	s_or_b64 exec, exec, s[4:5]
	v_mov_b32_e32 v86, 0
	ds_read_b64 v[86:87], v86
	s_waitcnt lgkmcnt(0)
	v_mul_f64 v[84:85], v[84:85], v[86:87]
	scratch_store_dwordx2 off, v[84:85], off
.LBB39_386:
	s_or_b64 exec, exec, s[0:1]
	s_mov_b64 s[0:1], 0
.LBB39_387:
	s_and_b64 vcc, exec, s[0:1]
	s_cbranch_vccz .LBB39_769
; %bb.388:
	scratch_load_dwordx2 v[84:85], off, off offset:8
	v_cmp_eq_u32_e64 s[2:3], 0, v0
	s_waitcnt vmcnt(0)
	ds_write_b64 v1, v[84:85]
	s_waitcnt lgkmcnt(0)
	; wave barrier
	s_and_saveexec_b64 s[0:1], s[2:3]
	s_cbranch_execz .LBB39_394
; %bb.389:
	s_and_b64 vcc, exec, s[6:7]
	s_cbranch_vccz .LBB39_391
; %bb.390:
	scratch_load_dwordx2 v[84:85], v17, off
	ds_read_b64 v[86:87], v1
	s_waitcnt vmcnt(0) lgkmcnt(0)
	v_mul_f64 v[84:85], v[84:85], v[86:87]
	s_cbranch_execz .LBB39_392
	s_branch .LBB39_393
.LBB39_391:
                                        ; implicit-def: $vgpr84_vgpr85
.LBB39_392:
	ds_read_b64 v[84:85], v1
.LBB39_393:
	v_mov_b32_e32 v86, 0
	ds_read_b64 v[86:87], v86 offset:8
	s_waitcnt lgkmcnt(0)
	v_mul_f64 v[84:85], v[84:85], v[86:87]
	scratch_store_dwordx2 off, v[84:85], off offset:8
.LBB39_394:
	s_or_b64 exec, exec, s[0:1]
	scratch_load_dwordx2 v[84:85], off, off offset:16
	v_cndmask_b32_e64 v86, 0, 1, s[6:7]
	v_cmp_gt_u32_e32 vcc, 2, v0
	v_cmp_ne_u32_e64 s[0:1], 1, v86
	s_waitcnt vmcnt(0)
	ds_write_b64 v1, v[84:85]
	s_waitcnt lgkmcnt(0)
	; wave barrier
	s_and_saveexec_b64 s[4:5], vcc
	s_cbranch_execz .LBB39_400
; %bb.395:
	s_and_b64 vcc, exec, s[0:1]
	s_cbranch_vccnz .LBB39_397
; %bb.396:
	scratch_load_dwordx2 v[84:85], v17, off
	ds_read_b64 v[86:87], v1
	s_waitcnt vmcnt(0) lgkmcnt(0)
	v_mul_f64 v[84:85], v[84:85], v[86:87]
	s_cbranch_execz .LBB39_398
	s_branch .LBB39_399
.LBB39_397:
                                        ; implicit-def: $vgpr84_vgpr85
.LBB39_398:
	ds_read_b64 v[84:85], v1
.LBB39_399:
	scratch_load_dwordx2 v[90:91], off, off offset:8
	v_mov_b32_e32 v86, 0
	ds_read2_b64 v[86:89], v86 offset0:2 offset1:41
	s_waitcnt vmcnt(0) lgkmcnt(0)
	v_fma_f64 v[88:89], v[90:91], v[88:89], v[84:85]
	v_cndmask_b32_e64 v85, v85, v89, s[2:3]
	v_cndmask_b32_e64 v84, v84, v88, s[2:3]
	v_mul_f64 v[84:85], v[84:85], v[86:87]
	scratch_store_dwordx2 off, v[84:85], off offset:16
.LBB39_400:
	s_or_b64 exec, exec, s[4:5]
	scratch_load_dwordx2 v[84:85], off, off offset:24
	v_cmp_gt_u32_e32 vcc, 3, v0
	s_waitcnt vmcnt(0)
	ds_write_b64 v1, v[84:85]
	s_waitcnt lgkmcnt(0)
	; wave barrier
	s_and_saveexec_b64 s[4:5], vcc
	s_cbranch_execz .LBB39_408
; %bb.401:
	s_and_b64 vcc, exec, s[0:1]
	s_cbranch_vccnz .LBB39_403
; %bb.402:
	scratch_load_dwordx2 v[84:85], v17, off
	ds_read_b64 v[86:87], v1
	s_waitcnt vmcnt(0) lgkmcnt(0)
	v_mul_f64 v[84:85], v[84:85], v[86:87]
	s_cbranch_execz .LBB39_404
	s_branch .LBB39_405
.LBB39_403:
                                        ; implicit-def: $vgpr84_vgpr85
.LBB39_404:
	ds_read_b64 v[84:85], v1
.LBB39_405:
	v_cmp_ne_u32_e32 vcc, 2, v0
	s_and_saveexec_b64 s[6:7], vcc
	s_cbranch_execz .LBB39_407
; %bb.406:
	scratch_load_dwordx2 v[86:87], v17, off offset:8
	scratch_load_dwordx2 v[88:89], off, off offset:16
	ds_read_b64 v[90:91], v1 offset:8
	v_mov_b32_e32 v92, 0
	ds_read_b64 v[92:93], v92 offset:336
	s_waitcnt vmcnt(1) lgkmcnt(1)
	v_fmac_f64_e32 v[84:85], v[86:87], v[90:91]
	s_waitcnt vmcnt(0) lgkmcnt(0)
	v_fma_f64 v[86:87], v[88:89], v[92:93], v[84:85]
	v_cndmask_b32_e64 v85, v85, v87, s[2:3]
	v_cndmask_b32_e64 v84, v84, v86, s[2:3]
.LBB39_407:
	s_or_b64 exec, exec, s[6:7]
	v_mov_b32_e32 v86, 0
	ds_read_b64 v[86:87], v86 offset:24
	s_waitcnt lgkmcnt(0)
	v_mul_f64 v[84:85], v[84:85], v[86:87]
	scratch_store_dwordx2 off, v[84:85], off offset:24
.LBB39_408:
	s_or_b64 exec, exec, s[4:5]
	scratch_load_dwordx2 v[84:85], off, off offset:32
	v_cmp_gt_u32_e32 vcc, 4, v0
	s_waitcnt vmcnt(0)
	ds_write_b64 v1, v[84:85]
	s_waitcnt lgkmcnt(0)
	; wave barrier
	s_and_saveexec_b64 s[2:3], vcc
	s_cbranch_execz .LBB39_418
; %bb.409:
	s_and_b64 vcc, exec, s[0:1]
	s_cbranch_vccnz .LBB39_411
; %bb.410:
	scratch_load_dwordx2 v[84:85], v17, off
	ds_read_b64 v[86:87], v1
	s_waitcnt vmcnt(0) lgkmcnt(0)
	v_mul_f64 v[84:85], v[84:85], v[86:87]
	s_cbranch_execz .LBB39_412
	s_branch .LBB39_413
.LBB39_411:
                                        ; implicit-def: $vgpr84_vgpr85
.LBB39_412:
	ds_read_b64 v[84:85], v1
.LBB39_413:
	v_cmp_ne_u32_e32 vcc, 3, v0
	s_and_saveexec_b64 s[4:5], vcc
	s_cbranch_execz .LBB39_417
; %bb.414:
	s_mov_b32 s6, 0
	v_add_u32_e32 v86, 0x148, v16
	v_add3_u32 v87, v16, s6, 8
	s_mov_b64 s[6:7], 0
	v_mov_b32_e32 v88, v0
.LBB39_415:                             ; =>This Inner Loop Header: Depth=1
	scratch_load_dwordx2 v[90:91], v87, off
	ds_read_b64 v[92:93], v86
	v_add_u32_e32 v88, 1, v88
	v_cmp_lt_u32_e32 vcc, 2, v88
	v_add_u32_e32 v86, 8, v86
	v_add_u32_e32 v87, 8, v87
	s_or_b64 s[6:7], vcc, s[6:7]
	s_waitcnt vmcnt(0) lgkmcnt(0)
	v_fmac_f64_e32 v[84:85], v[90:91], v[92:93]
	s_andn2_b64 exec, exec, s[6:7]
	s_cbranch_execnz .LBB39_415
; %bb.416:
	s_or_b64 exec, exec, s[6:7]
.LBB39_417:
	s_or_b64 exec, exec, s[4:5]
	v_mov_b32_e32 v86, 0
	ds_read_b64 v[86:87], v86 offset:32
	s_waitcnt lgkmcnt(0)
	v_mul_f64 v[84:85], v[84:85], v[86:87]
	scratch_store_dwordx2 off, v[84:85], off offset:32
.LBB39_418:
	s_or_b64 exec, exec, s[2:3]
	scratch_load_dwordx2 v[84:85], off, off offset:40
	v_cmp_gt_u32_e32 vcc, 5, v0
	s_waitcnt vmcnt(0)
	ds_write_b64 v1, v[84:85]
	s_waitcnt lgkmcnt(0)
	; wave barrier
	s_and_saveexec_b64 s[2:3], vcc
	s_cbranch_execz .LBB39_428
; %bb.419:
	s_and_b64 vcc, exec, s[0:1]
	s_cbranch_vccnz .LBB39_421
; %bb.420:
	scratch_load_dwordx2 v[84:85], v17, off
	ds_read_b64 v[86:87], v1
	s_waitcnt vmcnt(0) lgkmcnt(0)
	v_mul_f64 v[84:85], v[84:85], v[86:87]
	s_cbranch_execz .LBB39_422
	s_branch .LBB39_423
.LBB39_421:
                                        ; implicit-def: $vgpr84_vgpr85
.LBB39_422:
	ds_read_b64 v[84:85], v1
.LBB39_423:
	v_cmp_ne_u32_e32 vcc, 4, v0
	s_and_saveexec_b64 s[4:5], vcc
	s_cbranch_execz .LBB39_427
; %bb.424:
	s_mov_b32 s6, 0
	v_add_u32_e32 v86, 0x148, v16
	v_add3_u32 v87, v16, s6, 8
	s_mov_b64 s[6:7], 0
	v_mov_b32_e32 v88, v0
.LBB39_425:                             ; =>This Inner Loop Header: Depth=1
	scratch_load_dwordx2 v[90:91], v87, off
	ds_read_b64 v[92:93], v86
	v_add_u32_e32 v88, 1, v88
	v_cmp_lt_u32_e32 vcc, 3, v88
	v_add_u32_e32 v86, 8, v86
	v_add_u32_e32 v87, 8, v87
	s_or_b64 s[6:7], vcc, s[6:7]
	s_waitcnt vmcnt(0) lgkmcnt(0)
	v_fmac_f64_e32 v[84:85], v[90:91], v[92:93]
	s_andn2_b64 exec, exec, s[6:7]
	s_cbranch_execnz .LBB39_425
; %bb.426:
	s_or_b64 exec, exec, s[6:7]
.LBB39_427:
	s_or_b64 exec, exec, s[4:5]
	v_mov_b32_e32 v86, 0
	ds_read_b64 v[86:87], v86 offset:40
	s_waitcnt lgkmcnt(0)
	v_mul_f64 v[84:85], v[84:85], v[86:87]
	scratch_store_dwordx2 off, v[84:85], off offset:40
.LBB39_428:
	;; [unrolled: 55-line block ×34, first 2 shown]
	s_or_b64 exec, exec, s[2:3]
	scratch_load_dwordx2 v[84:85], off, off offset:304
	v_cmp_gt_u32_e64 s[2:3], 38, v0
	s_waitcnt vmcnt(0)
	ds_write_b64 v1, v[84:85]
	s_waitcnt lgkmcnt(0)
	; wave barrier
	s_and_saveexec_b64 s[4:5], s[2:3]
	s_cbranch_execz .LBB39_758
; %bb.749:
	s_and_b64 vcc, exec, s[0:1]
	s_cbranch_vccnz .LBB39_751
; %bb.750:
	scratch_load_dwordx2 v[84:85], v17, off
	ds_read_b64 v[86:87], v1
	s_waitcnt vmcnt(0) lgkmcnt(0)
	v_mul_f64 v[84:85], v[84:85], v[86:87]
	s_cbranch_execz .LBB39_752
	s_branch .LBB39_753
.LBB39_751:
                                        ; implicit-def: $vgpr84_vgpr85
.LBB39_752:
	ds_read_b64 v[84:85], v1
.LBB39_753:
	v_cmp_ne_u32_e32 vcc, 37, v0
	s_and_saveexec_b64 s[6:7], vcc
	s_cbranch_execz .LBB39_757
; %bb.754:
	s_mov_b32 s8, 0
	v_add_u32_e32 v86, 0x148, v16
	v_add3_u32 v87, v16, s8, 8
	s_mov_b64 s[8:9], 0
	v_mov_b32_e32 v88, v0
.LBB39_755:                             ; =>This Inner Loop Header: Depth=1
	scratch_load_dwordx2 v[90:91], v87, off
	ds_read_b64 v[92:93], v86
	v_add_u32_e32 v88, 1, v88
	v_cmp_lt_u32_e32 vcc, 36, v88
	v_add_u32_e32 v86, 8, v86
	v_add_u32_e32 v87, 8, v87
	s_or_b64 s[8:9], vcc, s[8:9]
	s_waitcnt vmcnt(0) lgkmcnt(0)
	v_fmac_f64_e32 v[84:85], v[90:91], v[92:93]
	s_andn2_b64 exec, exec, s[8:9]
	s_cbranch_execnz .LBB39_755
; %bb.756:
	s_or_b64 exec, exec, s[8:9]
.LBB39_757:
	s_or_b64 exec, exec, s[6:7]
	v_mov_b32_e32 v86, 0
	ds_read_b64 v[86:87], v86 offset:304
	s_waitcnt lgkmcnt(0)
	v_mul_f64 v[84:85], v[84:85], v[86:87]
	scratch_store_dwordx2 off, v[84:85], off offset:304
.LBB39_758:
	s_or_b64 exec, exec, s[4:5]
	scratch_load_dwordx2 v[84:85], off, off offset:312
	v_cmp_ne_u32_e32 vcc, 39, v0
	s_waitcnt vmcnt(0)
	ds_write_b64 v1, v[84:85]
	s_waitcnt lgkmcnt(0)
	; wave barrier
	s_and_saveexec_b64 s[4:5], vcc
	s_cbranch_execz .LBB39_768
; %bb.759:
	s_and_b64 vcc, exec, s[0:1]
	s_cbranch_vccnz .LBB39_761
; %bb.760:
	scratch_load_dwordx2 v[84:85], v17, off
	ds_read_b64 v[86:87], v1
	s_waitcnt vmcnt(0) lgkmcnt(0)
	v_mul_f64 v[84:85], v[84:85], v[86:87]
	s_cbranch_execz .LBB39_762
	s_branch .LBB39_763
.LBB39_761:
                                        ; implicit-def: $vgpr84_vgpr85
.LBB39_762:
	ds_read_b64 v[84:85], v1
.LBB39_763:
	s_and_saveexec_b64 s[0:1], s[2:3]
	s_cbranch_execz .LBB39_767
; %bb.764:
	s_mov_b32 s2, 0
	v_add_u32_e32 v1, 0x148, v16
	v_add3_u32 v16, v16, s2, 8
	s_mov_b64 s[2:3], 0
.LBB39_765:                             ; =>This Inner Loop Header: Depth=1
	scratch_load_dwordx2 v[86:87], v16, off
	ds_read_b64 v[88:89], v1
	v_add_u32_e32 v0, 1, v0
	v_cmp_lt_u32_e32 vcc, 37, v0
	v_add_u32_e32 v1, 8, v1
	v_add_u32_e32 v16, 8, v16
	s_or_b64 s[2:3], vcc, s[2:3]
	s_waitcnt vmcnt(0) lgkmcnt(0)
	v_fmac_f64_e32 v[84:85], v[86:87], v[88:89]
	s_andn2_b64 exec, exec, s[2:3]
	s_cbranch_execnz .LBB39_765
; %bb.766:
	s_or_b64 exec, exec, s[2:3]
.LBB39_767:
	s_or_b64 exec, exec, s[0:1]
	v_mov_b32_e32 v0, 0
	ds_read_b64 v[0:1], v0 offset:312
	s_waitcnt lgkmcnt(0)
	v_mul_f64 v[0:1], v[84:85], v[0:1]
	scratch_store_dwordx2 off, v[0:1], off offset:312
.LBB39_768:
	s_or_b64 exec, exec, s[4:5]
.LBB39_769:
	scratch_load_dwordx4 v[84:87], off, off
	s_waitcnt vmcnt(0)
	global_store_dwordx2 v[2:3], v[84:85], off
	global_store_dwordx2 v[4:5], v[86:87], off
	scratch_load_dwordx4 v[0:3], off, off offset:16
	s_waitcnt vmcnt(0)
	global_store_dwordx2 v[6:7], v[0:1], off
	global_store_dwordx2 v[8:9], v[2:3], off
	scratch_load_dwordx4 v[0:3], off, off offset:32
	s_waitcnt vmcnt(0)
	global_store_dwordx2 v[10:11], v[0:1], off
	global_store_dwordx2 v[12:13], v[2:3], off
	scratch_load_dwordx4 v[0:3], off, off offset:48
	s_waitcnt vmcnt(0)
	global_store_dwordx2 v[14:15], v[0:1], off
	global_store_dwordx2 v[18:19], v[2:3], off
	scratch_load_dwordx4 v[0:3], off, off offset:64
	s_waitcnt vmcnt(0)
	global_store_dwordx2 v[20:21], v[0:1], off
	global_store_dwordx2 v[22:23], v[2:3], off
	scratch_load_dwordx4 v[0:3], off, off offset:80
	s_waitcnt vmcnt(0)
	global_store_dwordx2 v[24:25], v[0:1], off
	global_store_dwordx2 v[26:27], v[2:3], off
	scratch_load_dwordx4 v[0:3], off, off offset:96
	s_waitcnt vmcnt(0)
	global_store_dwordx2 v[28:29], v[0:1], off
	global_store_dwordx2 v[30:31], v[2:3], off
	scratch_load_dwordx4 v[0:3], off, off offset:112
	s_waitcnt vmcnt(0)
	global_store_dwordx2 v[32:33], v[0:1], off
	global_store_dwordx2 v[34:35], v[2:3], off
	scratch_load_dwordx4 v[0:3], off, off offset:128
	s_waitcnt vmcnt(0)
	global_store_dwordx2 v[36:37], v[0:1], off
	global_store_dwordx2 v[38:39], v[2:3], off
	scratch_load_dwordx4 v[0:3], off, off offset:144
	s_waitcnt vmcnt(0)
	global_store_dwordx2 v[40:41], v[0:1], off
	global_store_dwordx2 v[42:43], v[2:3], off
	scratch_load_dwordx4 v[0:3], off, off offset:160
	s_waitcnt vmcnt(0)
	global_store_dwordx2 v[44:45], v[0:1], off
	global_store_dwordx2 v[46:47], v[2:3], off
	scratch_load_dwordx4 v[0:3], off, off offset:176
	s_waitcnt vmcnt(0)
	global_store_dwordx2 v[48:49], v[0:1], off
	global_store_dwordx2 v[50:51], v[2:3], off
	scratch_load_dwordx4 v[0:3], off, off offset:192
	s_waitcnt vmcnt(0)
	global_store_dwordx2 v[52:53], v[0:1], off
	global_store_dwordx2 v[54:55], v[2:3], off
	scratch_load_dwordx4 v[0:3], off, off offset:208
	s_waitcnt vmcnt(0)
	global_store_dwordx2 v[56:57], v[0:1], off
	global_store_dwordx2 v[58:59], v[2:3], off
	scratch_load_dwordx4 v[0:3], off, off offset:224
	s_waitcnt vmcnt(0)
	global_store_dwordx2 v[60:61], v[0:1], off
	global_store_dwordx2 v[62:63], v[2:3], off
	scratch_load_dwordx4 v[0:3], off, off offset:240
	s_waitcnt vmcnt(0)
	global_store_dwordx2 v[64:65], v[0:1], off
	global_store_dwordx2 v[66:67], v[2:3], off
	scratch_load_dwordx4 v[0:3], off, off offset:256
	s_waitcnt vmcnt(0)
	global_store_dwordx2 v[68:69], v[0:1], off
	global_store_dwordx2 v[72:73], v[2:3], off
	scratch_load_dwordx4 v[0:3], off, off offset:272
	s_waitcnt vmcnt(0)
	global_store_dwordx2 v[76:77], v[0:1], off
	global_store_dwordx2 v[78:79], v[2:3], off
	scratch_load_dwordx4 v[0:3], off, off offset:288
	s_waitcnt vmcnt(0)
	global_store_dwordx2 v[80:81], v[0:1], off
	global_store_dwordx2 v[82:83], v[2:3], off
	scratch_load_dwordx4 v[0:3], off, off offset:304
	s_waitcnt vmcnt(0)
	global_store_dwordx2 v[70:71], v[0:1], off
	global_store_dwordx2 v[74:75], v[2:3], off
.LBB39_770:
	s_endpgm
	.section	.rodata,"a",@progbits
	.p2align	6, 0x0
	.amdhsa_kernel _ZN9rocsolver6v33100L18trti2_kernel_smallILi40EdPdEEv13rocblas_fill_17rocblas_diagonal_T1_iil
		.amdhsa_group_segment_fixed_size 640
		.amdhsa_private_segment_fixed_size 336
		.amdhsa_kernarg_size 32
		.amdhsa_user_sgpr_count 2
		.amdhsa_user_sgpr_dispatch_ptr 0
		.amdhsa_user_sgpr_queue_ptr 0
		.amdhsa_user_sgpr_kernarg_segment_ptr 1
		.amdhsa_user_sgpr_dispatch_id 0
		.amdhsa_user_sgpr_kernarg_preload_length 0
		.amdhsa_user_sgpr_kernarg_preload_offset 0
		.amdhsa_user_sgpr_private_segment_size 0
		.amdhsa_uses_dynamic_stack 0
		.amdhsa_enable_private_segment 1
		.amdhsa_system_sgpr_workgroup_id_x 1
		.amdhsa_system_sgpr_workgroup_id_y 0
		.amdhsa_system_sgpr_workgroup_id_z 0
		.amdhsa_system_sgpr_workgroup_info 0
		.amdhsa_system_vgpr_workitem_id 0
		.amdhsa_next_free_vgpr 94
		.amdhsa_next_free_sgpr 30
		.amdhsa_accum_offset 96
		.amdhsa_reserve_vcc 1
		.amdhsa_float_round_mode_32 0
		.amdhsa_float_round_mode_16_64 0
		.amdhsa_float_denorm_mode_32 3
		.amdhsa_float_denorm_mode_16_64 3
		.amdhsa_dx10_clamp 1
		.amdhsa_ieee_mode 1
		.amdhsa_fp16_overflow 0
		.amdhsa_tg_split 0
		.amdhsa_exception_fp_ieee_invalid_op 0
		.amdhsa_exception_fp_denorm_src 0
		.amdhsa_exception_fp_ieee_div_zero 0
		.amdhsa_exception_fp_ieee_overflow 0
		.amdhsa_exception_fp_ieee_underflow 0
		.amdhsa_exception_fp_ieee_inexact 0
		.amdhsa_exception_int_div_zero 0
	.end_amdhsa_kernel
	.section	.text._ZN9rocsolver6v33100L18trti2_kernel_smallILi40EdPdEEv13rocblas_fill_17rocblas_diagonal_T1_iil,"axG",@progbits,_ZN9rocsolver6v33100L18trti2_kernel_smallILi40EdPdEEv13rocblas_fill_17rocblas_diagonal_T1_iil,comdat
.Lfunc_end39:
	.size	_ZN9rocsolver6v33100L18trti2_kernel_smallILi40EdPdEEv13rocblas_fill_17rocblas_diagonal_T1_iil, .Lfunc_end39-_ZN9rocsolver6v33100L18trti2_kernel_smallILi40EdPdEEv13rocblas_fill_17rocblas_diagonal_T1_iil
                                        ; -- End function
	.set _ZN9rocsolver6v33100L18trti2_kernel_smallILi40EdPdEEv13rocblas_fill_17rocblas_diagonal_T1_iil.num_vgpr, 94
	.set _ZN9rocsolver6v33100L18trti2_kernel_smallILi40EdPdEEv13rocblas_fill_17rocblas_diagonal_T1_iil.num_agpr, 0
	.set _ZN9rocsolver6v33100L18trti2_kernel_smallILi40EdPdEEv13rocblas_fill_17rocblas_diagonal_T1_iil.numbered_sgpr, 30
	.set _ZN9rocsolver6v33100L18trti2_kernel_smallILi40EdPdEEv13rocblas_fill_17rocblas_diagonal_T1_iil.num_named_barrier, 0
	.set _ZN9rocsolver6v33100L18trti2_kernel_smallILi40EdPdEEv13rocblas_fill_17rocblas_diagonal_T1_iil.private_seg_size, 336
	.set _ZN9rocsolver6v33100L18trti2_kernel_smallILi40EdPdEEv13rocblas_fill_17rocblas_diagonal_T1_iil.uses_vcc, 1
	.set _ZN9rocsolver6v33100L18trti2_kernel_smallILi40EdPdEEv13rocblas_fill_17rocblas_diagonal_T1_iil.uses_flat_scratch, 0
	.set _ZN9rocsolver6v33100L18trti2_kernel_smallILi40EdPdEEv13rocblas_fill_17rocblas_diagonal_T1_iil.has_dyn_sized_stack, 0
	.set _ZN9rocsolver6v33100L18trti2_kernel_smallILi40EdPdEEv13rocblas_fill_17rocblas_diagonal_T1_iil.has_recursion, 0
	.set _ZN9rocsolver6v33100L18trti2_kernel_smallILi40EdPdEEv13rocblas_fill_17rocblas_diagonal_T1_iil.has_indirect_call, 0
	.section	.AMDGPU.csdata,"",@progbits
; Kernel info:
; codeLenInByte = 18956
; TotalNumSgprs: 36
; NumVgprs: 94
; NumAgprs: 0
; TotalNumVgprs: 94
; ScratchSize: 336
; MemoryBound: 0
; FloatMode: 240
; IeeeMode: 1
; LDSByteSize: 640 bytes/workgroup (compile time only)
; SGPRBlocks: 4
; VGPRBlocks: 11
; NumSGPRsForWavesPerEU: 36
; NumVGPRsForWavesPerEU: 94
; AccumOffset: 96
; Occupancy: 5
; WaveLimiterHint : 0
; COMPUTE_PGM_RSRC2:SCRATCH_EN: 1
; COMPUTE_PGM_RSRC2:USER_SGPR: 2
; COMPUTE_PGM_RSRC2:TRAP_HANDLER: 0
; COMPUTE_PGM_RSRC2:TGID_X_EN: 1
; COMPUTE_PGM_RSRC2:TGID_Y_EN: 0
; COMPUTE_PGM_RSRC2:TGID_Z_EN: 0
; COMPUTE_PGM_RSRC2:TIDIG_COMP_CNT: 0
; COMPUTE_PGM_RSRC3_GFX90A:ACCUM_OFFSET: 23
; COMPUTE_PGM_RSRC3_GFX90A:TG_SPLIT: 0
	.section	.text._ZN9rocsolver6v33100L18trti2_kernel_smallILi41EdPdEEv13rocblas_fill_17rocblas_diagonal_T1_iil,"axG",@progbits,_ZN9rocsolver6v33100L18trti2_kernel_smallILi41EdPdEEv13rocblas_fill_17rocblas_diagonal_T1_iil,comdat
	.globl	_ZN9rocsolver6v33100L18trti2_kernel_smallILi41EdPdEEv13rocblas_fill_17rocblas_diagonal_T1_iil ; -- Begin function _ZN9rocsolver6v33100L18trti2_kernel_smallILi41EdPdEEv13rocblas_fill_17rocblas_diagonal_T1_iil
	.p2align	8
	.type	_ZN9rocsolver6v33100L18trti2_kernel_smallILi41EdPdEEv13rocblas_fill_17rocblas_diagonal_T1_iil,@function
_ZN9rocsolver6v33100L18trti2_kernel_smallILi41EdPdEEv13rocblas_fill_17rocblas_diagonal_T1_iil: ; @_ZN9rocsolver6v33100L18trti2_kernel_smallILi41EdPdEEv13rocblas_fill_17rocblas_diagonal_T1_iil
; %bb.0:
	v_cmp_gt_u32_e32 vcc, 41, v0
	s_and_saveexec_b64 s[4:5], vcc
	s_cbranch_execz .LBB40_790
; %bb.1:
	s_load_dwordx8 s[4:11], s[0:1], 0x0
	s_ashr_i32 s3, s2, 31
	v_lshlrev_b32_e32 v10, 3, v0
	v_mov_b32_e32 v11, 0
	s_waitcnt lgkmcnt(0)
	s_ashr_i32 s1, s8, 31
	s_mov_b32 s0, s8
	s_mul_hi_u32 s8, s10, s2
	s_mul_i32 s3, s10, s3
	s_add_i32 s3, s8, s3
	s_mul_i32 s8, s11, s2
	s_add_i32 s3, s3, s8
	s_mul_i32 s2, s10, s2
	s_lshl_b64 s[2:3], s[2:3], 3
	s_add_u32 s2, s6, s2
	s_addc_u32 s3, s7, s3
	s_lshl_b64 s[0:1], s[0:1], 3
	s_add_u32 s0, s2, s0
	s_addc_u32 s1, s3, s1
	v_lshl_add_u64 v[2:3], s[0:1], 0, v[10:11]
	s_ashr_i32 s3, s9, 31
	s_mov_b32 s2, s9
	v_lshl_add_u64 v[4:5], s[2:3], 3, v[2:3]
	global_load_dwordx2 v[6:7], v10, s[0:1]
	global_load_dwordx2 v[8:9], v[4:5], off
	s_add_i32 s2, s9, s9
	s_cmpk_lg_i32 s5, 0x84
	s_cselect_b64 s[6:7], -1, 0
	s_cmpk_eq_i32 s5, 0x84
	s_waitcnt vmcnt(0)
	scratch_store_dwordx4 off, v[6:9], off
	s_nop 1
	v_add_u32_e32 v8, s2, v0
	v_add_u32_e32 v12, s9, v8
	v_ashrrev_i32_e32 v9, 31, v8
	v_ashrrev_i32_e32 v13, 31, v12
	v_lshl_add_u64 v[6:7], v[8:9], 3, s[0:1]
	v_lshl_add_u64 v[8:9], v[12:13], 3, s[0:1]
	global_load_dwordx2 v[14:15], v[6:7], off
	global_load_dwordx2 v[16:17], v[8:9], off
	s_waitcnt vmcnt(0)
	scratch_store_dwordx4 off, v[14:17], off offset:16
	s_nop 1
	v_add_u32_e32 v14, s9, v12
	v_add_u32_e32 v16, s9, v14
	v_ashrrev_i32_e32 v15, 31, v14
	v_ashrrev_i32_e32 v17, 31, v16
	v_lshl_add_u64 v[12:13], v[14:15], 3, s[0:1]
	v_lshl_add_u64 v[14:15], v[16:17], 3, s[0:1]
	global_load_dwordx2 v[18:19], v[12:13], off
	global_load_dwordx2 v[20:21], v[14:15], off
	s_waitcnt vmcnt(0)
	scratch_store_dwordx4 off, v[18:21], off offset:32
	s_nop 1
	v_add_u32_e32 v18, s9, v16
	v_add_u32_e32 v20, s9, v18
	v_ashrrev_i32_e32 v19, 31, v18
	v_ashrrev_i32_e32 v21, 31, v20
	v_lshl_add_u64 v[16:17], v[18:19], 3, s[0:1]
	v_lshl_add_u64 v[18:19], v[20:21], 3, s[0:1]
	global_load_dwordx2 v[22:23], v[16:17], off
	global_load_dwordx2 v[24:25], v[18:19], off
	s_waitcnt vmcnt(0)
	scratch_store_dwordx4 off, v[22:25], off offset:48
	s_nop 1
	v_add_u32_e32 v22, s9, v20
	v_add_u32_e32 v24, s9, v22
	v_ashrrev_i32_e32 v23, 31, v22
	v_ashrrev_i32_e32 v25, 31, v24
	v_lshl_add_u64 v[20:21], v[22:23], 3, s[0:1]
	v_lshl_add_u64 v[22:23], v[24:25], 3, s[0:1]
	global_load_dwordx2 v[26:27], v[20:21], off
	global_load_dwordx2 v[28:29], v[22:23], off
	s_waitcnt vmcnt(0)
	scratch_store_dwordx4 off, v[26:29], off offset:64
	s_nop 1
	v_add_u32_e32 v26, s9, v24
	v_add_u32_e32 v28, s9, v26
	v_ashrrev_i32_e32 v27, 31, v26
	v_ashrrev_i32_e32 v29, 31, v28
	v_lshl_add_u64 v[24:25], v[26:27], 3, s[0:1]
	v_lshl_add_u64 v[26:27], v[28:29], 3, s[0:1]
	global_load_dwordx2 v[30:31], v[24:25], off
	global_load_dwordx2 v[32:33], v[26:27], off
	s_waitcnt vmcnt(0)
	scratch_store_dwordx4 off, v[30:33], off offset:80
	s_nop 1
	v_add_u32_e32 v30, s9, v28
	v_add_u32_e32 v32, s9, v30
	v_ashrrev_i32_e32 v31, 31, v30
	v_ashrrev_i32_e32 v33, 31, v32
	v_lshl_add_u64 v[28:29], v[30:31], 3, s[0:1]
	v_lshl_add_u64 v[30:31], v[32:33], 3, s[0:1]
	global_load_dwordx2 v[34:35], v[28:29], off
	global_load_dwordx2 v[36:37], v[30:31], off
	s_waitcnt vmcnt(0)
	scratch_store_dwordx4 off, v[34:37], off offset:96
	s_nop 1
	v_add_u32_e32 v34, s9, v32
	v_add_u32_e32 v36, s9, v34
	v_ashrrev_i32_e32 v35, 31, v34
	v_ashrrev_i32_e32 v37, 31, v36
	v_lshl_add_u64 v[32:33], v[34:35], 3, s[0:1]
	v_lshl_add_u64 v[34:35], v[36:37], 3, s[0:1]
	global_load_dwordx2 v[38:39], v[32:33], off
	global_load_dwordx2 v[40:41], v[34:35], off
	s_waitcnt vmcnt(0)
	scratch_store_dwordx4 off, v[38:41], off offset:112
	s_nop 1
	v_add_u32_e32 v38, s9, v36
	v_add_u32_e32 v40, s9, v38
	v_ashrrev_i32_e32 v39, 31, v38
	v_ashrrev_i32_e32 v41, 31, v40
	v_lshl_add_u64 v[36:37], v[38:39], 3, s[0:1]
	v_lshl_add_u64 v[38:39], v[40:41], 3, s[0:1]
	global_load_dwordx2 v[42:43], v[36:37], off
	global_load_dwordx2 v[44:45], v[38:39], off
	s_waitcnt vmcnt(0)
	scratch_store_dwordx4 off, v[42:45], off offset:128
	s_nop 1
	v_add_u32_e32 v42, s9, v40
	v_add_u32_e32 v44, s9, v42
	v_ashrrev_i32_e32 v43, 31, v42
	v_ashrrev_i32_e32 v45, 31, v44
	v_lshl_add_u64 v[40:41], v[42:43], 3, s[0:1]
	v_lshl_add_u64 v[42:43], v[44:45], 3, s[0:1]
	global_load_dwordx2 v[46:47], v[40:41], off
	global_load_dwordx2 v[48:49], v[42:43], off
	s_waitcnt vmcnt(0)
	scratch_store_dwordx4 off, v[46:49], off offset:144
	s_nop 1
	v_add_u32_e32 v46, s9, v44
	v_add_u32_e32 v48, s9, v46
	v_ashrrev_i32_e32 v47, 31, v46
	v_ashrrev_i32_e32 v49, 31, v48
	v_lshl_add_u64 v[44:45], v[46:47], 3, s[0:1]
	v_lshl_add_u64 v[46:47], v[48:49], 3, s[0:1]
	global_load_dwordx2 v[50:51], v[44:45], off
	global_load_dwordx2 v[52:53], v[46:47], off
	s_waitcnt vmcnt(0)
	scratch_store_dwordx4 off, v[50:53], off offset:160
	s_nop 1
	v_add_u32_e32 v50, s9, v48
	v_add_u32_e32 v52, s9, v50
	v_ashrrev_i32_e32 v51, 31, v50
	v_ashrrev_i32_e32 v53, 31, v52
	v_lshl_add_u64 v[48:49], v[50:51], 3, s[0:1]
	v_lshl_add_u64 v[50:51], v[52:53], 3, s[0:1]
	global_load_dwordx2 v[54:55], v[48:49], off
	global_load_dwordx2 v[56:57], v[50:51], off
	s_waitcnt vmcnt(0)
	scratch_store_dwordx4 off, v[54:57], off offset:176
	s_nop 1
	v_add_u32_e32 v54, s9, v52
	v_add_u32_e32 v56, s9, v54
	v_ashrrev_i32_e32 v55, 31, v54
	v_ashrrev_i32_e32 v57, 31, v56
	v_lshl_add_u64 v[52:53], v[54:55], 3, s[0:1]
	v_lshl_add_u64 v[54:55], v[56:57], 3, s[0:1]
	global_load_dwordx2 v[58:59], v[52:53], off
	global_load_dwordx2 v[60:61], v[54:55], off
	s_waitcnt vmcnt(0)
	scratch_store_dwordx4 off, v[58:61], off offset:192
	s_nop 1
	v_add_u32_e32 v58, s9, v56
	v_add_u32_e32 v60, s9, v58
	v_ashrrev_i32_e32 v59, 31, v58
	v_ashrrev_i32_e32 v61, 31, v60
	v_lshl_add_u64 v[56:57], v[58:59], 3, s[0:1]
	v_lshl_add_u64 v[58:59], v[60:61], 3, s[0:1]
	global_load_dwordx2 v[62:63], v[56:57], off
	global_load_dwordx2 v[64:65], v[58:59], off
	s_waitcnt vmcnt(0)
	scratch_store_dwordx4 off, v[62:65], off offset:208
	s_nop 1
	v_add_u32_e32 v62, s9, v60
	v_add_u32_e32 v64, s9, v62
	v_ashrrev_i32_e32 v63, 31, v62
	v_ashrrev_i32_e32 v65, 31, v64
	v_lshl_add_u64 v[60:61], v[62:63], 3, s[0:1]
	v_lshl_add_u64 v[62:63], v[64:65], 3, s[0:1]
	global_load_dwordx2 v[66:67], v[60:61], off
	global_load_dwordx2 v[68:69], v[62:63], off
	s_waitcnt vmcnt(0)
	scratch_store_dwordx4 off, v[66:69], off offset:224
	s_nop 1
	v_add_u32_e32 v66, s9, v64
	v_add_u32_e32 v68, s9, v66
	v_ashrrev_i32_e32 v67, 31, v66
	v_ashrrev_i32_e32 v69, 31, v68
	v_lshl_add_u64 v[64:65], v[66:67], 3, s[0:1]
	v_lshl_add_u64 v[66:67], v[68:69], 3, s[0:1]
	global_load_dwordx2 v[70:71], v[64:65], off
	global_load_dwordx2 v[72:73], v[66:67], off
	s_waitcnt vmcnt(0)
	scratch_store_dwordx4 off, v[70:73], off offset:240
	s_nop 1
	v_add_u32_e32 v70, s9, v68
	v_add_u32_e32 v72, s9, v70
	v_ashrrev_i32_e32 v71, 31, v70
	v_ashrrev_i32_e32 v73, 31, v72
	v_lshl_add_u64 v[68:69], v[70:71], 3, s[0:1]
	v_lshl_add_u64 v[70:71], v[72:73], 3, s[0:1]
	global_load_dwordx2 v[74:75], v[68:69], off
	global_load_dwordx2 v[76:77], v[70:71], off
	s_waitcnt vmcnt(0)
	scratch_store_dwordx4 off, v[74:77], off offset:256
	s_nop 1
	v_add_u32_e32 v74, s9, v72
	v_add_u32_e32 v76, s9, v74
	v_ashrrev_i32_e32 v75, 31, v74
	v_ashrrev_i32_e32 v77, 31, v76
	v_lshl_add_u64 v[72:73], v[74:75], 3, s[0:1]
	v_lshl_add_u64 v[74:75], v[76:77], 3, s[0:1]
	global_load_dwordx2 v[78:79], v[72:73], off
	global_load_dwordx2 v[80:81], v[74:75], off
	s_waitcnt vmcnt(0)
	scratch_store_dwordx4 off, v[78:81], off offset:272
	s_nop 1
	v_add_u32_e32 v78, s9, v76
	v_add_u32_e32 v80, s9, v78
	v_ashrrev_i32_e32 v79, 31, v78
	v_ashrrev_i32_e32 v81, 31, v80
	v_lshl_add_u64 v[76:77], v[78:79], 3, s[0:1]
	v_lshl_add_u64 v[78:79], v[80:81], 3, s[0:1]
	global_load_dwordx2 v[82:83], v[76:77], off
	global_load_dwordx2 v[84:85], v[78:79], off
	v_add_u32_e32 v80, s9, v80
	v_ashrrev_i32_e32 v81, 31, v80
	s_waitcnt vmcnt(0)
	scratch_store_dwordx4 off, v[82:85], off offset:288
	s_nop 1
	v_lshl_add_u64 v[82:83], v[80:81], 3, s[0:1]
	v_add_u32_e32 v80, s9, v80
	v_ashrrev_i32_e32 v81, 31, v80
	v_lshl_add_u64 v[84:85], v[80:81], 3, s[0:1]
	global_load_dwordx2 v[86:87], v[82:83], off
	global_load_dwordx2 v[88:89], v[84:85], off
	v_add_u32_e32 v80, s9, v80
	v_ashrrev_i32_e32 v81, 31, v80
	v_lshl_add_u64 v[80:81], v[80:81], 3, s[0:1]
	s_waitcnt vmcnt(0)
	scratch_store_dwordx4 off, v[86:89], off offset:304
	global_load_dwordx2 v[86:87], v[80:81], off
	s_waitcnt vmcnt(0)
	scratch_store_dwordx2 off, v[86:87], off offset:320
	v_mov_b64_e32 v[86:87], -1.0
	s_cbranch_scc1 .LBB40_3
; %bb.2:
	scratch_load_dwordx2 v[86:87], v10, off
	s_waitcnt vmcnt(0)
	v_div_scale_f64 v[88:89], s[0:1], v[86:87], v[86:87], 1.0
	v_rcp_f64_e32 v[90:91], v[88:89]
	v_div_scale_f64 v[92:93], vcc, 1.0, v[86:87], 1.0
	v_fma_f64 v[94:95], -v[88:89], v[90:91], 1.0
	v_fmac_f64_e32 v[90:91], v[90:91], v[94:95]
	v_fma_f64 v[94:95], -v[88:89], v[90:91], 1.0
	v_fmac_f64_e32 v[90:91], v[90:91], v[94:95]
	v_mul_f64 v[94:95], v[92:93], v[90:91]
	v_fma_f64 v[88:89], -v[88:89], v[94:95], v[92:93]
	v_div_fmas_f64 v[88:89], v[88:89], v[90:91], v[94:95]
	v_div_fixup_f64 v[86:87], v[88:89], v[86:87], 1.0
	scratch_store_dwordx2 v10, v[86:87], off
	v_xor_b32_e32 v87, 0x80000000, v87
.LBB40_3:
	s_cmpk_eq_i32 s4, 0x79
	v_add_u32_e32 v1, 0x150, v10
	v_mov_b32_e32 v11, v10
	s_mov_b64 s[0:1], -1
	ds_write_b64 v10, v[86:87]
	s_cbranch_scc1 .LBB40_397
; %bb.4:
	scratch_load_dwordx2 v[86:87], off, off offset:312
	s_movk_i32 s8, 0x50
	s_movk_i32 s9, 0x60
	;; [unrolled: 1-line block ×15, first 2 shown]
	v_cmp_eq_u32_e64 s[0:1], 40, v0
	s_waitcnt vmcnt(0)
	ds_write_b64 v1, v[86:87]
	s_waitcnt lgkmcnt(0)
	; wave barrier
	s_and_saveexec_b64 s[2:3], s[0:1]
	s_cbranch_execz .LBB40_10
; %bb.5:
	s_and_b64 vcc, exec, s[6:7]
	s_cbranch_vccz .LBB40_7
; %bb.6:
	scratch_load_dwordx2 v[86:87], v11, off
	ds_read_b64 v[88:89], v1
	s_waitcnt vmcnt(0) lgkmcnt(0)
	v_mul_f64 v[86:87], v[86:87], v[88:89]
	s_cbranch_execz .LBB40_8
	s_branch .LBB40_9
.LBB40_7:
                                        ; implicit-def: $vgpr86_vgpr87
.LBB40_8:
	ds_read_b64 v[86:87], v1
.LBB40_9:
	v_mov_b32_e32 v88, 0
	ds_read_b64 v[88:89], v88 offset:312
	s_waitcnt lgkmcnt(0)
	v_mul_f64 v[86:87], v[86:87], v[88:89]
	scratch_store_dwordx2 off, v[86:87], off offset:312
.LBB40_10:
	s_or_b64 exec, exec, s[2:3]
	scratch_load_dwordx2 v[86:87], off, off offset:304
	s_mov_b32 s10, 16
	s_mov_b32 s11, 32
	;; [unrolled: 1-line block ×6, first 2 shown]
	v_cmp_lt_u32_e64 s[4:5], 38, v0
	s_waitcnt vmcnt(0)
	ds_write_b64 v1, v[86:87]
	s_waitcnt lgkmcnt(0)
	; wave barrier
	s_and_saveexec_b64 s[2:3], s[4:5]
	s_cbranch_execz .LBB40_16
; %bb.11:
	s_andn2_b64 vcc, exec, s[6:7]
	s_cbranch_vccnz .LBB40_13
; %bb.12:
	scratch_load_dwordx2 v[86:87], v11, off
	ds_read_b64 v[88:89], v1
	s_waitcnt vmcnt(0) lgkmcnt(0)
	v_mul_f64 v[86:87], v[86:87], v[88:89]
	s_cbranch_execz .LBB40_14
	s_branch .LBB40_15
.LBB40_13:
                                        ; implicit-def: $vgpr86_vgpr87
.LBB40_14:
	ds_read_b64 v[86:87], v1
.LBB40_15:
	scratch_load_dwordx2 v[92:93], off, off offset:312
	v_mov_b32_e32 v88, 0
	ds_read2_b64 v[88:91], v88 offset0:38 offset1:81
	s_waitcnt vmcnt(0) lgkmcnt(0)
	v_fma_f64 v[90:91], v[92:93], v[90:91], v[86:87]
	v_cndmask_b32_e64 v87, v87, v91, s[0:1]
	v_cndmask_b32_e64 v86, v86, v90, s[0:1]
	v_mul_f64 v[86:87], v[86:87], v[88:89]
	scratch_store_dwordx2 off, v[86:87], off offset:304
.LBB40_16:
	s_or_b64 exec, exec, s[2:3]
	scratch_load_dwordx2 v[86:87], off, off offset:296
	v_cmp_lt_u32_e64 s[2:3], 37, v0
	s_waitcnt vmcnt(0)
	ds_write_b64 v1, v[86:87]
	s_waitcnt lgkmcnt(0)
	; wave barrier
	s_and_saveexec_b64 s[0:1], s[2:3]
	s_cbranch_execz .LBB40_26
; %bb.17:
	s_andn2_b64 vcc, exec, s[6:7]
	s_cbranch_vccnz .LBB40_19
; %bb.18:
	scratch_load_dwordx2 v[86:87], v11, off
	ds_read_b64 v[88:89], v1
	s_waitcnt vmcnt(0) lgkmcnt(0)
	v_mul_f64 v[86:87], v[86:87], v[88:89]
	s_cbranch_execz .LBB40_20
	s_branch .LBB40_21
.LBB40_19:
                                        ; implicit-def: $vgpr86_vgpr87
.LBB40_20:
	ds_read_b64 v[86:87], v1
.LBB40_21:
	s_and_saveexec_b64 s[8:9], s[4:5]
	s_cbranch_execz .LBB40_25
; %bb.22:
	v_subrev_u32_e32 v88, 38, v0
	s_movk_i32 s29, 0x280
	s_mov_b64 s[4:5], 0
.LBB40_23:                              ; =>This Inner Loop Header: Depth=1
	scratch_load_dwordx2 v[90:91], off, s28
	v_mov_b32_e32 v89, s29
	ds_read_b64 v[92:93], v89
	v_add_u32_e32 v88, -1, v88
	s_add_i32 s29, s29, 8
	s_add_i32 s28, s28, 8
	v_cmp_eq_u32_e32 vcc, 0, v88
	s_or_b64 s[4:5], vcc, s[4:5]
	s_waitcnt vmcnt(0) lgkmcnt(0)
	v_fmac_f64_e32 v[86:87], v[90:91], v[92:93]
	s_andn2_b64 exec, exec, s[4:5]
	s_cbranch_execnz .LBB40_23
; %bb.24:
	s_or_b64 exec, exec, s[4:5]
.LBB40_25:
	s_or_b64 exec, exec, s[8:9]
	v_mov_b32_e32 v88, 0
	ds_read_b64 v[88:89], v88 offset:296
	s_waitcnt lgkmcnt(0)
	v_mul_f64 v[86:87], v[86:87], v[88:89]
	scratch_store_dwordx2 off, v[86:87], off offset:296
.LBB40_26:
	s_or_b64 exec, exec, s[0:1]
	scratch_load_dwordx2 v[86:87], off, off offset:288
	v_cmp_lt_u32_e64 s[0:1], 36, v0
	s_waitcnt vmcnt(0)
	ds_write_b64 v1, v[86:87]
	s_waitcnt lgkmcnt(0)
	; wave barrier
	s_and_saveexec_b64 s[4:5], s[0:1]
	s_cbranch_execz .LBB40_36
; %bb.27:
	s_andn2_b64 vcc, exec, s[6:7]
	s_cbranch_vccnz .LBB40_29
; %bb.28:
	scratch_load_dwordx2 v[86:87], v11, off
	ds_read_b64 v[88:89], v1
	s_waitcnt vmcnt(0) lgkmcnt(0)
	v_mul_f64 v[86:87], v[86:87], v[88:89]
	s_cbranch_execz .LBB40_30
	s_branch .LBB40_31
.LBB40_29:
                                        ; implicit-def: $vgpr86_vgpr87
.LBB40_30:
	ds_read_b64 v[86:87], v1
.LBB40_31:
	s_and_saveexec_b64 s[8:9], s[2:3]
	s_cbranch_execz .LBB40_35
; %bb.32:
	s_movk_i32 s28, 0x128
	v_subrev_u32_e32 v88, 37, v0
	s_movk_i32 s29, 0x278
	s_mov_b64 s[2:3], 0
.LBB40_33:                              ; =>This Inner Loop Header: Depth=1
	scratch_load_dwordx2 v[90:91], off, s28
	v_mov_b32_e32 v89, s29
	ds_read_b64 v[92:93], v89
	v_add_u32_e32 v88, -1, v88
	s_add_i32 s29, s29, 8
	s_add_i32 s28, s28, 8
	v_cmp_eq_u32_e32 vcc, 0, v88
	s_or_b64 s[2:3], vcc, s[2:3]
	s_waitcnt vmcnt(0) lgkmcnt(0)
	v_fmac_f64_e32 v[86:87], v[90:91], v[92:93]
	s_andn2_b64 exec, exec, s[2:3]
	s_cbranch_execnz .LBB40_33
; %bb.34:
	s_or_b64 exec, exec, s[2:3]
.LBB40_35:
	s_or_b64 exec, exec, s[8:9]
	v_mov_b32_e32 v88, 0
	ds_read_b64 v[88:89], v88 offset:288
	s_waitcnt lgkmcnt(0)
	v_mul_f64 v[86:87], v[86:87], v[88:89]
	scratch_store_dwordx2 off, v[86:87], off offset:288
.LBB40_36:
	s_or_b64 exec, exec, s[4:5]
	scratch_load_dwordx2 v[86:87], off, off offset:280
	v_cmp_lt_u32_e64 s[2:3], 35, v0
	s_waitcnt vmcnt(0)
	ds_write_b64 v1, v[86:87]
	s_waitcnt lgkmcnt(0)
	; wave barrier
	s_and_saveexec_b64 s[4:5], s[2:3]
	s_cbranch_execz .LBB40_46
; %bb.37:
	s_andn2_b64 vcc, exec, s[6:7]
	s_cbranch_vccnz .LBB40_39
; %bb.38:
	scratch_load_dwordx2 v[86:87], v11, off
	ds_read_b64 v[88:89], v1
	s_waitcnt vmcnt(0) lgkmcnt(0)
	v_mul_f64 v[86:87], v[86:87], v[88:89]
	s_cbranch_execz .LBB40_40
	s_branch .LBB40_41
.LBB40_39:
                                        ; implicit-def: $vgpr86_vgpr87
.LBB40_40:
	ds_read_b64 v[86:87], v1
.LBB40_41:
	s_and_saveexec_b64 s[8:9], s[0:1]
	s_cbranch_execz .LBB40_45
; %bb.42:
	v_subrev_u32_e32 v88, 36, v0
	s_movk_i32 s28, 0x270
	s_mov_b64 s[0:1], 0
.LBB40_43:                              ; =>This Inner Loop Header: Depth=1
	scratch_load_dwordx2 v[90:91], off, s27
	v_mov_b32_e32 v89, s28
	ds_read_b64 v[92:93], v89
	v_add_u32_e32 v88, -1, v88
	s_add_i32 s28, s28, 8
	s_add_i32 s27, s27, 8
	v_cmp_eq_u32_e32 vcc, 0, v88
	s_or_b64 s[0:1], vcc, s[0:1]
	s_waitcnt vmcnt(0) lgkmcnt(0)
	v_fmac_f64_e32 v[86:87], v[90:91], v[92:93]
	s_andn2_b64 exec, exec, s[0:1]
	s_cbranch_execnz .LBB40_43
; %bb.44:
	s_or_b64 exec, exec, s[0:1]
.LBB40_45:
	s_or_b64 exec, exec, s[8:9]
	v_mov_b32_e32 v88, 0
	ds_read_b64 v[88:89], v88 offset:280
	s_waitcnt lgkmcnt(0)
	v_mul_f64 v[86:87], v[86:87], v[88:89]
	scratch_store_dwordx2 off, v[86:87], off offset:280
.LBB40_46:
	s_or_b64 exec, exec, s[4:5]
	scratch_load_dwordx2 v[86:87], off, off offset:272
	v_cmp_lt_u32_e64 s[0:1], 34, v0
	s_waitcnt vmcnt(0)
	ds_write_b64 v1, v[86:87]
	s_waitcnt lgkmcnt(0)
	; wave barrier
	s_and_saveexec_b64 s[4:5], s[0:1]
	s_cbranch_execz .LBB40_56
; %bb.47:
	s_andn2_b64 vcc, exec, s[6:7]
	s_cbranch_vccnz .LBB40_49
; %bb.48:
	scratch_load_dwordx2 v[86:87], v11, off
	ds_read_b64 v[88:89], v1
	s_waitcnt vmcnt(0) lgkmcnt(0)
	v_mul_f64 v[86:87], v[86:87], v[88:89]
	s_cbranch_execz .LBB40_50
	s_branch .LBB40_51
.LBB40_49:
                                        ; implicit-def: $vgpr86_vgpr87
.LBB40_50:
	ds_read_b64 v[86:87], v1
.LBB40_51:
	s_and_saveexec_b64 s[8:9], s[2:3]
	s_cbranch_execz .LBB40_55
; %bb.52:
	s_movk_i32 s27, 0x118
	v_subrev_u32_e32 v88, 35, v0
	s_movk_i32 s28, 0x268
	s_mov_b64 s[2:3], 0
.LBB40_53:                              ; =>This Inner Loop Header: Depth=1
	scratch_load_dwordx2 v[90:91], off, s27
	v_mov_b32_e32 v89, s28
	ds_read_b64 v[92:93], v89
	v_add_u32_e32 v88, -1, v88
	s_add_i32 s28, s28, 8
	s_add_i32 s27, s27, 8
	v_cmp_eq_u32_e32 vcc, 0, v88
	s_or_b64 s[2:3], vcc, s[2:3]
	s_waitcnt vmcnt(0) lgkmcnt(0)
	v_fmac_f64_e32 v[86:87], v[90:91], v[92:93]
	s_andn2_b64 exec, exec, s[2:3]
	s_cbranch_execnz .LBB40_53
; %bb.54:
	s_or_b64 exec, exec, s[2:3]
.LBB40_55:
	s_or_b64 exec, exec, s[8:9]
	v_mov_b32_e32 v88, 0
	ds_read_b64 v[88:89], v88 offset:272
	s_waitcnt lgkmcnt(0)
	v_mul_f64 v[86:87], v[86:87], v[88:89]
	scratch_store_dwordx2 off, v[86:87], off offset:272
.LBB40_56:
	s_or_b64 exec, exec, s[4:5]
	scratch_load_dwordx2 v[86:87], off, off offset:264
	v_cmp_lt_u32_e64 s[2:3], 33, v0
	s_waitcnt vmcnt(0)
	ds_write_b64 v1, v[86:87]
	s_waitcnt lgkmcnt(0)
	; wave barrier
	s_and_saveexec_b64 s[4:5], s[2:3]
	s_cbranch_execz .LBB40_66
; %bb.57:
	s_andn2_b64 vcc, exec, s[6:7]
	s_cbranch_vccnz .LBB40_59
; %bb.58:
	scratch_load_dwordx2 v[86:87], v11, off
	ds_read_b64 v[88:89], v1
	s_waitcnt vmcnt(0) lgkmcnt(0)
	v_mul_f64 v[86:87], v[86:87], v[88:89]
	s_cbranch_execz .LBB40_60
	s_branch .LBB40_61
.LBB40_59:
                                        ; implicit-def: $vgpr86_vgpr87
.LBB40_60:
	ds_read_b64 v[86:87], v1
.LBB40_61:
	s_and_saveexec_b64 s[8:9], s[0:1]
	s_cbranch_execz .LBB40_65
; %bb.62:
	v_subrev_u32_e32 v88, 34, v0
	s_movk_i32 s27, 0x260
	s_mov_b64 s[0:1], 0
.LBB40_63:                              ; =>This Inner Loop Header: Depth=1
	scratch_load_dwordx2 v[90:91], off, s26
	v_mov_b32_e32 v89, s27
	ds_read_b64 v[92:93], v89
	v_add_u32_e32 v88, -1, v88
	s_add_i32 s27, s27, 8
	s_add_i32 s26, s26, 8
	v_cmp_eq_u32_e32 vcc, 0, v88
	s_or_b64 s[0:1], vcc, s[0:1]
	s_waitcnt vmcnt(0) lgkmcnt(0)
	v_fmac_f64_e32 v[86:87], v[90:91], v[92:93]
	s_andn2_b64 exec, exec, s[0:1]
	s_cbranch_execnz .LBB40_63
; %bb.64:
	s_or_b64 exec, exec, s[0:1]
.LBB40_65:
	s_or_b64 exec, exec, s[8:9]
	v_mov_b32_e32 v88, 0
	ds_read_b64 v[88:89], v88 offset:264
	s_waitcnt lgkmcnt(0)
	v_mul_f64 v[86:87], v[86:87], v[88:89]
	scratch_store_dwordx2 off, v[86:87], off offset:264
.LBB40_66:
	s_or_b64 exec, exec, s[4:5]
	scratch_load_dwordx2 v[86:87], off, off offset:256
	v_cmp_lt_u32_e64 s[0:1], 32, v0
	s_waitcnt vmcnt(0)
	ds_write_b64 v1, v[86:87]
	s_waitcnt lgkmcnt(0)
	; wave barrier
	s_and_saveexec_b64 s[4:5], s[0:1]
	s_cbranch_execz .LBB40_76
; %bb.67:
	s_andn2_b64 vcc, exec, s[6:7]
	s_cbranch_vccnz .LBB40_69
; %bb.68:
	scratch_load_dwordx2 v[86:87], v11, off
	ds_read_b64 v[88:89], v1
	s_waitcnt vmcnt(0) lgkmcnt(0)
	v_mul_f64 v[86:87], v[86:87], v[88:89]
	s_cbranch_execz .LBB40_70
	s_branch .LBB40_71
.LBB40_69:
                                        ; implicit-def: $vgpr86_vgpr87
.LBB40_70:
	ds_read_b64 v[86:87], v1
.LBB40_71:
	s_and_saveexec_b64 s[8:9], s[2:3]
	s_cbranch_execz .LBB40_75
; %bb.72:
	s_movk_i32 s26, 0x108
	v_subrev_u32_e32 v88, 33, v0
	s_movk_i32 s27, 0x258
	s_mov_b64 s[2:3], 0
.LBB40_73:                              ; =>This Inner Loop Header: Depth=1
	scratch_load_dwordx2 v[90:91], off, s26
	v_mov_b32_e32 v89, s27
	ds_read_b64 v[92:93], v89
	v_add_u32_e32 v88, -1, v88
	s_add_i32 s27, s27, 8
	s_add_i32 s26, s26, 8
	v_cmp_eq_u32_e32 vcc, 0, v88
	s_or_b64 s[2:3], vcc, s[2:3]
	s_waitcnt vmcnt(0) lgkmcnt(0)
	v_fmac_f64_e32 v[86:87], v[90:91], v[92:93]
	s_andn2_b64 exec, exec, s[2:3]
	s_cbranch_execnz .LBB40_73
; %bb.74:
	s_or_b64 exec, exec, s[2:3]
.LBB40_75:
	s_or_b64 exec, exec, s[8:9]
	v_mov_b32_e32 v88, 0
	ds_read_b64 v[88:89], v88 offset:256
	s_waitcnt lgkmcnt(0)
	v_mul_f64 v[86:87], v[86:87], v[88:89]
	scratch_store_dwordx2 off, v[86:87], off offset:256
.LBB40_76:
	s_or_b64 exec, exec, s[4:5]
	scratch_load_dwordx2 v[86:87], off, off offset:248
	v_cmp_lt_u32_e64 s[2:3], 31, v0
	s_waitcnt vmcnt(0)
	ds_write_b64 v1, v[86:87]
	s_waitcnt lgkmcnt(0)
	; wave barrier
	s_and_saveexec_b64 s[4:5], s[2:3]
	s_cbranch_execz .LBB40_86
; %bb.77:
	s_andn2_b64 vcc, exec, s[6:7]
	s_cbranch_vccnz .LBB40_79
; %bb.78:
	scratch_load_dwordx2 v[86:87], v11, off
	ds_read_b64 v[88:89], v1
	s_waitcnt vmcnt(0) lgkmcnt(0)
	v_mul_f64 v[86:87], v[86:87], v[88:89]
	s_cbranch_execz .LBB40_80
	s_branch .LBB40_81
.LBB40_79:
                                        ; implicit-def: $vgpr86_vgpr87
.LBB40_80:
	ds_read_b64 v[86:87], v1
.LBB40_81:
	s_and_saveexec_b64 s[8:9], s[0:1]
	s_cbranch_execz .LBB40_85
; %bb.82:
	v_subrev_u32_e32 v88, 32, v0
	s_movk_i32 s26, 0x250
	s_mov_b64 s[0:1], 0
.LBB40_83:                              ; =>This Inner Loop Header: Depth=1
	scratch_load_dwordx2 v[90:91], off, s25
	v_mov_b32_e32 v89, s26
	ds_read_b64 v[92:93], v89
	v_add_u32_e32 v88, -1, v88
	s_add_i32 s26, s26, 8
	s_add_i32 s25, s25, 8
	v_cmp_eq_u32_e32 vcc, 0, v88
	s_or_b64 s[0:1], vcc, s[0:1]
	s_waitcnt vmcnt(0) lgkmcnt(0)
	v_fmac_f64_e32 v[86:87], v[90:91], v[92:93]
	s_andn2_b64 exec, exec, s[0:1]
	s_cbranch_execnz .LBB40_83
; %bb.84:
	s_or_b64 exec, exec, s[0:1]
.LBB40_85:
	s_or_b64 exec, exec, s[8:9]
	v_mov_b32_e32 v88, 0
	ds_read_b64 v[88:89], v88 offset:248
	s_waitcnt lgkmcnt(0)
	v_mul_f64 v[86:87], v[86:87], v[88:89]
	scratch_store_dwordx2 off, v[86:87], off offset:248
.LBB40_86:
	s_or_b64 exec, exec, s[4:5]
	scratch_load_dwordx2 v[86:87], off, off offset:240
	v_cmp_lt_u32_e64 s[0:1], 30, v0
	s_waitcnt vmcnt(0)
	ds_write_b64 v1, v[86:87]
	s_waitcnt lgkmcnt(0)
	; wave barrier
	s_and_saveexec_b64 s[4:5], s[0:1]
	s_cbranch_execz .LBB40_96
; %bb.87:
	s_andn2_b64 vcc, exec, s[6:7]
	s_cbranch_vccnz .LBB40_89
; %bb.88:
	scratch_load_dwordx2 v[86:87], v11, off
	ds_read_b64 v[88:89], v1
	s_waitcnt vmcnt(0) lgkmcnt(0)
	v_mul_f64 v[86:87], v[86:87], v[88:89]
	s_cbranch_execz .LBB40_90
	s_branch .LBB40_91
.LBB40_89:
                                        ; implicit-def: $vgpr86_vgpr87
.LBB40_90:
	ds_read_b64 v[86:87], v1
.LBB40_91:
	s_and_saveexec_b64 s[8:9], s[2:3]
	s_cbranch_execz .LBB40_95
; %bb.92:
	s_movk_i32 s25, 0xf8
	v_subrev_u32_e32 v88, 31, v0
	s_movk_i32 s26, 0x248
	s_mov_b64 s[2:3], 0
.LBB40_93:                              ; =>This Inner Loop Header: Depth=1
	scratch_load_dwordx2 v[90:91], off, s25
	v_mov_b32_e32 v89, s26
	ds_read_b64 v[92:93], v89
	v_add_u32_e32 v88, -1, v88
	s_add_i32 s26, s26, 8
	s_add_i32 s25, s25, 8
	v_cmp_eq_u32_e32 vcc, 0, v88
	s_or_b64 s[2:3], vcc, s[2:3]
	s_waitcnt vmcnt(0) lgkmcnt(0)
	v_fmac_f64_e32 v[86:87], v[90:91], v[92:93]
	s_andn2_b64 exec, exec, s[2:3]
	s_cbranch_execnz .LBB40_93
; %bb.94:
	s_or_b64 exec, exec, s[2:3]
.LBB40_95:
	s_or_b64 exec, exec, s[8:9]
	v_mov_b32_e32 v88, 0
	ds_read_b64 v[88:89], v88 offset:240
	s_waitcnt lgkmcnt(0)
	v_mul_f64 v[86:87], v[86:87], v[88:89]
	scratch_store_dwordx2 off, v[86:87], off offset:240
.LBB40_96:
	s_or_b64 exec, exec, s[4:5]
	scratch_load_dwordx2 v[86:87], off, off offset:232
	v_cmp_lt_u32_e64 s[2:3], 29, v0
	s_waitcnt vmcnt(0)
	ds_write_b64 v1, v[86:87]
	s_waitcnt lgkmcnt(0)
	; wave barrier
	s_and_saveexec_b64 s[4:5], s[2:3]
	s_cbranch_execz .LBB40_106
; %bb.97:
	s_andn2_b64 vcc, exec, s[6:7]
	s_cbranch_vccnz .LBB40_99
; %bb.98:
	scratch_load_dwordx2 v[86:87], v11, off
	ds_read_b64 v[88:89], v1
	s_waitcnt vmcnt(0) lgkmcnt(0)
	v_mul_f64 v[86:87], v[86:87], v[88:89]
	s_cbranch_execz .LBB40_100
	s_branch .LBB40_101
.LBB40_99:
                                        ; implicit-def: $vgpr86_vgpr87
.LBB40_100:
	ds_read_b64 v[86:87], v1
.LBB40_101:
	s_and_saveexec_b64 s[8:9], s[0:1]
	s_cbranch_execz .LBB40_105
; %bb.102:
	v_subrev_u32_e32 v88, 30, v0
	s_movk_i32 s25, 0x240
	s_mov_b64 s[0:1], 0
.LBB40_103:                             ; =>This Inner Loop Header: Depth=1
	scratch_load_dwordx2 v[90:91], off, s24
	v_mov_b32_e32 v89, s25
	ds_read_b64 v[92:93], v89
	v_add_u32_e32 v88, -1, v88
	s_add_i32 s25, s25, 8
	s_add_i32 s24, s24, 8
	v_cmp_eq_u32_e32 vcc, 0, v88
	s_or_b64 s[0:1], vcc, s[0:1]
	s_waitcnt vmcnt(0) lgkmcnt(0)
	v_fmac_f64_e32 v[86:87], v[90:91], v[92:93]
	s_andn2_b64 exec, exec, s[0:1]
	s_cbranch_execnz .LBB40_103
; %bb.104:
	s_or_b64 exec, exec, s[0:1]
.LBB40_105:
	s_or_b64 exec, exec, s[8:9]
	v_mov_b32_e32 v88, 0
	ds_read_b64 v[88:89], v88 offset:232
	s_waitcnt lgkmcnt(0)
	v_mul_f64 v[86:87], v[86:87], v[88:89]
	scratch_store_dwordx2 off, v[86:87], off offset:232
.LBB40_106:
	s_or_b64 exec, exec, s[4:5]
	scratch_load_dwordx2 v[86:87], off, off offset:224
	v_cmp_lt_u32_e64 s[0:1], 28, v0
	s_waitcnt vmcnt(0)
	ds_write_b64 v1, v[86:87]
	s_waitcnt lgkmcnt(0)
	; wave barrier
	s_and_saveexec_b64 s[4:5], s[0:1]
	s_cbranch_execz .LBB40_116
; %bb.107:
	s_andn2_b64 vcc, exec, s[6:7]
	s_cbranch_vccnz .LBB40_109
; %bb.108:
	scratch_load_dwordx2 v[86:87], v11, off
	ds_read_b64 v[88:89], v1
	s_waitcnt vmcnt(0) lgkmcnt(0)
	v_mul_f64 v[86:87], v[86:87], v[88:89]
	s_cbranch_execz .LBB40_110
	s_branch .LBB40_111
.LBB40_109:
                                        ; implicit-def: $vgpr86_vgpr87
.LBB40_110:
	ds_read_b64 v[86:87], v1
.LBB40_111:
	s_and_saveexec_b64 s[8:9], s[2:3]
	s_cbranch_execz .LBB40_115
; %bb.112:
	s_movk_i32 s24, 0xe8
	v_subrev_u32_e32 v88, 29, v0
	s_movk_i32 s25, 0x238
	s_mov_b64 s[2:3], 0
.LBB40_113:                             ; =>This Inner Loop Header: Depth=1
	scratch_load_dwordx2 v[90:91], off, s24
	v_mov_b32_e32 v89, s25
	ds_read_b64 v[92:93], v89
	v_add_u32_e32 v88, -1, v88
	s_add_i32 s25, s25, 8
	s_add_i32 s24, s24, 8
	v_cmp_eq_u32_e32 vcc, 0, v88
	s_or_b64 s[2:3], vcc, s[2:3]
	s_waitcnt vmcnt(0) lgkmcnt(0)
	v_fmac_f64_e32 v[86:87], v[90:91], v[92:93]
	s_andn2_b64 exec, exec, s[2:3]
	s_cbranch_execnz .LBB40_113
; %bb.114:
	s_or_b64 exec, exec, s[2:3]
.LBB40_115:
	s_or_b64 exec, exec, s[8:9]
	v_mov_b32_e32 v88, 0
	ds_read_b64 v[88:89], v88 offset:224
	s_waitcnt lgkmcnt(0)
	v_mul_f64 v[86:87], v[86:87], v[88:89]
	scratch_store_dwordx2 off, v[86:87], off offset:224
.LBB40_116:
	s_or_b64 exec, exec, s[4:5]
	scratch_load_dwordx2 v[86:87], off, off offset:216
	v_cmp_lt_u32_e64 s[2:3], 27, v0
	s_waitcnt vmcnt(0)
	ds_write_b64 v1, v[86:87]
	s_waitcnt lgkmcnt(0)
	; wave barrier
	s_and_saveexec_b64 s[4:5], s[2:3]
	s_cbranch_execz .LBB40_126
; %bb.117:
	s_andn2_b64 vcc, exec, s[6:7]
	s_cbranch_vccnz .LBB40_119
; %bb.118:
	scratch_load_dwordx2 v[86:87], v11, off
	ds_read_b64 v[88:89], v1
	s_waitcnt vmcnt(0) lgkmcnt(0)
	v_mul_f64 v[86:87], v[86:87], v[88:89]
	s_cbranch_execz .LBB40_120
	s_branch .LBB40_121
.LBB40_119:
                                        ; implicit-def: $vgpr86_vgpr87
.LBB40_120:
	ds_read_b64 v[86:87], v1
.LBB40_121:
	s_and_saveexec_b64 s[8:9], s[0:1]
	s_cbranch_execz .LBB40_125
; %bb.122:
	v_subrev_u32_e32 v88, 28, v0
	s_movk_i32 s24, 0x230
	s_mov_b64 s[0:1], 0
.LBB40_123:                             ; =>This Inner Loop Header: Depth=1
	scratch_load_dwordx2 v[90:91], off, s23
	v_mov_b32_e32 v89, s24
	ds_read_b64 v[92:93], v89
	v_add_u32_e32 v88, -1, v88
	s_add_i32 s24, s24, 8
	s_add_i32 s23, s23, 8
	v_cmp_eq_u32_e32 vcc, 0, v88
	s_or_b64 s[0:1], vcc, s[0:1]
	s_waitcnt vmcnt(0) lgkmcnt(0)
	v_fmac_f64_e32 v[86:87], v[90:91], v[92:93]
	s_andn2_b64 exec, exec, s[0:1]
	s_cbranch_execnz .LBB40_123
; %bb.124:
	s_or_b64 exec, exec, s[0:1]
.LBB40_125:
	s_or_b64 exec, exec, s[8:9]
	v_mov_b32_e32 v88, 0
	ds_read_b64 v[88:89], v88 offset:216
	s_waitcnt lgkmcnt(0)
	v_mul_f64 v[86:87], v[86:87], v[88:89]
	scratch_store_dwordx2 off, v[86:87], off offset:216
.LBB40_126:
	s_or_b64 exec, exec, s[4:5]
	scratch_load_dwordx2 v[86:87], off, off offset:208
	v_cmp_lt_u32_e64 s[0:1], 26, v0
	s_waitcnt vmcnt(0)
	ds_write_b64 v1, v[86:87]
	s_waitcnt lgkmcnt(0)
	; wave barrier
	s_and_saveexec_b64 s[4:5], s[0:1]
	s_cbranch_execz .LBB40_136
; %bb.127:
	s_andn2_b64 vcc, exec, s[6:7]
	s_cbranch_vccnz .LBB40_129
; %bb.128:
	scratch_load_dwordx2 v[86:87], v11, off
	ds_read_b64 v[88:89], v1
	s_waitcnt vmcnt(0) lgkmcnt(0)
	v_mul_f64 v[86:87], v[86:87], v[88:89]
	s_cbranch_execz .LBB40_130
	s_branch .LBB40_131
.LBB40_129:
                                        ; implicit-def: $vgpr86_vgpr87
.LBB40_130:
	ds_read_b64 v[86:87], v1
.LBB40_131:
	s_and_saveexec_b64 s[8:9], s[2:3]
	s_cbranch_execz .LBB40_135
; %bb.132:
	s_movk_i32 s23, 0xd8
	v_subrev_u32_e32 v88, 27, v0
	s_movk_i32 s24, 0x228
	s_mov_b64 s[2:3], 0
.LBB40_133:                             ; =>This Inner Loop Header: Depth=1
	scratch_load_dwordx2 v[90:91], off, s23
	v_mov_b32_e32 v89, s24
	ds_read_b64 v[92:93], v89
	v_add_u32_e32 v88, -1, v88
	s_add_i32 s24, s24, 8
	s_add_i32 s23, s23, 8
	v_cmp_eq_u32_e32 vcc, 0, v88
	s_or_b64 s[2:3], vcc, s[2:3]
	s_waitcnt vmcnt(0) lgkmcnt(0)
	v_fmac_f64_e32 v[86:87], v[90:91], v[92:93]
	s_andn2_b64 exec, exec, s[2:3]
	s_cbranch_execnz .LBB40_133
; %bb.134:
	s_or_b64 exec, exec, s[2:3]
.LBB40_135:
	s_or_b64 exec, exec, s[8:9]
	v_mov_b32_e32 v88, 0
	ds_read_b64 v[88:89], v88 offset:208
	s_waitcnt lgkmcnt(0)
	v_mul_f64 v[86:87], v[86:87], v[88:89]
	scratch_store_dwordx2 off, v[86:87], off offset:208
.LBB40_136:
	s_or_b64 exec, exec, s[4:5]
	scratch_load_dwordx2 v[86:87], off, off offset:200
	v_cmp_lt_u32_e64 s[2:3], 25, v0
	s_waitcnt vmcnt(0)
	ds_write_b64 v1, v[86:87]
	s_waitcnt lgkmcnt(0)
	; wave barrier
	s_and_saveexec_b64 s[4:5], s[2:3]
	s_cbranch_execz .LBB40_146
; %bb.137:
	s_andn2_b64 vcc, exec, s[6:7]
	s_cbranch_vccnz .LBB40_139
; %bb.138:
	scratch_load_dwordx2 v[86:87], v11, off
	ds_read_b64 v[88:89], v1
	s_waitcnt vmcnt(0) lgkmcnt(0)
	v_mul_f64 v[86:87], v[86:87], v[88:89]
	s_cbranch_execz .LBB40_140
	s_branch .LBB40_141
.LBB40_139:
                                        ; implicit-def: $vgpr86_vgpr87
.LBB40_140:
	ds_read_b64 v[86:87], v1
.LBB40_141:
	s_and_saveexec_b64 s[8:9], s[0:1]
	s_cbranch_execz .LBB40_145
; %bb.142:
	v_subrev_u32_e32 v88, 26, v0
	s_movk_i32 s23, 0x220
	s_mov_b64 s[0:1], 0
.LBB40_143:                             ; =>This Inner Loop Header: Depth=1
	scratch_load_dwordx2 v[90:91], off, s22
	v_mov_b32_e32 v89, s23
	ds_read_b64 v[92:93], v89
	v_add_u32_e32 v88, -1, v88
	s_add_i32 s23, s23, 8
	s_add_i32 s22, s22, 8
	v_cmp_eq_u32_e32 vcc, 0, v88
	s_or_b64 s[0:1], vcc, s[0:1]
	s_waitcnt vmcnt(0) lgkmcnt(0)
	v_fmac_f64_e32 v[86:87], v[90:91], v[92:93]
	s_andn2_b64 exec, exec, s[0:1]
	s_cbranch_execnz .LBB40_143
; %bb.144:
	s_or_b64 exec, exec, s[0:1]
.LBB40_145:
	s_or_b64 exec, exec, s[8:9]
	v_mov_b32_e32 v88, 0
	ds_read_b64 v[88:89], v88 offset:200
	s_waitcnt lgkmcnt(0)
	v_mul_f64 v[86:87], v[86:87], v[88:89]
	scratch_store_dwordx2 off, v[86:87], off offset:200
.LBB40_146:
	s_or_b64 exec, exec, s[4:5]
	scratch_load_dwordx2 v[86:87], off, off offset:192
	v_cmp_lt_u32_e64 s[0:1], 24, v0
	s_waitcnt vmcnt(0)
	ds_write_b64 v1, v[86:87]
	s_waitcnt lgkmcnt(0)
	; wave barrier
	s_and_saveexec_b64 s[4:5], s[0:1]
	s_cbranch_execz .LBB40_156
; %bb.147:
	s_andn2_b64 vcc, exec, s[6:7]
	s_cbranch_vccnz .LBB40_149
; %bb.148:
	scratch_load_dwordx2 v[86:87], v11, off
	ds_read_b64 v[88:89], v1
	s_waitcnt vmcnt(0) lgkmcnt(0)
	v_mul_f64 v[86:87], v[86:87], v[88:89]
	s_cbranch_execz .LBB40_150
	s_branch .LBB40_151
.LBB40_149:
                                        ; implicit-def: $vgpr86_vgpr87
.LBB40_150:
	ds_read_b64 v[86:87], v1
.LBB40_151:
	s_and_saveexec_b64 s[8:9], s[2:3]
	s_cbranch_execz .LBB40_155
; %bb.152:
	s_movk_i32 s22, 0xc8
	v_subrev_u32_e32 v88, 25, v0
	s_movk_i32 s23, 0x218
	s_mov_b64 s[2:3], 0
.LBB40_153:                             ; =>This Inner Loop Header: Depth=1
	scratch_load_dwordx2 v[90:91], off, s22
	v_mov_b32_e32 v89, s23
	ds_read_b64 v[92:93], v89
	v_add_u32_e32 v88, -1, v88
	s_add_i32 s23, s23, 8
	s_add_i32 s22, s22, 8
	v_cmp_eq_u32_e32 vcc, 0, v88
	s_or_b64 s[2:3], vcc, s[2:3]
	s_waitcnt vmcnt(0) lgkmcnt(0)
	v_fmac_f64_e32 v[86:87], v[90:91], v[92:93]
	s_andn2_b64 exec, exec, s[2:3]
	s_cbranch_execnz .LBB40_153
; %bb.154:
	s_or_b64 exec, exec, s[2:3]
.LBB40_155:
	s_or_b64 exec, exec, s[8:9]
	v_mov_b32_e32 v88, 0
	ds_read_b64 v[88:89], v88 offset:192
	s_waitcnt lgkmcnt(0)
	v_mul_f64 v[86:87], v[86:87], v[88:89]
	scratch_store_dwordx2 off, v[86:87], off offset:192
.LBB40_156:
	s_or_b64 exec, exec, s[4:5]
	scratch_load_dwordx2 v[86:87], off, off offset:184
	v_cmp_lt_u32_e64 s[2:3], 23, v0
	s_waitcnt vmcnt(0)
	ds_write_b64 v1, v[86:87]
	s_waitcnt lgkmcnt(0)
	; wave barrier
	s_and_saveexec_b64 s[4:5], s[2:3]
	s_cbranch_execz .LBB40_166
; %bb.157:
	s_andn2_b64 vcc, exec, s[6:7]
	s_cbranch_vccnz .LBB40_159
; %bb.158:
	scratch_load_dwordx2 v[86:87], v11, off
	ds_read_b64 v[88:89], v1
	s_waitcnt vmcnt(0) lgkmcnt(0)
	v_mul_f64 v[86:87], v[86:87], v[88:89]
	s_cbranch_execz .LBB40_160
	s_branch .LBB40_161
.LBB40_159:
                                        ; implicit-def: $vgpr86_vgpr87
.LBB40_160:
	ds_read_b64 v[86:87], v1
.LBB40_161:
	s_and_saveexec_b64 s[8:9], s[0:1]
	s_cbranch_execz .LBB40_165
; %bb.162:
	v_subrev_u32_e32 v88, 24, v0
	s_movk_i32 s22, 0x210
	s_mov_b64 s[0:1], 0
.LBB40_163:                             ; =>This Inner Loop Header: Depth=1
	scratch_load_dwordx2 v[90:91], off, s21
	v_mov_b32_e32 v89, s22
	ds_read_b64 v[92:93], v89
	v_add_u32_e32 v88, -1, v88
	s_add_i32 s22, s22, 8
	s_add_i32 s21, s21, 8
	v_cmp_eq_u32_e32 vcc, 0, v88
	s_or_b64 s[0:1], vcc, s[0:1]
	s_waitcnt vmcnt(0) lgkmcnt(0)
	v_fmac_f64_e32 v[86:87], v[90:91], v[92:93]
	s_andn2_b64 exec, exec, s[0:1]
	s_cbranch_execnz .LBB40_163
; %bb.164:
	s_or_b64 exec, exec, s[0:1]
.LBB40_165:
	s_or_b64 exec, exec, s[8:9]
	v_mov_b32_e32 v88, 0
	ds_read_b64 v[88:89], v88 offset:184
	s_waitcnt lgkmcnt(0)
	v_mul_f64 v[86:87], v[86:87], v[88:89]
	scratch_store_dwordx2 off, v[86:87], off offset:184
.LBB40_166:
	s_or_b64 exec, exec, s[4:5]
	scratch_load_dwordx2 v[86:87], off, off offset:176
	v_cmp_lt_u32_e64 s[0:1], 22, v0
	s_waitcnt vmcnt(0)
	ds_write_b64 v1, v[86:87]
	s_waitcnt lgkmcnt(0)
	; wave barrier
	s_and_saveexec_b64 s[4:5], s[0:1]
	s_cbranch_execz .LBB40_176
; %bb.167:
	s_andn2_b64 vcc, exec, s[6:7]
	s_cbranch_vccnz .LBB40_169
; %bb.168:
	scratch_load_dwordx2 v[86:87], v11, off
	ds_read_b64 v[88:89], v1
	s_waitcnt vmcnt(0) lgkmcnt(0)
	v_mul_f64 v[86:87], v[86:87], v[88:89]
	s_cbranch_execz .LBB40_170
	s_branch .LBB40_171
.LBB40_169:
                                        ; implicit-def: $vgpr86_vgpr87
.LBB40_170:
	ds_read_b64 v[86:87], v1
.LBB40_171:
	s_and_saveexec_b64 s[8:9], s[2:3]
	s_cbranch_execz .LBB40_175
; %bb.172:
	s_movk_i32 s21, 0xb8
	v_subrev_u32_e32 v88, 23, v0
	s_movk_i32 s22, 0x208
	s_mov_b64 s[2:3], 0
.LBB40_173:                             ; =>This Inner Loop Header: Depth=1
	scratch_load_dwordx2 v[90:91], off, s21
	v_mov_b32_e32 v89, s22
	ds_read_b64 v[92:93], v89
	v_add_u32_e32 v88, -1, v88
	s_add_i32 s22, s22, 8
	s_add_i32 s21, s21, 8
	v_cmp_eq_u32_e32 vcc, 0, v88
	s_or_b64 s[2:3], vcc, s[2:3]
	s_waitcnt vmcnt(0) lgkmcnt(0)
	v_fmac_f64_e32 v[86:87], v[90:91], v[92:93]
	s_andn2_b64 exec, exec, s[2:3]
	s_cbranch_execnz .LBB40_173
; %bb.174:
	s_or_b64 exec, exec, s[2:3]
.LBB40_175:
	s_or_b64 exec, exec, s[8:9]
	v_mov_b32_e32 v88, 0
	ds_read_b64 v[88:89], v88 offset:176
	s_waitcnt lgkmcnt(0)
	v_mul_f64 v[86:87], v[86:87], v[88:89]
	scratch_store_dwordx2 off, v[86:87], off offset:176
.LBB40_176:
	s_or_b64 exec, exec, s[4:5]
	scratch_load_dwordx2 v[86:87], off, off offset:168
	v_cmp_lt_u32_e64 s[2:3], 21, v0
	s_waitcnt vmcnt(0)
	ds_write_b64 v1, v[86:87]
	s_waitcnt lgkmcnt(0)
	; wave barrier
	s_and_saveexec_b64 s[4:5], s[2:3]
	s_cbranch_execz .LBB40_186
; %bb.177:
	s_andn2_b64 vcc, exec, s[6:7]
	s_cbranch_vccnz .LBB40_179
; %bb.178:
	scratch_load_dwordx2 v[86:87], v11, off
	ds_read_b64 v[88:89], v1
	s_waitcnt vmcnt(0) lgkmcnt(0)
	v_mul_f64 v[86:87], v[86:87], v[88:89]
	s_cbranch_execz .LBB40_180
	s_branch .LBB40_181
.LBB40_179:
                                        ; implicit-def: $vgpr86_vgpr87
.LBB40_180:
	ds_read_b64 v[86:87], v1
.LBB40_181:
	s_and_saveexec_b64 s[8:9], s[0:1]
	s_cbranch_execz .LBB40_185
; %bb.182:
	v_subrev_u32_e32 v88, 22, v0
	s_movk_i32 s21, 0x200
	s_mov_b64 s[0:1], 0
.LBB40_183:                             ; =>This Inner Loop Header: Depth=1
	scratch_load_dwordx2 v[90:91], off, s20
	v_mov_b32_e32 v89, s21
	ds_read_b64 v[92:93], v89
	v_add_u32_e32 v88, -1, v88
	s_add_i32 s21, s21, 8
	s_add_i32 s20, s20, 8
	v_cmp_eq_u32_e32 vcc, 0, v88
	s_or_b64 s[0:1], vcc, s[0:1]
	s_waitcnt vmcnt(0) lgkmcnt(0)
	v_fmac_f64_e32 v[86:87], v[90:91], v[92:93]
	s_andn2_b64 exec, exec, s[0:1]
	s_cbranch_execnz .LBB40_183
; %bb.184:
	s_or_b64 exec, exec, s[0:1]
.LBB40_185:
	s_or_b64 exec, exec, s[8:9]
	v_mov_b32_e32 v88, 0
	ds_read_b64 v[88:89], v88 offset:168
	s_waitcnt lgkmcnt(0)
	v_mul_f64 v[86:87], v[86:87], v[88:89]
	scratch_store_dwordx2 off, v[86:87], off offset:168
.LBB40_186:
	s_or_b64 exec, exec, s[4:5]
	scratch_load_dwordx2 v[86:87], off, off offset:160
	v_cmp_lt_u32_e64 s[0:1], 20, v0
	s_waitcnt vmcnt(0)
	ds_write_b64 v1, v[86:87]
	s_waitcnt lgkmcnt(0)
	; wave barrier
	s_and_saveexec_b64 s[4:5], s[0:1]
	s_cbranch_execz .LBB40_196
; %bb.187:
	s_andn2_b64 vcc, exec, s[6:7]
	s_cbranch_vccnz .LBB40_189
; %bb.188:
	scratch_load_dwordx2 v[86:87], v11, off
	ds_read_b64 v[88:89], v1
	s_waitcnt vmcnt(0) lgkmcnt(0)
	v_mul_f64 v[86:87], v[86:87], v[88:89]
	s_cbranch_execz .LBB40_190
	s_branch .LBB40_191
.LBB40_189:
                                        ; implicit-def: $vgpr86_vgpr87
.LBB40_190:
	ds_read_b64 v[86:87], v1
.LBB40_191:
	s_and_saveexec_b64 s[8:9], s[2:3]
	s_cbranch_execz .LBB40_195
; %bb.192:
	s_movk_i32 s20, 0xa8
	v_subrev_u32_e32 v88, 21, v0
	s_movk_i32 s21, 0x1f8
	s_mov_b64 s[2:3], 0
.LBB40_193:                             ; =>This Inner Loop Header: Depth=1
	scratch_load_dwordx2 v[90:91], off, s20
	v_mov_b32_e32 v89, s21
	ds_read_b64 v[92:93], v89
	v_add_u32_e32 v88, -1, v88
	s_add_i32 s21, s21, 8
	s_add_i32 s20, s20, 8
	v_cmp_eq_u32_e32 vcc, 0, v88
	s_or_b64 s[2:3], vcc, s[2:3]
	s_waitcnt vmcnt(0) lgkmcnt(0)
	v_fmac_f64_e32 v[86:87], v[90:91], v[92:93]
	s_andn2_b64 exec, exec, s[2:3]
	s_cbranch_execnz .LBB40_193
; %bb.194:
	s_or_b64 exec, exec, s[2:3]
.LBB40_195:
	s_or_b64 exec, exec, s[8:9]
	v_mov_b32_e32 v88, 0
	ds_read_b64 v[88:89], v88 offset:160
	s_waitcnt lgkmcnt(0)
	v_mul_f64 v[86:87], v[86:87], v[88:89]
	scratch_store_dwordx2 off, v[86:87], off offset:160
.LBB40_196:
	s_or_b64 exec, exec, s[4:5]
	scratch_load_dwordx2 v[86:87], off, off offset:152
	v_cmp_lt_u32_e64 s[2:3], 19, v0
	s_waitcnt vmcnt(0)
	ds_write_b64 v1, v[86:87]
	s_waitcnt lgkmcnt(0)
	; wave barrier
	s_and_saveexec_b64 s[4:5], s[2:3]
	s_cbranch_execz .LBB40_206
; %bb.197:
	s_andn2_b64 vcc, exec, s[6:7]
	s_cbranch_vccnz .LBB40_199
; %bb.198:
	scratch_load_dwordx2 v[86:87], v11, off
	ds_read_b64 v[88:89], v1
	s_waitcnt vmcnt(0) lgkmcnt(0)
	v_mul_f64 v[86:87], v[86:87], v[88:89]
	s_cbranch_execz .LBB40_200
	s_branch .LBB40_201
.LBB40_199:
                                        ; implicit-def: $vgpr86_vgpr87
.LBB40_200:
	ds_read_b64 v[86:87], v1
.LBB40_201:
	s_and_saveexec_b64 s[8:9], s[0:1]
	s_cbranch_execz .LBB40_205
; %bb.202:
	v_subrev_u32_e32 v88, 20, v0
	s_movk_i32 s20, 0x1f0
	s_mov_b64 s[0:1], 0
.LBB40_203:                             ; =>This Inner Loop Header: Depth=1
	scratch_load_dwordx2 v[90:91], off, s19
	v_mov_b32_e32 v89, s20
	ds_read_b64 v[92:93], v89
	v_add_u32_e32 v88, -1, v88
	s_add_i32 s20, s20, 8
	s_add_i32 s19, s19, 8
	v_cmp_eq_u32_e32 vcc, 0, v88
	s_or_b64 s[0:1], vcc, s[0:1]
	s_waitcnt vmcnt(0) lgkmcnt(0)
	v_fmac_f64_e32 v[86:87], v[90:91], v[92:93]
	s_andn2_b64 exec, exec, s[0:1]
	s_cbranch_execnz .LBB40_203
; %bb.204:
	s_or_b64 exec, exec, s[0:1]
.LBB40_205:
	s_or_b64 exec, exec, s[8:9]
	v_mov_b32_e32 v88, 0
	ds_read_b64 v[88:89], v88 offset:152
	s_waitcnt lgkmcnt(0)
	v_mul_f64 v[86:87], v[86:87], v[88:89]
	scratch_store_dwordx2 off, v[86:87], off offset:152
.LBB40_206:
	s_or_b64 exec, exec, s[4:5]
	scratch_load_dwordx2 v[86:87], off, off offset:144
	v_cmp_lt_u32_e64 s[0:1], 18, v0
	s_waitcnt vmcnt(0)
	ds_write_b64 v1, v[86:87]
	s_waitcnt lgkmcnt(0)
	; wave barrier
	s_and_saveexec_b64 s[4:5], s[0:1]
	s_cbranch_execz .LBB40_216
; %bb.207:
	s_andn2_b64 vcc, exec, s[6:7]
	s_cbranch_vccnz .LBB40_209
; %bb.208:
	scratch_load_dwordx2 v[86:87], v11, off
	ds_read_b64 v[88:89], v1
	s_waitcnt vmcnt(0) lgkmcnt(0)
	v_mul_f64 v[86:87], v[86:87], v[88:89]
	s_cbranch_execz .LBB40_210
	s_branch .LBB40_211
.LBB40_209:
                                        ; implicit-def: $vgpr86_vgpr87
.LBB40_210:
	ds_read_b64 v[86:87], v1
.LBB40_211:
	s_and_saveexec_b64 s[8:9], s[2:3]
	s_cbranch_execz .LBB40_215
; %bb.212:
	s_movk_i32 s19, 0x98
	v_subrev_u32_e32 v88, 19, v0
	s_movk_i32 s20, 0x1e8
	s_mov_b64 s[2:3], 0
.LBB40_213:                             ; =>This Inner Loop Header: Depth=1
	scratch_load_dwordx2 v[90:91], off, s19
	v_mov_b32_e32 v89, s20
	ds_read_b64 v[92:93], v89
	v_add_u32_e32 v88, -1, v88
	s_add_i32 s20, s20, 8
	s_add_i32 s19, s19, 8
	v_cmp_eq_u32_e32 vcc, 0, v88
	s_or_b64 s[2:3], vcc, s[2:3]
	s_waitcnt vmcnt(0) lgkmcnt(0)
	v_fmac_f64_e32 v[86:87], v[90:91], v[92:93]
	s_andn2_b64 exec, exec, s[2:3]
	s_cbranch_execnz .LBB40_213
; %bb.214:
	s_or_b64 exec, exec, s[2:3]
.LBB40_215:
	s_or_b64 exec, exec, s[8:9]
	v_mov_b32_e32 v88, 0
	ds_read_b64 v[88:89], v88 offset:144
	s_waitcnt lgkmcnt(0)
	v_mul_f64 v[86:87], v[86:87], v[88:89]
	scratch_store_dwordx2 off, v[86:87], off offset:144
.LBB40_216:
	s_or_b64 exec, exec, s[4:5]
	scratch_load_dwordx2 v[86:87], off, off offset:136
	v_cmp_lt_u32_e64 s[2:3], 17, v0
	s_waitcnt vmcnt(0)
	ds_write_b64 v1, v[86:87]
	s_waitcnt lgkmcnt(0)
	; wave barrier
	s_and_saveexec_b64 s[4:5], s[2:3]
	s_cbranch_execz .LBB40_226
; %bb.217:
	s_andn2_b64 vcc, exec, s[6:7]
	s_cbranch_vccnz .LBB40_219
; %bb.218:
	scratch_load_dwordx2 v[86:87], v11, off
	ds_read_b64 v[88:89], v1
	s_waitcnt vmcnt(0) lgkmcnt(0)
	v_mul_f64 v[86:87], v[86:87], v[88:89]
	s_cbranch_execz .LBB40_220
	s_branch .LBB40_221
.LBB40_219:
                                        ; implicit-def: $vgpr86_vgpr87
.LBB40_220:
	ds_read_b64 v[86:87], v1
.LBB40_221:
	s_and_saveexec_b64 s[8:9], s[0:1]
	s_cbranch_execz .LBB40_225
; %bb.222:
	v_subrev_u32_e32 v88, 18, v0
	s_movk_i32 s19, 0x1e0
	s_mov_b64 s[0:1], 0
.LBB40_223:                             ; =>This Inner Loop Header: Depth=1
	scratch_load_dwordx2 v[90:91], off, s18
	v_mov_b32_e32 v89, s19
	ds_read_b64 v[92:93], v89
	v_add_u32_e32 v88, -1, v88
	s_add_i32 s19, s19, 8
	s_add_i32 s18, s18, 8
	v_cmp_eq_u32_e32 vcc, 0, v88
	s_or_b64 s[0:1], vcc, s[0:1]
	s_waitcnt vmcnt(0) lgkmcnt(0)
	v_fmac_f64_e32 v[86:87], v[90:91], v[92:93]
	s_andn2_b64 exec, exec, s[0:1]
	s_cbranch_execnz .LBB40_223
; %bb.224:
	s_or_b64 exec, exec, s[0:1]
.LBB40_225:
	s_or_b64 exec, exec, s[8:9]
	v_mov_b32_e32 v88, 0
	ds_read_b64 v[88:89], v88 offset:136
	s_waitcnt lgkmcnt(0)
	v_mul_f64 v[86:87], v[86:87], v[88:89]
	scratch_store_dwordx2 off, v[86:87], off offset:136
.LBB40_226:
	s_or_b64 exec, exec, s[4:5]
	scratch_load_dwordx2 v[86:87], off, off offset:128
	v_cmp_lt_u32_e64 s[0:1], 16, v0
	s_waitcnt vmcnt(0)
	ds_write_b64 v1, v[86:87]
	s_waitcnt lgkmcnt(0)
	; wave barrier
	s_and_saveexec_b64 s[4:5], s[0:1]
	s_cbranch_execz .LBB40_236
; %bb.227:
	s_andn2_b64 vcc, exec, s[6:7]
	s_cbranch_vccnz .LBB40_229
; %bb.228:
	scratch_load_dwordx2 v[86:87], v11, off
	ds_read_b64 v[88:89], v1
	s_waitcnt vmcnt(0) lgkmcnt(0)
	v_mul_f64 v[86:87], v[86:87], v[88:89]
	s_cbranch_execz .LBB40_230
	s_branch .LBB40_231
.LBB40_229:
                                        ; implicit-def: $vgpr86_vgpr87
.LBB40_230:
	ds_read_b64 v[86:87], v1
.LBB40_231:
	s_and_saveexec_b64 s[8:9], s[2:3]
	s_cbranch_execz .LBB40_235
; %bb.232:
	s_movk_i32 s18, 0x88
	v_subrev_u32_e32 v88, 17, v0
	s_movk_i32 s19, 0x1d8
	s_mov_b64 s[2:3], 0
.LBB40_233:                             ; =>This Inner Loop Header: Depth=1
	scratch_load_dwordx2 v[90:91], off, s18
	v_mov_b32_e32 v89, s19
	ds_read_b64 v[92:93], v89
	v_add_u32_e32 v88, -1, v88
	s_add_i32 s19, s19, 8
	s_add_i32 s18, s18, 8
	v_cmp_eq_u32_e32 vcc, 0, v88
	s_or_b64 s[2:3], vcc, s[2:3]
	s_waitcnt vmcnt(0) lgkmcnt(0)
	v_fmac_f64_e32 v[86:87], v[90:91], v[92:93]
	s_andn2_b64 exec, exec, s[2:3]
	s_cbranch_execnz .LBB40_233
; %bb.234:
	s_or_b64 exec, exec, s[2:3]
.LBB40_235:
	s_or_b64 exec, exec, s[8:9]
	v_mov_b32_e32 v88, 0
	ds_read_b64 v[88:89], v88 offset:128
	s_waitcnt lgkmcnt(0)
	v_mul_f64 v[86:87], v[86:87], v[88:89]
	scratch_store_dwordx2 off, v[86:87], off offset:128
.LBB40_236:
	s_or_b64 exec, exec, s[4:5]
	scratch_load_dwordx2 v[86:87], off, off offset:120
	v_cmp_lt_u32_e64 s[2:3], 15, v0
	s_waitcnt vmcnt(0)
	ds_write_b64 v1, v[86:87]
	s_waitcnt lgkmcnt(0)
	; wave barrier
	s_and_saveexec_b64 s[4:5], s[2:3]
	s_cbranch_execz .LBB40_246
; %bb.237:
	s_andn2_b64 vcc, exec, s[6:7]
	s_cbranch_vccnz .LBB40_239
; %bb.238:
	scratch_load_dwordx2 v[86:87], v11, off
	ds_read_b64 v[88:89], v1
	s_waitcnt vmcnt(0) lgkmcnt(0)
	v_mul_f64 v[86:87], v[86:87], v[88:89]
	s_cbranch_execz .LBB40_240
	s_branch .LBB40_241
.LBB40_239:
                                        ; implicit-def: $vgpr86_vgpr87
.LBB40_240:
	ds_read_b64 v[86:87], v1
.LBB40_241:
	s_and_saveexec_b64 s[8:9], s[0:1]
	s_cbranch_execz .LBB40_245
; %bb.242:
	v_add_u32_e32 v88, -16, v0
	s_movk_i32 s18, 0x1d0
	s_mov_b64 s[0:1], 0
.LBB40_243:                             ; =>This Inner Loop Header: Depth=1
	scratch_load_dwordx2 v[90:91], off, s17
	v_mov_b32_e32 v89, s18
	ds_read_b64 v[92:93], v89
	v_add_u32_e32 v88, -1, v88
	s_add_i32 s18, s18, 8
	s_add_i32 s17, s17, 8
	v_cmp_eq_u32_e32 vcc, 0, v88
	s_or_b64 s[0:1], vcc, s[0:1]
	s_waitcnt vmcnt(0) lgkmcnt(0)
	v_fmac_f64_e32 v[86:87], v[90:91], v[92:93]
	s_andn2_b64 exec, exec, s[0:1]
	s_cbranch_execnz .LBB40_243
; %bb.244:
	s_or_b64 exec, exec, s[0:1]
.LBB40_245:
	s_or_b64 exec, exec, s[8:9]
	v_mov_b32_e32 v88, 0
	ds_read_b64 v[88:89], v88 offset:120
	s_waitcnt lgkmcnt(0)
	v_mul_f64 v[86:87], v[86:87], v[88:89]
	scratch_store_dwordx2 off, v[86:87], off offset:120
.LBB40_246:
	s_or_b64 exec, exec, s[4:5]
	scratch_load_dwordx2 v[86:87], off, off offset:112
	v_cmp_lt_u32_e64 s[0:1], 14, v0
	s_waitcnt vmcnt(0)
	ds_write_b64 v1, v[86:87]
	s_waitcnt lgkmcnt(0)
	; wave barrier
	s_and_saveexec_b64 s[4:5], s[0:1]
	s_cbranch_execz .LBB40_256
; %bb.247:
	s_andn2_b64 vcc, exec, s[6:7]
	s_cbranch_vccnz .LBB40_249
; %bb.248:
	scratch_load_dwordx2 v[86:87], v11, off
	ds_read_b64 v[88:89], v1
	s_waitcnt vmcnt(0) lgkmcnt(0)
	v_mul_f64 v[86:87], v[86:87], v[88:89]
	s_cbranch_execz .LBB40_250
	s_branch .LBB40_251
.LBB40_249:
                                        ; implicit-def: $vgpr86_vgpr87
.LBB40_250:
	ds_read_b64 v[86:87], v1
.LBB40_251:
	s_and_saveexec_b64 s[8:9], s[2:3]
	s_cbranch_execz .LBB40_255
; %bb.252:
	s_movk_i32 s17, 0x78
	v_add_u32_e32 v88, -15, v0
	s_movk_i32 s18, 0x1c8
	s_mov_b64 s[2:3], 0
.LBB40_253:                             ; =>This Inner Loop Header: Depth=1
	scratch_load_dwordx2 v[90:91], off, s17
	v_mov_b32_e32 v89, s18
	ds_read_b64 v[92:93], v89
	v_add_u32_e32 v88, -1, v88
	s_add_i32 s18, s18, 8
	s_add_i32 s17, s17, 8
	v_cmp_eq_u32_e32 vcc, 0, v88
	s_or_b64 s[2:3], vcc, s[2:3]
	s_waitcnt vmcnt(0) lgkmcnt(0)
	v_fmac_f64_e32 v[86:87], v[90:91], v[92:93]
	s_andn2_b64 exec, exec, s[2:3]
	s_cbranch_execnz .LBB40_253
; %bb.254:
	s_or_b64 exec, exec, s[2:3]
.LBB40_255:
	s_or_b64 exec, exec, s[8:9]
	v_mov_b32_e32 v88, 0
	ds_read_b64 v[88:89], v88 offset:112
	s_waitcnt lgkmcnt(0)
	v_mul_f64 v[86:87], v[86:87], v[88:89]
	scratch_store_dwordx2 off, v[86:87], off offset:112
.LBB40_256:
	s_or_b64 exec, exec, s[4:5]
	scratch_load_dwordx2 v[86:87], off, off offset:104
	v_cmp_lt_u32_e64 s[2:3], 13, v0
	s_waitcnt vmcnt(0)
	ds_write_b64 v1, v[86:87]
	s_waitcnt lgkmcnt(0)
	; wave barrier
	s_and_saveexec_b64 s[4:5], s[2:3]
	s_cbranch_execz .LBB40_266
; %bb.257:
	s_andn2_b64 vcc, exec, s[6:7]
	s_cbranch_vccnz .LBB40_259
; %bb.258:
	scratch_load_dwordx2 v[86:87], v11, off
	ds_read_b64 v[88:89], v1
	s_waitcnt vmcnt(0) lgkmcnt(0)
	v_mul_f64 v[86:87], v[86:87], v[88:89]
	s_cbranch_execz .LBB40_260
	s_branch .LBB40_261
.LBB40_259:
                                        ; implicit-def: $vgpr86_vgpr87
.LBB40_260:
	ds_read_b64 v[86:87], v1
.LBB40_261:
	s_and_saveexec_b64 s[8:9], s[0:1]
	s_cbranch_execz .LBB40_265
; %bb.262:
	v_add_u32_e32 v88, -14, v0
	s_movk_i32 s17, 0x1c0
	s_mov_b64 s[0:1], 0
.LBB40_263:                             ; =>This Inner Loop Header: Depth=1
	scratch_load_dwordx2 v[90:91], off, s16
	v_mov_b32_e32 v89, s17
	ds_read_b64 v[92:93], v89
	v_add_u32_e32 v88, -1, v88
	s_add_i32 s17, s17, 8
	s_add_i32 s16, s16, 8
	v_cmp_eq_u32_e32 vcc, 0, v88
	s_or_b64 s[0:1], vcc, s[0:1]
	s_waitcnt vmcnt(0) lgkmcnt(0)
	v_fmac_f64_e32 v[86:87], v[90:91], v[92:93]
	s_andn2_b64 exec, exec, s[0:1]
	s_cbranch_execnz .LBB40_263
; %bb.264:
	s_or_b64 exec, exec, s[0:1]
.LBB40_265:
	s_or_b64 exec, exec, s[8:9]
	v_mov_b32_e32 v88, 0
	ds_read_b64 v[88:89], v88 offset:104
	s_waitcnt lgkmcnt(0)
	v_mul_f64 v[86:87], v[86:87], v[88:89]
	scratch_store_dwordx2 off, v[86:87], off offset:104
.LBB40_266:
	s_or_b64 exec, exec, s[4:5]
	scratch_load_dwordx2 v[86:87], off, off offset:96
	v_cmp_lt_u32_e64 s[0:1], 12, v0
	s_waitcnt vmcnt(0)
	ds_write_b64 v1, v[86:87]
	s_waitcnt lgkmcnt(0)
	; wave barrier
	s_and_saveexec_b64 s[4:5], s[0:1]
	s_cbranch_execz .LBB40_276
; %bb.267:
	s_andn2_b64 vcc, exec, s[6:7]
	s_cbranch_vccnz .LBB40_269
; %bb.268:
	scratch_load_dwordx2 v[86:87], v11, off
	ds_read_b64 v[88:89], v1
	s_waitcnt vmcnt(0) lgkmcnt(0)
	v_mul_f64 v[86:87], v[86:87], v[88:89]
	s_cbranch_execz .LBB40_270
	s_branch .LBB40_271
.LBB40_269:
                                        ; implicit-def: $vgpr86_vgpr87
.LBB40_270:
	ds_read_b64 v[86:87], v1
.LBB40_271:
	s_and_saveexec_b64 s[8:9], s[2:3]
	s_cbranch_execz .LBB40_275
; %bb.272:
	s_movk_i32 s16, 0x68
	v_add_u32_e32 v88, -13, v0
	s_movk_i32 s17, 0x1b8
	s_mov_b64 s[2:3], 0
.LBB40_273:                             ; =>This Inner Loop Header: Depth=1
	scratch_load_dwordx2 v[90:91], off, s16
	v_mov_b32_e32 v89, s17
	ds_read_b64 v[92:93], v89
	v_add_u32_e32 v88, -1, v88
	s_add_i32 s17, s17, 8
	s_add_i32 s16, s16, 8
	v_cmp_eq_u32_e32 vcc, 0, v88
	s_or_b64 s[2:3], vcc, s[2:3]
	s_waitcnt vmcnt(0) lgkmcnt(0)
	v_fmac_f64_e32 v[86:87], v[90:91], v[92:93]
	s_andn2_b64 exec, exec, s[2:3]
	s_cbranch_execnz .LBB40_273
; %bb.274:
	s_or_b64 exec, exec, s[2:3]
.LBB40_275:
	s_or_b64 exec, exec, s[8:9]
	v_mov_b32_e32 v88, 0
	ds_read_b64 v[88:89], v88 offset:96
	s_waitcnt lgkmcnt(0)
	v_mul_f64 v[86:87], v[86:87], v[88:89]
	scratch_store_dwordx2 off, v[86:87], off offset:96
.LBB40_276:
	s_or_b64 exec, exec, s[4:5]
	scratch_load_dwordx2 v[86:87], off, off offset:88
	v_cmp_lt_u32_e64 s[2:3], 11, v0
	s_waitcnt vmcnt(0)
	ds_write_b64 v1, v[86:87]
	s_waitcnt lgkmcnt(0)
	; wave barrier
	s_and_saveexec_b64 s[4:5], s[2:3]
	s_cbranch_execz .LBB40_286
; %bb.277:
	s_andn2_b64 vcc, exec, s[6:7]
	s_cbranch_vccnz .LBB40_279
; %bb.278:
	scratch_load_dwordx2 v[86:87], v11, off
	ds_read_b64 v[88:89], v1
	s_waitcnt vmcnt(0) lgkmcnt(0)
	v_mul_f64 v[86:87], v[86:87], v[88:89]
	s_cbranch_execz .LBB40_280
	s_branch .LBB40_281
.LBB40_279:
                                        ; implicit-def: $vgpr86_vgpr87
.LBB40_280:
	ds_read_b64 v[86:87], v1
.LBB40_281:
	s_and_saveexec_b64 s[8:9], s[0:1]
	s_cbranch_execz .LBB40_285
; %bb.282:
	v_add_u32_e32 v88, -12, v0
	s_movk_i32 s16, 0x1b0
	s_mov_b64 s[0:1], 0
.LBB40_283:                             ; =>This Inner Loop Header: Depth=1
	scratch_load_dwordx2 v[90:91], off, s15
	v_mov_b32_e32 v89, s16
	ds_read_b64 v[92:93], v89
	v_add_u32_e32 v88, -1, v88
	s_add_i32 s16, s16, 8
	s_add_i32 s15, s15, 8
	v_cmp_eq_u32_e32 vcc, 0, v88
	s_or_b64 s[0:1], vcc, s[0:1]
	s_waitcnt vmcnt(0) lgkmcnt(0)
	v_fmac_f64_e32 v[86:87], v[90:91], v[92:93]
	s_andn2_b64 exec, exec, s[0:1]
	s_cbranch_execnz .LBB40_283
; %bb.284:
	s_or_b64 exec, exec, s[0:1]
.LBB40_285:
	s_or_b64 exec, exec, s[8:9]
	v_mov_b32_e32 v88, 0
	ds_read_b64 v[88:89], v88 offset:88
	s_waitcnt lgkmcnt(0)
	v_mul_f64 v[86:87], v[86:87], v[88:89]
	scratch_store_dwordx2 off, v[86:87], off offset:88
.LBB40_286:
	s_or_b64 exec, exec, s[4:5]
	scratch_load_dwordx2 v[86:87], off, off offset:80
	v_cmp_lt_u32_e64 s[0:1], 10, v0
	s_waitcnt vmcnt(0)
	ds_write_b64 v1, v[86:87]
	s_waitcnt lgkmcnt(0)
	; wave barrier
	s_and_saveexec_b64 s[4:5], s[0:1]
	s_cbranch_execz .LBB40_296
; %bb.287:
	s_andn2_b64 vcc, exec, s[6:7]
	s_cbranch_vccnz .LBB40_289
; %bb.288:
	scratch_load_dwordx2 v[86:87], v11, off
	ds_read_b64 v[88:89], v1
	s_waitcnt vmcnt(0) lgkmcnt(0)
	v_mul_f64 v[86:87], v[86:87], v[88:89]
	s_cbranch_execz .LBB40_290
	s_branch .LBB40_291
.LBB40_289:
                                        ; implicit-def: $vgpr86_vgpr87
.LBB40_290:
	ds_read_b64 v[86:87], v1
.LBB40_291:
	s_and_saveexec_b64 s[8:9], s[2:3]
	s_cbranch_execz .LBB40_295
; %bb.292:
	s_movk_i32 s15, 0x58
	v_add_u32_e32 v88, -11, v0
	s_movk_i32 s16, 0x1a8
	s_mov_b64 s[2:3], 0
.LBB40_293:                             ; =>This Inner Loop Header: Depth=1
	scratch_load_dwordx2 v[90:91], off, s15
	v_mov_b32_e32 v89, s16
	ds_read_b64 v[92:93], v89
	v_add_u32_e32 v88, -1, v88
	s_add_i32 s16, s16, 8
	s_add_i32 s15, s15, 8
	v_cmp_eq_u32_e32 vcc, 0, v88
	s_or_b64 s[2:3], vcc, s[2:3]
	s_waitcnt vmcnt(0) lgkmcnt(0)
	v_fmac_f64_e32 v[86:87], v[90:91], v[92:93]
	s_andn2_b64 exec, exec, s[2:3]
	s_cbranch_execnz .LBB40_293
; %bb.294:
	s_or_b64 exec, exec, s[2:3]
.LBB40_295:
	s_or_b64 exec, exec, s[8:9]
	v_mov_b32_e32 v88, 0
	ds_read_b64 v[88:89], v88 offset:80
	s_waitcnt lgkmcnt(0)
	v_mul_f64 v[86:87], v[86:87], v[88:89]
	scratch_store_dwordx2 off, v[86:87], off offset:80
.LBB40_296:
	s_or_b64 exec, exec, s[4:5]
	scratch_load_dwordx2 v[86:87], off, off offset:72
	v_cmp_lt_u32_e64 s[2:3], 9, v0
	s_waitcnt vmcnt(0)
	ds_write_b64 v1, v[86:87]
	s_waitcnt lgkmcnt(0)
	; wave barrier
	s_and_saveexec_b64 s[4:5], s[2:3]
	s_cbranch_execz .LBB40_306
; %bb.297:
	s_andn2_b64 vcc, exec, s[6:7]
	s_cbranch_vccnz .LBB40_299
; %bb.298:
	scratch_load_dwordx2 v[86:87], v11, off
	ds_read_b64 v[88:89], v1
	s_waitcnt vmcnt(0) lgkmcnt(0)
	v_mul_f64 v[86:87], v[86:87], v[88:89]
	s_cbranch_execz .LBB40_300
	s_branch .LBB40_301
.LBB40_299:
                                        ; implicit-def: $vgpr86_vgpr87
.LBB40_300:
	ds_read_b64 v[86:87], v1
.LBB40_301:
	s_and_saveexec_b64 s[8:9], s[0:1]
	s_cbranch_execz .LBB40_305
; %bb.302:
	v_add_u32_e32 v88, -10, v0
	s_movk_i32 s15, 0x1a0
	s_mov_b64 s[0:1], 0
.LBB40_303:                             ; =>This Inner Loop Header: Depth=1
	scratch_load_dwordx2 v[90:91], off, s14
	v_mov_b32_e32 v89, s15
	ds_read_b64 v[92:93], v89
	v_add_u32_e32 v88, -1, v88
	s_add_i32 s15, s15, 8
	s_add_i32 s14, s14, 8
	v_cmp_eq_u32_e32 vcc, 0, v88
	s_or_b64 s[0:1], vcc, s[0:1]
	s_waitcnt vmcnt(0) lgkmcnt(0)
	v_fmac_f64_e32 v[86:87], v[90:91], v[92:93]
	s_andn2_b64 exec, exec, s[0:1]
	s_cbranch_execnz .LBB40_303
; %bb.304:
	s_or_b64 exec, exec, s[0:1]
.LBB40_305:
	s_or_b64 exec, exec, s[8:9]
	v_mov_b32_e32 v88, 0
	ds_read_b64 v[88:89], v88 offset:72
	s_waitcnt lgkmcnt(0)
	v_mul_f64 v[86:87], v[86:87], v[88:89]
	scratch_store_dwordx2 off, v[86:87], off offset:72
.LBB40_306:
	s_or_b64 exec, exec, s[4:5]
	scratch_load_dwordx2 v[86:87], off, off offset:64
	v_cmp_lt_u32_e64 s[0:1], 8, v0
	s_waitcnt vmcnt(0)
	ds_write_b64 v1, v[86:87]
	s_waitcnt lgkmcnt(0)
	; wave barrier
	s_and_saveexec_b64 s[4:5], s[0:1]
	s_cbranch_execz .LBB40_316
; %bb.307:
	s_andn2_b64 vcc, exec, s[6:7]
	s_cbranch_vccnz .LBB40_309
; %bb.308:
	scratch_load_dwordx2 v[86:87], v11, off
	ds_read_b64 v[88:89], v1
	s_waitcnt vmcnt(0) lgkmcnt(0)
	v_mul_f64 v[86:87], v[86:87], v[88:89]
	s_cbranch_execz .LBB40_310
	s_branch .LBB40_311
.LBB40_309:
                                        ; implicit-def: $vgpr86_vgpr87
.LBB40_310:
	ds_read_b64 v[86:87], v1
.LBB40_311:
	s_and_saveexec_b64 s[8:9], s[2:3]
	s_cbranch_execz .LBB40_315
; %bb.312:
	s_movk_i32 s14, 0x48
	v_add_u32_e32 v88, -9, v0
	s_movk_i32 s15, 0x198
	s_mov_b64 s[2:3], 0
.LBB40_313:                             ; =>This Inner Loop Header: Depth=1
	scratch_load_dwordx2 v[90:91], off, s14
	v_mov_b32_e32 v89, s15
	ds_read_b64 v[92:93], v89
	v_add_u32_e32 v88, -1, v88
	s_add_i32 s15, s15, 8
	s_add_i32 s14, s14, 8
	v_cmp_eq_u32_e32 vcc, 0, v88
	s_or_b64 s[2:3], vcc, s[2:3]
	s_waitcnt vmcnt(0) lgkmcnt(0)
	v_fmac_f64_e32 v[86:87], v[90:91], v[92:93]
	s_andn2_b64 exec, exec, s[2:3]
	s_cbranch_execnz .LBB40_313
; %bb.314:
	s_or_b64 exec, exec, s[2:3]
.LBB40_315:
	s_or_b64 exec, exec, s[8:9]
	v_mov_b32_e32 v88, 0
	ds_read_b64 v[88:89], v88 offset:64
	s_waitcnt lgkmcnt(0)
	v_mul_f64 v[86:87], v[86:87], v[88:89]
	scratch_store_dwordx2 off, v[86:87], off offset:64
.LBB40_316:
	s_or_b64 exec, exec, s[4:5]
	scratch_load_dwordx2 v[86:87], off, off offset:56
	v_cmp_lt_u32_e64 s[2:3], 7, v0
	s_waitcnt vmcnt(0)
	ds_write_b64 v1, v[86:87]
	s_waitcnt lgkmcnt(0)
	; wave barrier
	s_and_saveexec_b64 s[4:5], s[2:3]
	s_cbranch_execz .LBB40_326
; %bb.317:
	s_andn2_b64 vcc, exec, s[6:7]
	s_cbranch_vccnz .LBB40_319
; %bb.318:
	scratch_load_dwordx2 v[86:87], v11, off
	ds_read_b64 v[88:89], v1
	s_waitcnt vmcnt(0) lgkmcnt(0)
	v_mul_f64 v[86:87], v[86:87], v[88:89]
	s_cbranch_execz .LBB40_320
	s_branch .LBB40_321
.LBB40_319:
                                        ; implicit-def: $vgpr86_vgpr87
.LBB40_320:
	ds_read_b64 v[86:87], v1
.LBB40_321:
	s_and_saveexec_b64 s[8:9], s[0:1]
	s_cbranch_execz .LBB40_325
; %bb.322:
	v_add_u32_e32 v88, -8, v0
	s_movk_i32 s14, 0x190
	s_mov_b64 s[0:1], 0
.LBB40_323:                             ; =>This Inner Loop Header: Depth=1
	scratch_load_dwordx2 v[90:91], off, s13
	v_mov_b32_e32 v89, s14
	ds_read_b64 v[92:93], v89
	v_add_u32_e32 v88, -1, v88
	s_add_i32 s14, s14, 8
	s_add_i32 s13, s13, 8
	v_cmp_eq_u32_e32 vcc, 0, v88
	s_or_b64 s[0:1], vcc, s[0:1]
	s_waitcnt vmcnt(0) lgkmcnt(0)
	v_fmac_f64_e32 v[86:87], v[90:91], v[92:93]
	s_andn2_b64 exec, exec, s[0:1]
	s_cbranch_execnz .LBB40_323
; %bb.324:
	s_or_b64 exec, exec, s[0:1]
.LBB40_325:
	s_or_b64 exec, exec, s[8:9]
	v_mov_b32_e32 v88, 0
	ds_read_b64 v[88:89], v88 offset:56
	s_waitcnt lgkmcnt(0)
	v_mul_f64 v[86:87], v[86:87], v[88:89]
	scratch_store_dwordx2 off, v[86:87], off offset:56
.LBB40_326:
	s_or_b64 exec, exec, s[4:5]
	scratch_load_dwordx2 v[86:87], off, off offset:48
	v_cmp_lt_u32_e64 s[0:1], 6, v0
	s_waitcnt vmcnt(0)
	ds_write_b64 v1, v[86:87]
	s_waitcnt lgkmcnt(0)
	; wave barrier
	s_and_saveexec_b64 s[4:5], s[0:1]
	s_cbranch_execz .LBB40_336
; %bb.327:
	s_andn2_b64 vcc, exec, s[6:7]
	s_cbranch_vccnz .LBB40_329
; %bb.328:
	scratch_load_dwordx2 v[86:87], v11, off
	ds_read_b64 v[88:89], v1
	s_waitcnt vmcnt(0) lgkmcnt(0)
	v_mul_f64 v[86:87], v[86:87], v[88:89]
	s_cbranch_execz .LBB40_330
	s_branch .LBB40_331
.LBB40_329:
                                        ; implicit-def: $vgpr86_vgpr87
.LBB40_330:
	ds_read_b64 v[86:87], v1
.LBB40_331:
	s_and_saveexec_b64 s[8:9], s[2:3]
	s_cbranch_execz .LBB40_335
; %bb.332:
	s_mov_b32 s13, 56
	v_add_u32_e32 v88, -7, v0
	s_movk_i32 s14, 0x188
	s_mov_b64 s[2:3], 0
.LBB40_333:                             ; =>This Inner Loop Header: Depth=1
	scratch_load_dwordx2 v[90:91], off, s13
	v_mov_b32_e32 v89, s14
	ds_read_b64 v[92:93], v89
	v_add_u32_e32 v88, -1, v88
	s_add_i32 s14, s14, 8
	s_add_i32 s13, s13, 8
	v_cmp_eq_u32_e32 vcc, 0, v88
	s_or_b64 s[2:3], vcc, s[2:3]
	s_waitcnt vmcnt(0) lgkmcnt(0)
	v_fmac_f64_e32 v[86:87], v[90:91], v[92:93]
	s_andn2_b64 exec, exec, s[2:3]
	s_cbranch_execnz .LBB40_333
; %bb.334:
	s_or_b64 exec, exec, s[2:3]
.LBB40_335:
	s_or_b64 exec, exec, s[8:9]
	v_mov_b32_e32 v88, 0
	ds_read_b64 v[88:89], v88 offset:48
	s_waitcnt lgkmcnt(0)
	v_mul_f64 v[86:87], v[86:87], v[88:89]
	scratch_store_dwordx2 off, v[86:87], off offset:48
.LBB40_336:
	s_or_b64 exec, exec, s[4:5]
	scratch_load_dwordx2 v[86:87], off, off offset:40
	v_cmp_lt_u32_e64 s[2:3], 5, v0
	s_waitcnt vmcnt(0)
	ds_write_b64 v1, v[86:87]
	s_waitcnt lgkmcnt(0)
	; wave barrier
	s_and_saveexec_b64 s[4:5], s[2:3]
	s_cbranch_execz .LBB40_346
; %bb.337:
	s_andn2_b64 vcc, exec, s[6:7]
	s_cbranch_vccnz .LBB40_339
; %bb.338:
	scratch_load_dwordx2 v[86:87], v11, off
	ds_read_b64 v[88:89], v1
	s_waitcnt vmcnt(0) lgkmcnt(0)
	v_mul_f64 v[86:87], v[86:87], v[88:89]
	s_cbranch_execz .LBB40_340
	s_branch .LBB40_341
.LBB40_339:
                                        ; implicit-def: $vgpr86_vgpr87
.LBB40_340:
	ds_read_b64 v[86:87], v1
.LBB40_341:
	s_and_saveexec_b64 s[8:9], s[0:1]
	s_cbranch_execz .LBB40_345
; %bb.342:
	v_add_u32_e32 v88, -6, v0
	s_movk_i32 s13, 0x180
	s_mov_b64 s[0:1], 0
.LBB40_343:                             ; =>This Inner Loop Header: Depth=1
	scratch_load_dwordx2 v[90:91], off, s12
	v_mov_b32_e32 v89, s13
	ds_read_b64 v[92:93], v89
	v_add_u32_e32 v88, -1, v88
	s_add_i32 s13, s13, 8
	s_add_i32 s12, s12, 8
	v_cmp_eq_u32_e32 vcc, 0, v88
	s_or_b64 s[0:1], vcc, s[0:1]
	s_waitcnt vmcnt(0) lgkmcnt(0)
	v_fmac_f64_e32 v[86:87], v[90:91], v[92:93]
	s_andn2_b64 exec, exec, s[0:1]
	s_cbranch_execnz .LBB40_343
; %bb.344:
	s_or_b64 exec, exec, s[0:1]
.LBB40_345:
	s_or_b64 exec, exec, s[8:9]
	v_mov_b32_e32 v88, 0
	ds_read_b64 v[88:89], v88 offset:40
	s_waitcnt lgkmcnt(0)
	v_mul_f64 v[86:87], v[86:87], v[88:89]
	scratch_store_dwordx2 off, v[86:87], off offset:40
.LBB40_346:
	s_or_b64 exec, exec, s[4:5]
	scratch_load_dwordx2 v[86:87], off, off offset:32
	v_cmp_lt_u32_e64 s[0:1], 4, v0
	s_waitcnt vmcnt(0)
	ds_write_b64 v1, v[86:87]
	s_waitcnt lgkmcnt(0)
	; wave barrier
	s_and_saveexec_b64 s[4:5], s[0:1]
	s_cbranch_execz .LBB40_356
; %bb.347:
	s_andn2_b64 vcc, exec, s[6:7]
	s_cbranch_vccnz .LBB40_349
; %bb.348:
	scratch_load_dwordx2 v[86:87], v11, off
	ds_read_b64 v[88:89], v1
	s_waitcnt vmcnt(0) lgkmcnt(0)
	v_mul_f64 v[86:87], v[86:87], v[88:89]
	s_cbranch_execz .LBB40_350
	s_branch .LBB40_351
.LBB40_349:
                                        ; implicit-def: $vgpr86_vgpr87
.LBB40_350:
	ds_read_b64 v[86:87], v1
.LBB40_351:
	s_and_saveexec_b64 s[8:9], s[2:3]
	s_cbranch_execz .LBB40_355
; %bb.352:
	s_mov_b32 s12, 40
	v_add_u32_e32 v88, -5, v0
	s_movk_i32 s13, 0x178
	s_mov_b64 s[2:3], 0
.LBB40_353:                             ; =>This Inner Loop Header: Depth=1
	scratch_load_dwordx2 v[90:91], off, s12
	v_mov_b32_e32 v89, s13
	ds_read_b64 v[92:93], v89
	v_add_u32_e32 v88, -1, v88
	s_add_i32 s13, s13, 8
	s_add_i32 s12, s12, 8
	v_cmp_eq_u32_e32 vcc, 0, v88
	s_or_b64 s[2:3], vcc, s[2:3]
	s_waitcnt vmcnt(0) lgkmcnt(0)
	v_fmac_f64_e32 v[86:87], v[90:91], v[92:93]
	s_andn2_b64 exec, exec, s[2:3]
	s_cbranch_execnz .LBB40_353
; %bb.354:
	s_or_b64 exec, exec, s[2:3]
.LBB40_355:
	s_or_b64 exec, exec, s[8:9]
	v_mov_b32_e32 v88, 0
	ds_read_b64 v[88:89], v88 offset:32
	s_waitcnt lgkmcnt(0)
	v_mul_f64 v[86:87], v[86:87], v[88:89]
	scratch_store_dwordx2 off, v[86:87], off offset:32
.LBB40_356:
	s_or_b64 exec, exec, s[4:5]
	scratch_load_dwordx2 v[86:87], off, off offset:24
	v_cmp_lt_u32_e64 s[2:3], 3, v0
	s_waitcnt vmcnt(0)
	ds_write_b64 v1, v[86:87]
	s_waitcnt lgkmcnt(0)
	; wave barrier
	s_and_saveexec_b64 s[4:5], s[2:3]
	s_cbranch_execz .LBB40_366
; %bb.357:
	s_andn2_b64 vcc, exec, s[6:7]
	s_cbranch_vccnz .LBB40_359
; %bb.358:
	scratch_load_dwordx2 v[86:87], v11, off
	ds_read_b64 v[88:89], v1
	s_waitcnt vmcnt(0) lgkmcnt(0)
	v_mul_f64 v[86:87], v[86:87], v[88:89]
	s_cbranch_execz .LBB40_360
	s_branch .LBB40_361
.LBB40_359:
                                        ; implicit-def: $vgpr86_vgpr87
.LBB40_360:
	ds_read_b64 v[86:87], v1
.LBB40_361:
	s_and_saveexec_b64 s[8:9], s[0:1]
	s_cbranch_execz .LBB40_365
; %bb.362:
	v_add_u32_e32 v88, -4, v0
	s_movk_i32 s12, 0x170
	s_mov_b64 s[0:1], 0
.LBB40_363:                             ; =>This Inner Loop Header: Depth=1
	scratch_load_dwordx2 v[90:91], off, s11
	v_mov_b32_e32 v89, s12
	ds_read_b64 v[92:93], v89
	v_add_u32_e32 v88, -1, v88
	s_add_i32 s12, s12, 8
	s_add_i32 s11, s11, 8
	v_cmp_eq_u32_e32 vcc, 0, v88
	s_or_b64 s[0:1], vcc, s[0:1]
	s_waitcnt vmcnt(0) lgkmcnt(0)
	v_fmac_f64_e32 v[86:87], v[90:91], v[92:93]
	s_andn2_b64 exec, exec, s[0:1]
	s_cbranch_execnz .LBB40_363
; %bb.364:
	s_or_b64 exec, exec, s[0:1]
.LBB40_365:
	s_or_b64 exec, exec, s[8:9]
	v_mov_b32_e32 v88, 0
	ds_read_b64 v[88:89], v88 offset:24
	s_waitcnt lgkmcnt(0)
	v_mul_f64 v[86:87], v[86:87], v[88:89]
	scratch_store_dwordx2 off, v[86:87], off offset:24
.LBB40_366:
	s_or_b64 exec, exec, s[4:5]
	scratch_load_dwordx2 v[86:87], off, off offset:16
	v_cmp_lt_u32_e64 s[0:1], 2, v0
	s_waitcnt vmcnt(0)
	ds_write_b64 v1, v[86:87]
	s_waitcnt lgkmcnt(0)
	; wave barrier
	s_and_saveexec_b64 s[4:5], s[0:1]
	s_cbranch_execz .LBB40_376
; %bb.367:
	s_andn2_b64 vcc, exec, s[6:7]
	s_cbranch_vccnz .LBB40_369
; %bb.368:
	scratch_load_dwordx2 v[86:87], v11, off
	ds_read_b64 v[88:89], v1
	s_waitcnt vmcnt(0) lgkmcnt(0)
	v_mul_f64 v[86:87], v[86:87], v[88:89]
	s_cbranch_execz .LBB40_370
	s_branch .LBB40_371
.LBB40_369:
                                        ; implicit-def: $vgpr86_vgpr87
.LBB40_370:
	ds_read_b64 v[86:87], v1
.LBB40_371:
	s_and_saveexec_b64 s[8:9], s[2:3]
	s_cbranch_execz .LBB40_375
; %bb.372:
	s_mov_b32 s11, 24
	v_add_u32_e32 v88, -3, v0
	s_movk_i32 s12, 0x168
	s_mov_b64 s[2:3], 0
.LBB40_373:                             ; =>This Inner Loop Header: Depth=1
	scratch_load_dwordx2 v[90:91], off, s11
	v_mov_b32_e32 v89, s12
	ds_read_b64 v[92:93], v89
	v_add_u32_e32 v88, -1, v88
	s_add_i32 s12, s12, 8
	s_add_i32 s11, s11, 8
	v_cmp_eq_u32_e32 vcc, 0, v88
	s_or_b64 s[2:3], vcc, s[2:3]
	s_waitcnt vmcnt(0) lgkmcnt(0)
	v_fmac_f64_e32 v[86:87], v[90:91], v[92:93]
	s_andn2_b64 exec, exec, s[2:3]
	s_cbranch_execnz .LBB40_373
; %bb.374:
	s_or_b64 exec, exec, s[2:3]
.LBB40_375:
	s_or_b64 exec, exec, s[8:9]
	v_mov_b32_e32 v88, 0
	ds_read_b64 v[88:89], v88 offset:16
	s_waitcnt lgkmcnt(0)
	v_mul_f64 v[86:87], v[86:87], v[88:89]
	scratch_store_dwordx2 off, v[86:87], off offset:16
.LBB40_376:
	s_or_b64 exec, exec, s[4:5]
	scratch_load_dwordx2 v[86:87], off, off offset:8
	v_cmp_lt_u32_e64 s[2:3], 1, v0
	s_waitcnt vmcnt(0)
	ds_write_b64 v1, v[86:87]
	s_waitcnt lgkmcnt(0)
	; wave barrier
	s_and_saveexec_b64 s[4:5], s[2:3]
	s_cbranch_execz .LBB40_386
; %bb.377:
	s_andn2_b64 vcc, exec, s[6:7]
	s_cbranch_vccnz .LBB40_379
; %bb.378:
	scratch_load_dwordx2 v[86:87], v11, off
	ds_read_b64 v[88:89], v1
	s_waitcnt vmcnt(0) lgkmcnt(0)
	v_mul_f64 v[86:87], v[86:87], v[88:89]
	s_cbranch_execz .LBB40_380
	s_branch .LBB40_381
.LBB40_379:
                                        ; implicit-def: $vgpr86_vgpr87
.LBB40_380:
	ds_read_b64 v[86:87], v1
.LBB40_381:
	s_and_saveexec_b64 s[8:9], s[0:1]
	s_cbranch_execz .LBB40_385
; %bb.382:
	v_add_u32_e32 v88, -2, v0
	s_movk_i32 s11, 0x160
	s_mov_b64 s[0:1], 0
.LBB40_383:                             ; =>This Inner Loop Header: Depth=1
	scratch_load_dwordx2 v[90:91], off, s10
	v_mov_b32_e32 v89, s11
	ds_read_b64 v[92:93], v89
	v_add_u32_e32 v88, -1, v88
	s_add_i32 s11, s11, 8
	s_add_i32 s10, s10, 8
	v_cmp_eq_u32_e32 vcc, 0, v88
	s_or_b64 s[0:1], vcc, s[0:1]
	s_waitcnt vmcnt(0) lgkmcnt(0)
	v_fmac_f64_e32 v[86:87], v[90:91], v[92:93]
	s_andn2_b64 exec, exec, s[0:1]
	s_cbranch_execnz .LBB40_383
; %bb.384:
	s_or_b64 exec, exec, s[0:1]
.LBB40_385:
	s_or_b64 exec, exec, s[8:9]
	v_mov_b32_e32 v88, 0
	ds_read_b64 v[88:89], v88 offset:8
	s_waitcnt lgkmcnt(0)
	v_mul_f64 v[86:87], v[86:87], v[88:89]
	scratch_store_dwordx2 off, v[86:87], off offset:8
.LBB40_386:
	s_or_b64 exec, exec, s[4:5]
	scratch_load_dwordx2 v[86:87], off, off
	v_cmp_ne_u32_e32 vcc, 0, v0
	s_waitcnt vmcnt(0)
	ds_write_b64 v1, v[86:87]
	s_waitcnt lgkmcnt(0)
	; wave barrier
	s_and_saveexec_b64 s[0:1], vcc
	s_cbranch_execz .LBB40_396
; %bb.387:
	s_andn2_b64 vcc, exec, s[6:7]
	s_cbranch_vccnz .LBB40_389
; %bb.388:
	scratch_load_dwordx2 v[86:87], v11, off
	ds_read_b64 v[88:89], v1
	s_waitcnt vmcnt(0) lgkmcnt(0)
	v_mul_f64 v[86:87], v[86:87], v[88:89]
	s_cbranch_execz .LBB40_390
	s_branch .LBB40_391
.LBB40_389:
                                        ; implicit-def: $vgpr86_vgpr87
.LBB40_390:
	ds_read_b64 v[86:87], v1
.LBB40_391:
	s_and_saveexec_b64 s[4:5], s[2:3]
	s_cbranch_execz .LBB40_395
; %bb.392:
	s_or_b32 s8, 0, 8
	v_add_u32_e32 v88, -1, v0
	s_movk_i32 s9, 0x158
	s_mov_b64 s[2:3], 0
.LBB40_393:                             ; =>This Inner Loop Header: Depth=1
	scratch_load_dwordx2 v[90:91], off, s8
	v_mov_b32_e32 v89, s9
	ds_read_b64 v[92:93], v89
	v_add_u32_e32 v88, -1, v88
	s_add_i32 s9, s9, 8
	s_add_i32 s8, s8, 8
	v_cmp_eq_u32_e32 vcc, 0, v88
	s_or_b64 s[2:3], vcc, s[2:3]
	s_waitcnt vmcnt(0) lgkmcnt(0)
	v_fmac_f64_e32 v[86:87], v[90:91], v[92:93]
	s_andn2_b64 exec, exec, s[2:3]
	s_cbranch_execnz .LBB40_393
; %bb.394:
	s_or_b64 exec, exec, s[2:3]
.LBB40_395:
	s_or_b64 exec, exec, s[4:5]
	v_mov_b32_e32 v88, 0
	ds_read_b64 v[88:89], v88
	s_waitcnt lgkmcnt(0)
	v_mul_f64 v[86:87], v[86:87], v[88:89]
	scratch_store_dwordx2 off, v[86:87], off
.LBB40_396:
	s_or_b64 exec, exec, s[0:1]
	s_mov_b64 s[0:1], 0
.LBB40_397:
	s_and_b64 vcc, exec, s[0:1]
	s_cbranch_vccz .LBB40_789
; %bb.398:
	scratch_load_dwordx2 v[86:87], off, off offset:8
	v_cmp_eq_u32_e64 s[2:3], 0, v0
	s_waitcnt vmcnt(0)
	ds_write_b64 v1, v[86:87]
	s_waitcnt lgkmcnt(0)
	; wave barrier
	s_and_saveexec_b64 s[0:1], s[2:3]
	s_cbranch_execz .LBB40_404
; %bb.399:
	s_and_b64 vcc, exec, s[6:7]
	s_cbranch_vccz .LBB40_401
; %bb.400:
	scratch_load_dwordx2 v[86:87], v11, off
	ds_read_b64 v[88:89], v1
	s_waitcnt vmcnt(0) lgkmcnt(0)
	v_mul_f64 v[86:87], v[86:87], v[88:89]
	s_cbranch_execz .LBB40_402
	s_branch .LBB40_403
.LBB40_401:
                                        ; implicit-def: $vgpr86_vgpr87
.LBB40_402:
	ds_read_b64 v[86:87], v1
.LBB40_403:
	v_mov_b32_e32 v88, 0
	ds_read_b64 v[88:89], v88 offset:8
	s_waitcnt lgkmcnt(0)
	v_mul_f64 v[86:87], v[86:87], v[88:89]
	scratch_store_dwordx2 off, v[86:87], off offset:8
.LBB40_404:
	s_or_b64 exec, exec, s[0:1]
	scratch_load_dwordx2 v[86:87], off, off offset:16
	v_cndmask_b32_e64 v88, 0, 1, s[6:7]
	v_cmp_gt_u32_e32 vcc, 2, v0
	v_cmp_ne_u32_e64 s[0:1], 1, v88
	s_waitcnt vmcnt(0)
	ds_write_b64 v1, v[86:87]
	s_waitcnt lgkmcnt(0)
	; wave barrier
	s_and_saveexec_b64 s[4:5], vcc
	s_cbranch_execz .LBB40_410
; %bb.405:
	s_and_b64 vcc, exec, s[0:1]
	s_cbranch_vccnz .LBB40_407
; %bb.406:
	scratch_load_dwordx2 v[86:87], v11, off
	ds_read_b64 v[88:89], v1
	s_waitcnt vmcnt(0) lgkmcnt(0)
	v_mul_f64 v[86:87], v[86:87], v[88:89]
	s_cbranch_execz .LBB40_408
	s_branch .LBB40_409
.LBB40_407:
                                        ; implicit-def: $vgpr86_vgpr87
.LBB40_408:
	ds_read_b64 v[86:87], v1
.LBB40_409:
	scratch_load_dwordx2 v[92:93], off, off offset:8
	v_mov_b32_e32 v88, 0
	ds_read2_b64 v[88:91], v88 offset0:2 offset1:43
	s_waitcnt vmcnt(0) lgkmcnt(0)
	v_fma_f64 v[90:91], v[92:93], v[90:91], v[86:87]
	v_cndmask_b32_e64 v87, v87, v91, s[2:3]
	v_cndmask_b32_e64 v86, v86, v90, s[2:3]
	v_mul_f64 v[86:87], v[86:87], v[88:89]
	scratch_store_dwordx2 off, v[86:87], off offset:16
.LBB40_410:
	s_or_b64 exec, exec, s[4:5]
	scratch_load_dwordx2 v[86:87], off, off offset:24
	v_cmp_gt_u32_e32 vcc, 3, v0
	s_waitcnt vmcnt(0)
	ds_write_b64 v1, v[86:87]
	s_waitcnt lgkmcnt(0)
	; wave barrier
	s_and_saveexec_b64 s[4:5], vcc
	s_cbranch_execz .LBB40_418
; %bb.411:
	s_and_b64 vcc, exec, s[0:1]
	s_cbranch_vccnz .LBB40_413
; %bb.412:
	scratch_load_dwordx2 v[86:87], v11, off
	ds_read_b64 v[88:89], v1
	s_waitcnt vmcnt(0) lgkmcnt(0)
	v_mul_f64 v[86:87], v[86:87], v[88:89]
	s_cbranch_execz .LBB40_414
	s_branch .LBB40_415
.LBB40_413:
                                        ; implicit-def: $vgpr86_vgpr87
.LBB40_414:
	ds_read_b64 v[86:87], v1
.LBB40_415:
	v_cmp_ne_u32_e32 vcc, 2, v0
	s_and_saveexec_b64 s[6:7], vcc
	s_cbranch_execz .LBB40_417
; %bb.416:
	scratch_load_dwordx2 v[88:89], v11, off offset:8
	ds_read_b64 v[90:91], v1 offset:8
	s_waitcnt vmcnt(0) lgkmcnt(0)
	v_fmac_f64_e32 v[86:87], v[88:89], v[90:91]
	scratch_load_dwordx2 v[88:89], off, off offset:16
	v_mov_b32_e32 v90, 0
	ds_read_b64 v[90:91], v90 offset:352
	s_waitcnt vmcnt(0) lgkmcnt(0)
	v_fma_f64 v[88:89], v[88:89], v[90:91], v[86:87]
	v_cndmask_b32_e64 v87, v87, v89, s[2:3]
	v_cndmask_b32_e64 v86, v86, v88, s[2:3]
.LBB40_417:
	s_or_b64 exec, exec, s[6:7]
	v_mov_b32_e32 v88, 0
	ds_read_b64 v[88:89], v88 offset:24
	s_waitcnt lgkmcnt(0)
	v_mul_f64 v[86:87], v[86:87], v[88:89]
	scratch_store_dwordx2 off, v[86:87], off offset:24
.LBB40_418:
	s_or_b64 exec, exec, s[4:5]
	scratch_load_dwordx2 v[86:87], off, off offset:32
	v_cmp_gt_u32_e32 vcc, 4, v0
	s_waitcnt vmcnt(0)
	ds_write_b64 v1, v[86:87]
	s_waitcnt lgkmcnt(0)
	; wave barrier
	s_and_saveexec_b64 s[2:3], vcc
	s_cbranch_execz .LBB40_428
; %bb.419:
	s_and_b64 vcc, exec, s[0:1]
	s_cbranch_vccnz .LBB40_421
; %bb.420:
	scratch_load_dwordx2 v[86:87], v11, off
	ds_read_b64 v[88:89], v1
	s_waitcnt vmcnt(0) lgkmcnt(0)
	v_mul_f64 v[86:87], v[86:87], v[88:89]
	s_cbranch_execz .LBB40_422
	s_branch .LBB40_423
.LBB40_421:
                                        ; implicit-def: $vgpr86_vgpr87
.LBB40_422:
	ds_read_b64 v[86:87], v1
.LBB40_423:
	v_cmp_ne_u32_e32 vcc, 3, v0
	s_and_saveexec_b64 s[4:5], vcc
	s_cbranch_execz .LBB40_427
; %bb.424:
	s_mov_b32 s6, 0
	v_add_u32_e32 v88, 0x158, v10
	v_add3_u32 v89, v10, s6, 8
	s_mov_b64 s[6:7], 0
	v_mov_b32_e32 v90, v0
.LBB40_425:                             ; =>This Inner Loop Header: Depth=1
	scratch_load_dwordx2 v[92:93], v89, off
	ds_read_b64 v[94:95], v88
	v_add_u32_e32 v90, 1, v90
	v_cmp_lt_u32_e32 vcc, 2, v90
	v_add_u32_e32 v88, 8, v88
	v_add_u32_e32 v89, 8, v89
	s_or_b64 s[6:7], vcc, s[6:7]
	s_waitcnt vmcnt(0) lgkmcnt(0)
	v_fmac_f64_e32 v[86:87], v[92:93], v[94:95]
	s_andn2_b64 exec, exec, s[6:7]
	s_cbranch_execnz .LBB40_425
; %bb.426:
	s_or_b64 exec, exec, s[6:7]
.LBB40_427:
	s_or_b64 exec, exec, s[4:5]
	v_mov_b32_e32 v88, 0
	ds_read_b64 v[88:89], v88 offset:32
	s_waitcnt lgkmcnt(0)
	v_mul_f64 v[86:87], v[86:87], v[88:89]
	scratch_store_dwordx2 off, v[86:87], off offset:32
.LBB40_428:
	s_or_b64 exec, exec, s[2:3]
	scratch_load_dwordx2 v[86:87], off, off offset:40
	v_cmp_gt_u32_e32 vcc, 5, v0
	s_waitcnt vmcnt(0)
	ds_write_b64 v1, v[86:87]
	s_waitcnt lgkmcnt(0)
	; wave barrier
	s_and_saveexec_b64 s[2:3], vcc
	s_cbranch_execz .LBB40_438
; %bb.429:
	s_and_b64 vcc, exec, s[0:1]
	s_cbranch_vccnz .LBB40_431
; %bb.430:
	scratch_load_dwordx2 v[86:87], v11, off
	ds_read_b64 v[88:89], v1
	s_waitcnt vmcnt(0) lgkmcnt(0)
	v_mul_f64 v[86:87], v[86:87], v[88:89]
	s_cbranch_execz .LBB40_432
	s_branch .LBB40_433
.LBB40_431:
                                        ; implicit-def: $vgpr86_vgpr87
.LBB40_432:
	ds_read_b64 v[86:87], v1
.LBB40_433:
	v_cmp_ne_u32_e32 vcc, 4, v0
	s_and_saveexec_b64 s[4:5], vcc
	s_cbranch_execz .LBB40_437
; %bb.434:
	s_mov_b32 s6, 0
	v_add_u32_e32 v88, 0x158, v10
	v_add3_u32 v89, v10, s6, 8
	s_mov_b64 s[6:7], 0
	v_mov_b32_e32 v90, v0
.LBB40_435:                             ; =>This Inner Loop Header: Depth=1
	scratch_load_dwordx2 v[92:93], v89, off
	ds_read_b64 v[94:95], v88
	v_add_u32_e32 v90, 1, v90
	v_cmp_lt_u32_e32 vcc, 3, v90
	v_add_u32_e32 v88, 8, v88
	v_add_u32_e32 v89, 8, v89
	s_or_b64 s[6:7], vcc, s[6:7]
	s_waitcnt vmcnt(0) lgkmcnt(0)
	v_fmac_f64_e32 v[86:87], v[92:93], v[94:95]
	s_andn2_b64 exec, exec, s[6:7]
	s_cbranch_execnz .LBB40_435
; %bb.436:
	s_or_b64 exec, exec, s[6:7]
.LBB40_437:
	s_or_b64 exec, exec, s[4:5]
	v_mov_b32_e32 v88, 0
	ds_read_b64 v[88:89], v88 offset:40
	s_waitcnt lgkmcnt(0)
	v_mul_f64 v[86:87], v[86:87], v[88:89]
	scratch_store_dwordx2 off, v[86:87], off offset:40
.LBB40_438:
	;; [unrolled: 55-line block ×35, first 2 shown]
	s_or_b64 exec, exec, s[2:3]
	scratch_load_dwordx2 v[86:87], off, off offset:312
	v_cmp_gt_u32_e64 s[2:3], 39, v0
	s_waitcnt vmcnt(0)
	ds_write_b64 v1, v[86:87]
	s_waitcnt lgkmcnt(0)
	; wave barrier
	s_and_saveexec_b64 s[4:5], s[2:3]
	s_cbranch_execz .LBB40_778
; %bb.769:
	s_and_b64 vcc, exec, s[0:1]
	s_cbranch_vccnz .LBB40_771
; %bb.770:
	scratch_load_dwordx2 v[86:87], v11, off
	ds_read_b64 v[88:89], v1
	s_waitcnt vmcnt(0) lgkmcnt(0)
	v_mul_f64 v[86:87], v[86:87], v[88:89]
	s_cbranch_execz .LBB40_772
	s_branch .LBB40_773
.LBB40_771:
                                        ; implicit-def: $vgpr86_vgpr87
.LBB40_772:
	ds_read_b64 v[86:87], v1
.LBB40_773:
	v_cmp_ne_u32_e32 vcc, 38, v0
	s_and_saveexec_b64 s[6:7], vcc
	s_cbranch_execz .LBB40_777
; %bb.774:
	s_mov_b32 s8, 0
	v_add_u32_e32 v88, 0x158, v10
	v_add3_u32 v89, v10, s8, 8
	s_mov_b64 s[8:9], 0
	v_mov_b32_e32 v90, v0
.LBB40_775:                             ; =>This Inner Loop Header: Depth=1
	scratch_load_dwordx2 v[92:93], v89, off
	ds_read_b64 v[94:95], v88
	v_add_u32_e32 v90, 1, v90
	v_cmp_lt_u32_e32 vcc, 37, v90
	v_add_u32_e32 v88, 8, v88
	v_add_u32_e32 v89, 8, v89
	s_or_b64 s[8:9], vcc, s[8:9]
	s_waitcnt vmcnt(0) lgkmcnt(0)
	v_fmac_f64_e32 v[86:87], v[92:93], v[94:95]
	s_andn2_b64 exec, exec, s[8:9]
	s_cbranch_execnz .LBB40_775
; %bb.776:
	s_or_b64 exec, exec, s[8:9]
.LBB40_777:
	s_or_b64 exec, exec, s[6:7]
	v_mov_b32_e32 v88, 0
	ds_read_b64 v[88:89], v88 offset:312
	s_waitcnt lgkmcnt(0)
	v_mul_f64 v[86:87], v[86:87], v[88:89]
	scratch_store_dwordx2 off, v[86:87], off offset:312
.LBB40_778:
	s_or_b64 exec, exec, s[4:5]
	scratch_load_dwordx2 v[86:87], off, off offset:320
	v_cmp_ne_u32_e32 vcc, 40, v0
	s_waitcnt vmcnt(0)
	ds_write_b64 v1, v[86:87]
	s_waitcnt lgkmcnt(0)
	; wave barrier
	s_and_saveexec_b64 s[4:5], vcc
	s_cbranch_execz .LBB40_788
; %bb.779:
	s_and_b64 vcc, exec, s[0:1]
	s_cbranch_vccnz .LBB40_781
; %bb.780:
	scratch_load_dwordx2 v[86:87], v11, off
	ds_read_b64 v[88:89], v1
	s_waitcnt vmcnt(0) lgkmcnt(0)
	v_mul_f64 v[86:87], v[86:87], v[88:89]
	s_cbranch_execz .LBB40_782
	s_branch .LBB40_783
.LBB40_781:
                                        ; implicit-def: $vgpr86_vgpr87
.LBB40_782:
	ds_read_b64 v[86:87], v1
.LBB40_783:
	s_and_saveexec_b64 s[0:1], s[2:3]
	s_cbranch_execz .LBB40_787
; %bb.784:
	s_mov_b32 s2, 0
	v_add_u32_e32 v1, 0x158, v10
	v_add3_u32 v10, v10, s2, 8
	s_mov_b64 s[2:3], 0
.LBB40_785:                             ; =>This Inner Loop Header: Depth=1
	scratch_load_dwordx2 v[88:89], v10, off
	ds_read_b64 v[90:91], v1
	v_add_u32_e32 v0, 1, v0
	v_cmp_lt_u32_e32 vcc, 38, v0
	v_add_u32_e32 v1, 8, v1
	v_add_u32_e32 v10, 8, v10
	s_or_b64 s[2:3], vcc, s[2:3]
	s_waitcnt vmcnt(0) lgkmcnt(0)
	v_fmac_f64_e32 v[86:87], v[88:89], v[90:91]
	s_andn2_b64 exec, exec, s[2:3]
	s_cbranch_execnz .LBB40_785
; %bb.786:
	s_or_b64 exec, exec, s[2:3]
.LBB40_787:
	s_or_b64 exec, exec, s[0:1]
	v_mov_b32_e32 v0, 0
	ds_read_b64 v[0:1], v0 offset:320
	s_waitcnt lgkmcnt(0)
	v_mul_f64 v[0:1], v[86:87], v[0:1]
	scratch_store_dwordx2 off, v[0:1], off offset:320
.LBB40_788:
	s_or_b64 exec, exec, s[4:5]
.LBB40_789:
	scratch_load_dwordx4 v[86:89], off, off
	s_waitcnt vmcnt(0)
	global_store_dwordx2 v[2:3], v[86:87], off
	global_store_dwordx2 v[4:5], v[88:89], off
	scratch_load_dwordx4 v[0:3], off, off offset:16
	s_waitcnt vmcnt(0)
	global_store_dwordx2 v[6:7], v[0:1], off
	global_store_dwordx2 v[8:9], v[2:3], off
	scratch_load_dwordx4 v[0:3], off, off offset:32
	;; [unrolled: 4-line block ×19, first 2 shown]
	s_waitcnt vmcnt(0)
	global_store_dwordx2 v[82:83], v[0:1], off
	global_store_dwordx2 v[84:85], v[2:3], off
	scratch_load_dwordx2 v[0:1], off, off offset:320
	s_waitcnt vmcnt(0)
	global_store_dwordx2 v[80:81], v[0:1], off
.LBB40_790:
	s_endpgm
	.section	.rodata,"a",@progbits
	.p2align	6, 0x0
	.amdhsa_kernel _ZN9rocsolver6v33100L18trti2_kernel_smallILi41EdPdEEv13rocblas_fill_17rocblas_diagonal_T1_iil
		.amdhsa_group_segment_fixed_size 664
		.amdhsa_private_segment_fixed_size 336
		.amdhsa_kernarg_size 32
		.amdhsa_user_sgpr_count 2
		.amdhsa_user_sgpr_dispatch_ptr 0
		.amdhsa_user_sgpr_queue_ptr 0
		.amdhsa_user_sgpr_kernarg_segment_ptr 1
		.amdhsa_user_sgpr_dispatch_id 0
		.amdhsa_user_sgpr_kernarg_preload_length 0
		.amdhsa_user_sgpr_kernarg_preload_offset 0
		.amdhsa_user_sgpr_private_segment_size 0
		.amdhsa_uses_dynamic_stack 0
		.amdhsa_enable_private_segment 1
		.amdhsa_system_sgpr_workgroup_id_x 1
		.amdhsa_system_sgpr_workgroup_id_y 0
		.amdhsa_system_sgpr_workgroup_id_z 0
		.amdhsa_system_sgpr_workgroup_info 0
		.amdhsa_system_vgpr_workitem_id 0
		.amdhsa_next_free_vgpr 96
		.amdhsa_next_free_sgpr 30
		.amdhsa_accum_offset 96
		.amdhsa_reserve_vcc 1
		.amdhsa_float_round_mode_32 0
		.amdhsa_float_round_mode_16_64 0
		.amdhsa_float_denorm_mode_32 3
		.amdhsa_float_denorm_mode_16_64 3
		.amdhsa_dx10_clamp 1
		.amdhsa_ieee_mode 1
		.amdhsa_fp16_overflow 0
		.amdhsa_tg_split 0
		.amdhsa_exception_fp_ieee_invalid_op 0
		.amdhsa_exception_fp_denorm_src 0
		.amdhsa_exception_fp_ieee_div_zero 0
		.amdhsa_exception_fp_ieee_overflow 0
		.amdhsa_exception_fp_ieee_underflow 0
		.amdhsa_exception_fp_ieee_inexact 0
		.amdhsa_exception_int_div_zero 0
	.end_amdhsa_kernel
	.section	.text._ZN9rocsolver6v33100L18trti2_kernel_smallILi41EdPdEEv13rocblas_fill_17rocblas_diagonal_T1_iil,"axG",@progbits,_ZN9rocsolver6v33100L18trti2_kernel_smallILi41EdPdEEv13rocblas_fill_17rocblas_diagonal_T1_iil,comdat
.Lfunc_end40:
	.size	_ZN9rocsolver6v33100L18trti2_kernel_smallILi41EdPdEEv13rocblas_fill_17rocblas_diagonal_T1_iil, .Lfunc_end40-_ZN9rocsolver6v33100L18trti2_kernel_smallILi41EdPdEEv13rocblas_fill_17rocblas_diagonal_T1_iil
                                        ; -- End function
	.set _ZN9rocsolver6v33100L18trti2_kernel_smallILi41EdPdEEv13rocblas_fill_17rocblas_diagonal_T1_iil.num_vgpr, 96
	.set _ZN9rocsolver6v33100L18trti2_kernel_smallILi41EdPdEEv13rocblas_fill_17rocblas_diagonal_T1_iil.num_agpr, 0
	.set _ZN9rocsolver6v33100L18trti2_kernel_smallILi41EdPdEEv13rocblas_fill_17rocblas_diagonal_T1_iil.numbered_sgpr, 30
	.set _ZN9rocsolver6v33100L18trti2_kernel_smallILi41EdPdEEv13rocblas_fill_17rocblas_diagonal_T1_iil.num_named_barrier, 0
	.set _ZN9rocsolver6v33100L18trti2_kernel_smallILi41EdPdEEv13rocblas_fill_17rocblas_diagonal_T1_iil.private_seg_size, 336
	.set _ZN9rocsolver6v33100L18trti2_kernel_smallILi41EdPdEEv13rocblas_fill_17rocblas_diagonal_T1_iil.uses_vcc, 1
	.set _ZN9rocsolver6v33100L18trti2_kernel_smallILi41EdPdEEv13rocblas_fill_17rocblas_diagonal_T1_iil.uses_flat_scratch, 0
	.set _ZN9rocsolver6v33100L18trti2_kernel_smallILi41EdPdEEv13rocblas_fill_17rocblas_diagonal_T1_iil.has_dyn_sized_stack, 0
	.set _ZN9rocsolver6v33100L18trti2_kernel_smallILi41EdPdEEv13rocblas_fill_17rocblas_diagonal_T1_iil.has_recursion, 0
	.set _ZN9rocsolver6v33100L18trti2_kernel_smallILi41EdPdEEv13rocblas_fill_17rocblas_diagonal_T1_iil.has_indirect_call, 0
	.section	.AMDGPU.csdata,"",@progbits
; Kernel info:
; codeLenInByte = 19448
; TotalNumSgprs: 36
; NumVgprs: 96
; NumAgprs: 0
; TotalNumVgprs: 96
; ScratchSize: 336
; MemoryBound: 0
; FloatMode: 240
; IeeeMode: 1
; LDSByteSize: 664 bytes/workgroup (compile time only)
; SGPRBlocks: 4
; VGPRBlocks: 11
; NumSGPRsForWavesPerEU: 36
; NumVGPRsForWavesPerEU: 96
; AccumOffset: 96
; Occupancy: 5
; WaveLimiterHint : 0
; COMPUTE_PGM_RSRC2:SCRATCH_EN: 1
; COMPUTE_PGM_RSRC2:USER_SGPR: 2
; COMPUTE_PGM_RSRC2:TRAP_HANDLER: 0
; COMPUTE_PGM_RSRC2:TGID_X_EN: 1
; COMPUTE_PGM_RSRC2:TGID_Y_EN: 0
; COMPUTE_PGM_RSRC2:TGID_Z_EN: 0
; COMPUTE_PGM_RSRC2:TIDIG_COMP_CNT: 0
; COMPUTE_PGM_RSRC3_GFX90A:ACCUM_OFFSET: 23
; COMPUTE_PGM_RSRC3_GFX90A:TG_SPLIT: 0
	.section	.text._ZN9rocsolver6v33100L18trti2_kernel_smallILi42EdPdEEv13rocblas_fill_17rocblas_diagonal_T1_iil,"axG",@progbits,_ZN9rocsolver6v33100L18trti2_kernel_smallILi42EdPdEEv13rocblas_fill_17rocblas_diagonal_T1_iil,comdat
	.globl	_ZN9rocsolver6v33100L18trti2_kernel_smallILi42EdPdEEv13rocblas_fill_17rocblas_diagonal_T1_iil ; -- Begin function _ZN9rocsolver6v33100L18trti2_kernel_smallILi42EdPdEEv13rocblas_fill_17rocblas_diagonal_T1_iil
	.p2align	8
	.type	_ZN9rocsolver6v33100L18trti2_kernel_smallILi42EdPdEEv13rocblas_fill_17rocblas_diagonal_T1_iil,@function
_ZN9rocsolver6v33100L18trti2_kernel_smallILi42EdPdEEv13rocblas_fill_17rocblas_diagonal_T1_iil: ; @_ZN9rocsolver6v33100L18trti2_kernel_smallILi42EdPdEEv13rocblas_fill_17rocblas_diagonal_T1_iil
; %bb.0:
	v_cmp_gt_u32_e32 vcc, 42, v0
	s_and_saveexec_b64 s[4:5], vcc
	s_cbranch_execz .LBB41_810
; %bb.1:
	s_load_dwordx8 s[4:11], s[0:1], 0x0
	s_ashr_i32 s3, s2, 31
	v_lshlrev_b32_e32 v16, 3, v0
	v_mov_b32_e32 v17, 0
	s_waitcnt lgkmcnt(0)
	s_ashr_i32 s1, s8, 31
	s_mov_b32 s0, s8
	s_mul_hi_u32 s8, s10, s2
	s_mul_i32 s3, s10, s3
	s_add_i32 s3, s8, s3
	s_mul_i32 s8, s11, s2
	s_add_i32 s3, s3, s8
	s_mul_i32 s2, s10, s2
	s_lshl_b64 s[2:3], s[2:3], 3
	s_add_u32 s2, s6, s2
	s_addc_u32 s3, s7, s3
	s_lshl_b64 s[0:1], s[0:1], 3
	s_add_u32 s0, s2, s0
	s_addc_u32 s1, s3, s1
	v_lshl_add_u64 v[2:3], s[0:1], 0, v[16:17]
	s_ashr_i32 s3, s9, 31
	s_mov_b32 s2, s9
	v_lshl_add_u64 v[4:5], s[2:3], 3, v[2:3]
	global_load_dwordx2 v[6:7], v16, s[0:1]
	global_load_dwordx2 v[8:9], v[4:5], off
	s_add_i32 s2, s9, s9
	s_cmpk_lg_i32 s5, 0x84
	s_cselect_b64 s[6:7], -1, 0
	s_cmpk_eq_i32 s5, 0x84
	s_waitcnt vmcnt(0)
	scratch_store_dwordx4 off, v[6:9], off
	s_nop 1
	v_add_u32_e32 v8, s2, v0
	v_add_u32_e32 v10, s9, v8
	v_ashrrev_i32_e32 v9, 31, v8
	v_ashrrev_i32_e32 v11, 31, v10
	v_lshl_add_u64 v[6:7], v[8:9], 3, s[0:1]
	v_lshl_add_u64 v[8:9], v[10:11], 3, s[0:1]
	global_load_dwordx2 v[12:13], v[6:7], off
	global_load_dwordx2 v[14:15], v[8:9], off
	s_waitcnt vmcnt(0)
	scratch_store_dwordx4 off, v[12:15], off offset:16
	s_nop 1
	v_add_u32_e32 v12, s9, v10
	v_add_u32_e32 v14, s9, v12
	v_ashrrev_i32_e32 v13, 31, v12
	v_ashrrev_i32_e32 v15, 31, v14
	v_lshl_add_u64 v[10:11], v[12:13], 3, s[0:1]
	v_lshl_add_u64 v[12:13], v[14:15], 3, s[0:1]
	global_load_dwordx2 v[18:19], v[10:11], off
	global_load_dwordx2 v[20:21], v[12:13], off
	s_waitcnt vmcnt(0)
	scratch_store_dwordx4 off, v[18:21], off offset:32
	;; [unrolled: 11-line block ×15, first 2 shown]
	s_nop 1
	v_add_u32_e32 v70, s9, v68
	v_add_u32_e32 v72, s9, v70
	v_ashrrev_i32_e32 v71, 31, v70
	v_ashrrev_i32_e32 v73, 31, v72
	v_lshl_add_u64 v[68:69], v[70:71], 3, s[0:1]
	v_lshl_add_u64 v[70:71], v[72:73], 3, s[0:1]
	global_load_dwordx2 v[74:75], v[68:69], off
	global_load_dwordx2 v[76:77], v[70:71], off
	v_add_u32_e32 v72, s9, v72
	v_ashrrev_i32_e32 v73, 31, v72
	s_waitcnt vmcnt(0)
	scratch_store_dwordx4 off, v[74:77], off offset:256
	s_nop 1
	v_lshl_add_u64 v[74:75], v[72:73], 3, s[0:1]
	v_add_u32_e32 v72, s9, v72
	v_ashrrev_i32_e32 v73, 31, v72
	v_lshl_add_u64 v[78:79], v[72:73], 3, s[0:1]
	global_load_dwordx2 v[80:81], v[74:75], off
	global_load_dwordx2 v[82:83], v[78:79], off
	v_add_u32_e32 v72, s9, v72
	v_ashrrev_i32_e32 v73, 31, v72
	s_waitcnt vmcnt(0)
	scratch_store_dwordx4 off, v[80:83], off offset:272
	s_nop 1
	v_lshl_add_u64 v[80:81], v[72:73], 3, s[0:1]
	v_add_u32_e32 v72, s9, v72
	v_ashrrev_i32_e32 v73, 31, v72
	;; [unrolled: 11-line block ×3, first 2 shown]
	v_lshl_add_u64 v[86:87], v[72:73], 3, s[0:1]
	global_load_dwordx2 v[88:89], v[84:85], off
	global_load_dwordx2 v[90:91], v[86:87], off
	v_add_u32_e32 v76, s9, v72
	v_ashrrev_i32_e32 v77, 31, v76
	v_lshl_add_u64 v[72:73], v[76:77], 3, s[0:1]
	v_add_u32_e32 v76, s9, v76
	v_ashrrev_i32_e32 v77, 31, v76
	v_lshl_add_u64 v[76:77], v[76:77], 3, s[0:1]
	s_waitcnt vmcnt(0)
	scratch_store_dwordx4 off, v[88:91], off offset:304
	global_load_dwordx2 v[88:89], v[72:73], off
	s_nop 0
	global_load_dwordx2 v[90:91], v[76:77], off
	s_waitcnt vmcnt(0)
	scratch_store_dwordx4 off, v[88:91], off offset:320
	s_nop 1
	v_mov_b64_e32 v[88:89], -1.0
	s_cbranch_scc1 .LBB41_3
; %bb.2:
	scratch_load_dwordx2 v[88:89], v16, off
	s_waitcnt vmcnt(0)
	v_div_scale_f64 v[90:91], s[0:1], v[88:89], v[88:89], 1.0
	v_rcp_f64_e32 v[92:93], v[90:91]
	v_div_scale_f64 v[94:95], vcc, 1.0, v[88:89], 1.0
	v_fma_f64 v[96:97], -v[90:91], v[92:93], 1.0
	v_fmac_f64_e32 v[92:93], v[92:93], v[96:97]
	v_fma_f64 v[96:97], -v[90:91], v[92:93], 1.0
	v_fmac_f64_e32 v[92:93], v[92:93], v[96:97]
	v_mul_f64 v[96:97], v[94:95], v[92:93]
	v_fma_f64 v[90:91], -v[90:91], v[96:97], v[94:95]
	v_div_fmas_f64 v[90:91], v[90:91], v[92:93], v[96:97]
	v_div_fixup_f64 v[88:89], v[90:91], v[88:89], 1.0
	scratch_store_dwordx2 v16, v[88:89], off
	v_xor_b32_e32 v89, 0x80000000, v89
.LBB41_3:
	s_cmpk_eq_i32 s4, 0x79
	v_add_u32_e32 v1, 0x150, v16
	v_mov_b32_e32 v17, v16
	s_mov_b64 s[0:1], -1
	ds_write_b64 v16, v[88:89]
	s_cbranch_scc1 .LBB41_407
; %bb.4:
	scratch_load_dwordx2 v[88:89], off, off offset:320
	s_movk_i32 s8, 0x50
	s_movk_i32 s9, 0x60
	;; [unrolled: 1-line block ×15, first 2 shown]
	v_cmp_eq_u32_e64 s[0:1], 41, v0
	s_waitcnt vmcnt(0)
	ds_write_b64 v1, v[88:89]
	s_waitcnt lgkmcnt(0)
	; wave barrier
	s_and_saveexec_b64 s[2:3], s[0:1]
	s_cbranch_execz .LBB41_10
; %bb.5:
	s_and_b64 vcc, exec, s[6:7]
	s_cbranch_vccz .LBB41_7
; %bb.6:
	scratch_load_dwordx2 v[88:89], v17, off
	ds_read_b64 v[90:91], v1
	s_waitcnt vmcnt(0) lgkmcnt(0)
	v_mul_f64 v[88:89], v[88:89], v[90:91]
	s_cbranch_execz .LBB41_8
	s_branch .LBB41_9
.LBB41_7:
                                        ; implicit-def: $vgpr88_vgpr89
.LBB41_8:
	ds_read_b64 v[88:89], v1
.LBB41_9:
	v_mov_b32_e32 v90, 0
	ds_read_b64 v[90:91], v90 offset:320
	s_waitcnt lgkmcnt(0)
	v_mul_f64 v[88:89], v[88:89], v[90:91]
	scratch_store_dwordx2 off, v[88:89], off offset:320
.LBB41_10:
	s_or_b64 exec, exec, s[2:3]
	scratch_load_dwordx2 v[88:89], off, off offset:312
	s_mov_b32 s10, 16
	s_mov_b32 s11, 32
	;; [unrolled: 1-line block ×6, first 2 shown]
	v_cmp_lt_u32_e64 s[2:3], 39, v0
	s_waitcnt vmcnt(0)
	ds_write_b64 v1, v[88:89]
	s_waitcnt lgkmcnt(0)
	; wave barrier
	s_and_saveexec_b64 s[4:5], s[2:3]
	s_cbranch_execz .LBB41_16
; %bb.11:
	s_andn2_b64 vcc, exec, s[6:7]
	s_cbranch_vccnz .LBB41_13
; %bb.12:
	scratch_load_dwordx2 v[88:89], v17, off
	ds_read_b64 v[90:91], v1
	s_waitcnt vmcnt(0) lgkmcnt(0)
	v_mul_f64 v[88:89], v[88:89], v[90:91]
	s_cbranch_execz .LBB41_14
	s_branch .LBB41_15
.LBB41_13:
                                        ; implicit-def: $vgpr88_vgpr89
.LBB41_14:
	ds_read_b64 v[88:89], v1
.LBB41_15:
	scratch_load_dwordx2 v[94:95], off, off offset:320
	v_mov_b32_e32 v90, 0
	ds_read2_b64 v[90:93], v90 offset0:39 offset1:82
	s_waitcnt vmcnt(0) lgkmcnt(0)
	v_fma_f64 v[92:93], v[94:95], v[92:93], v[88:89]
	v_cndmask_b32_e64 v89, v89, v93, s[0:1]
	v_cndmask_b32_e64 v88, v88, v92, s[0:1]
	v_mul_f64 v[88:89], v[88:89], v[90:91]
	scratch_store_dwordx2 off, v[88:89], off offset:312
.LBB41_16:
	s_or_b64 exec, exec, s[4:5]
	scratch_load_dwordx2 v[88:89], off, off offset:304
	v_cmp_lt_u32_e64 s[0:1], 38, v0
	s_waitcnt vmcnt(0)
	ds_write_b64 v1, v[88:89]
	s_waitcnt lgkmcnt(0)
	; wave barrier
	s_and_saveexec_b64 s[4:5], s[0:1]
	s_cbranch_execz .LBB41_26
; %bb.17:
	s_andn2_b64 vcc, exec, s[6:7]
	s_cbranch_vccnz .LBB41_19
; %bb.18:
	scratch_load_dwordx2 v[88:89], v17, off
	ds_read_b64 v[90:91], v1
	s_waitcnt vmcnt(0) lgkmcnt(0)
	v_mul_f64 v[88:89], v[88:89], v[90:91]
	s_cbranch_execz .LBB41_20
	s_branch .LBB41_21
.LBB41_19:
                                        ; implicit-def: $vgpr88_vgpr89
.LBB41_20:
	ds_read_b64 v[88:89], v1
.LBB41_21:
	s_and_saveexec_b64 s[8:9], s[2:3]
	s_cbranch_execz .LBB41_25
; %bb.22:
	s_movk_i32 s29, 0x138
	v_subrev_u32_e32 v90, 39, v0
	s_movk_i32 s30, 0x288
	s_mov_b64 s[2:3], 0
.LBB41_23:                              ; =>This Inner Loop Header: Depth=1
	scratch_load_dwordx2 v[92:93], off, s29
	v_mov_b32_e32 v91, s30
	ds_read_b64 v[94:95], v91
	v_add_u32_e32 v90, -1, v90
	s_add_i32 s30, s30, 8
	s_add_i32 s29, s29, 8
	v_cmp_eq_u32_e32 vcc, 0, v90
	s_or_b64 s[2:3], vcc, s[2:3]
	s_waitcnt vmcnt(0) lgkmcnt(0)
	v_fmac_f64_e32 v[88:89], v[92:93], v[94:95]
	s_andn2_b64 exec, exec, s[2:3]
	s_cbranch_execnz .LBB41_23
; %bb.24:
	s_or_b64 exec, exec, s[2:3]
.LBB41_25:
	s_or_b64 exec, exec, s[8:9]
	v_mov_b32_e32 v90, 0
	ds_read_b64 v[90:91], v90 offset:304
	s_waitcnt lgkmcnt(0)
	v_mul_f64 v[88:89], v[88:89], v[90:91]
	scratch_store_dwordx2 off, v[88:89], off offset:304
.LBB41_26:
	s_or_b64 exec, exec, s[4:5]
	scratch_load_dwordx2 v[88:89], off, off offset:296
	v_cmp_lt_u32_e64 s[2:3], 37, v0
	s_waitcnt vmcnt(0)
	ds_write_b64 v1, v[88:89]
	s_waitcnt lgkmcnt(0)
	; wave barrier
	s_and_saveexec_b64 s[4:5], s[2:3]
	s_cbranch_execz .LBB41_36
; %bb.27:
	s_andn2_b64 vcc, exec, s[6:7]
	s_cbranch_vccnz .LBB41_29
; %bb.28:
	scratch_load_dwordx2 v[88:89], v17, off
	ds_read_b64 v[90:91], v1
	s_waitcnt vmcnt(0) lgkmcnt(0)
	v_mul_f64 v[88:89], v[88:89], v[90:91]
	s_cbranch_execz .LBB41_30
	s_branch .LBB41_31
.LBB41_29:
                                        ; implicit-def: $vgpr88_vgpr89
.LBB41_30:
	ds_read_b64 v[88:89], v1
.LBB41_31:
	s_and_saveexec_b64 s[8:9], s[0:1]
	s_cbranch_execz .LBB41_35
; %bb.32:
	v_subrev_u32_e32 v90, 38, v0
	s_movk_i32 s29, 0x280
	s_mov_b64 s[0:1], 0
.LBB41_33:                              ; =>This Inner Loop Header: Depth=1
	scratch_load_dwordx2 v[92:93], off, s28
	v_mov_b32_e32 v91, s29
	ds_read_b64 v[94:95], v91
	v_add_u32_e32 v90, -1, v90
	s_add_i32 s29, s29, 8
	s_add_i32 s28, s28, 8
	v_cmp_eq_u32_e32 vcc, 0, v90
	s_or_b64 s[0:1], vcc, s[0:1]
	s_waitcnt vmcnt(0) lgkmcnt(0)
	v_fmac_f64_e32 v[88:89], v[92:93], v[94:95]
	s_andn2_b64 exec, exec, s[0:1]
	s_cbranch_execnz .LBB41_33
; %bb.34:
	s_or_b64 exec, exec, s[0:1]
.LBB41_35:
	s_or_b64 exec, exec, s[8:9]
	v_mov_b32_e32 v90, 0
	ds_read_b64 v[90:91], v90 offset:296
	s_waitcnt lgkmcnt(0)
	v_mul_f64 v[88:89], v[88:89], v[90:91]
	scratch_store_dwordx2 off, v[88:89], off offset:296
.LBB41_36:
	s_or_b64 exec, exec, s[4:5]
	scratch_load_dwordx2 v[88:89], off, off offset:288
	v_cmp_lt_u32_e64 s[0:1], 36, v0
	s_waitcnt vmcnt(0)
	ds_write_b64 v1, v[88:89]
	s_waitcnt lgkmcnt(0)
	; wave barrier
	s_and_saveexec_b64 s[4:5], s[0:1]
	s_cbranch_execz .LBB41_46
; %bb.37:
	s_andn2_b64 vcc, exec, s[6:7]
	s_cbranch_vccnz .LBB41_39
; %bb.38:
	scratch_load_dwordx2 v[88:89], v17, off
	ds_read_b64 v[90:91], v1
	s_waitcnt vmcnt(0) lgkmcnt(0)
	v_mul_f64 v[88:89], v[88:89], v[90:91]
	s_cbranch_execz .LBB41_40
	s_branch .LBB41_41
.LBB41_39:
                                        ; implicit-def: $vgpr88_vgpr89
.LBB41_40:
	ds_read_b64 v[88:89], v1
.LBB41_41:
	s_and_saveexec_b64 s[8:9], s[2:3]
	s_cbranch_execz .LBB41_45
; %bb.42:
	s_movk_i32 s28, 0x128
	v_subrev_u32_e32 v90, 37, v0
	s_movk_i32 s29, 0x278
	s_mov_b64 s[2:3], 0
.LBB41_43:                              ; =>This Inner Loop Header: Depth=1
	scratch_load_dwordx2 v[92:93], off, s28
	v_mov_b32_e32 v91, s29
	ds_read_b64 v[94:95], v91
	v_add_u32_e32 v90, -1, v90
	s_add_i32 s29, s29, 8
	s_add_i32 s28, s28, 8
	v_cmp_eq_u32_e32 vcc, 0, v90
	s_or_b64 s[2:3], vcc, s[2:3]
	s_waitcnt vmcnt(0) lgkmcnt(0)
	v_fmac_f64_e32 v[88:89], v[92:93], v[94:95]
	s_andn2_b64 exec, exec, s[2:3]
	s_cbranch_execnz .LBB41_43
; %bb.44:
	s_or_b64 exec, exec, s[2:3]
.LBB41_45:
	s_or_b64 exec, exec, s[8:9]
	v_mov_b32_e32 v90, 0
	ds_read_b64 v[90:91], v90 offset:288
	s_waitcnt lgkmcnt(0)
	v_mul_f64 v[88:89], v[88:89], v[90:91]
	scratch_store_dwordx2 off, v[88:89], off offset:288
.LBB41_46:
	s_or_b64 exec, exec, s[4:5]
	scratch_load_dwordx2 v[88:89], off, off offset:280
	v_cmp_lt_u32_e64 s[2:3], 35, v0
	s_waitcnt vmcnt(0)
	ds_write_b64 v1, v[88:89]
	s_waitcnt lgkmcnt(0)
	; wave barrier
	s_and_saveexec_b64 s[4:5], s[2:3]
	s_cbranch_execz .LBB41_56
; %bb.47:
	s_andn2_b64 vcc, exec, s[6:7]
	s_cbranch_vccnz .LBB41_49
; %bb.48:
	scratch_load_dwordx2 v[88:89], v17, off
	ds_read_b64 v[90:91], v1
	s_waitcnt vmcnt(0) lgkmcnt(0)
	v_mul_f64 v[88:89], v[88:89], v[90:91]
	s_cbranch_execz .LBB41_50
	s_branch .LBB41_51
.LBB41_49:
                                        ; implicit-def: $vgpr88_vgpr89
.LBB41_50:
	ds_read_b64 v[88:89], v1
.LBB41_51:
	s_and_saveexec_b64 s[8:9], s[0:1]
	s_cbranch_execz .LBB41_55
; %bb.52:
	v_subrev_u32_e32 v90, 36, v0
	s_movk_i32 s28, 0x270
	s_mov_b64 s[0:1], 0
.LBB41_53:                              ; =>This Inner Loop Header: Depth=1
	scratch_load_dwordx2 v[92:93], off, s27
	v_mov_b32_e32 v91, s28
	ds_read_b64 v[94:95], v91
	v_add_u32_e32 v90, -1, v90
	s_add_i32 s28, s28, 8
	s_add_i32 s27, s27, 8
	v_cmp_eq_u32_e32 vcc, 0, v90
	s_or_b64 s[0:1], vcc, s[0:1]
	s_waitcnt vmcnt(0) lgkmcnt(0)
	v_fmac_f64_e32 v[88:89], v[92:93], v[94:95]
	s_andn2_b64 exec, exec, s[0:1]
	s_cbranch_execnz .LBB41_53
; %bb.54:
	s_or_b64 exec, exec, s[0:1]
.LBB41_55:
	s_or_b64 exec, exec, s[8:9]
	v_mov_b32_e32 v90, 0
	ds_read_b64 v[90:91], v90 offset:280
	s_waitcnt lgkmcnt(0)
	v_mul_f64 v[88:89], v[88:89], v[90:91]
	scratch_store_dwordx2 off, v[88:89], off offset:280
.LBB41_56:
	s_or_b64 exec, exec, s[4:5]
	scratch_load_dwordx2 v[88:89], off, off offset:272
	v_cmp_lt_u32_e64 s[0:1], 34, v0
	s_waitcnt vmcnt(0)
	ds_write_b64 v1, v[88:89]
	s_waitcnt lgkmcnt(0)
	; wave barrier
	s_and_saveexec_b64 s[4:5], s[0:1]
	s_cbranch_execz .LBB41_66
; %bb.57:
	s_andn2_b64 vcc, exec, s[6:7]
	s_cbranch_vccnz .LBB41_59
; %bb.58:
	scratch_load_dwordx2 v[88:89], v17, off
	ds_read_b64 v[90:91], v1
	s_waitcnt vmcnt(0) lgkmcnt(0)
	v_mul_f64 v[88:89], v[88:89], v[90:91]
	s_cbranch_execz .LBB41_60
	s_branch .LBB41_61
.LBB41_59:
                                        ; implicit-def: $vgpr88_vgpr89
.LBB41_60:
	ds_read_b64 v[88:89], v1
.LBB41_61:
	s_and_saveexec_b64 s[8:9], s[2:3]
	s_cbranch_execz .LBB41_65
; %bb.62:
	s_movk_i32 s27, 0x118
	v_subrev_u32_e32 v90, 35, v0
	s_movk_i32 s28, 0x268
	s_mov_b64 s[2:3], 0
.LBB41_63:                              ; =>This Inner Loop Header: Depth=1
	scratch_load_dwordx2 v[92:93], off, s27
	v_mov_b32_e32 v91, s28
	ds_read_b64 v[94:95], v91
	v_add_u32_e32 v90, -1, v90
	s_add_i32 s28, s28, 8
	s_add_i32 s27, s27, 8
	v_cmp_eq_u32_e32 vcc, 0, v90
	s_or_b64 s[2:3], vcc, s[2:3]
	s_waitcnt vmcnt(0) lgkmcnt(0)
	v_fmac_f64_e32 v[88:89], v[92:93], v[94:95]
	s_andn2_b64 exec, exec, s[2:3]
	s_cbranch_execnz .LBB41_63
; %bb.64:
	s_or_b64 exec, exec, s[2:3]
.LBB41_65:
	s_or_b64 exec, exec, s[8:9]
	v_mov_b32_e32 v90, 0
	ds_read_b64 v[90:91], v90 offset:272
	s_waitcnt lgkmcnt(0)
	v_mul_f64 v[88:89], v[88:89], v[90:91]
	scratch_store_dwordx2 off, v[88:89], off offset:272
.LBB41_66:
	s_or_b64 exec, exec, s[4:5]
	scratch_load_dwordx2 v[88:89], off, off offset:264
	v_cmp_lt_u32_e64 s[2:3], 33, v0
	s_waitcnt vmcnt(0)
	ds_write_b64 v1, v[88:89]
	s_waitcnt lgkmcnt(0)
	; wave barrier
	s_and_saveexec_b64 s[4:5], s[2:3]
	s_cbranch_execz .LBB41_76
; %bb.67:
	s_andn2_b64 vcc, exec, s[6:7]
	s_cbranch_vccnz .LBB41_69
; %bb.68:
	scratch_load_dwordx2 v[88:89], v17, off
	ds_read_b64 v[90:91], v1
	s_waitcnt vmcnt(0) lgkmcnt(0)
	v_mul_f64 v[88:89], v[88:89], v[90:91]
	s_cbranch_execz .LBB41_70
	s_branch .LBB41_71
.LBB41_69:
                                        ; implicit-def: $vgpr88_vgpr89
.LBB41_70:
	ds_read_b64 v[88:89], v1
.LBB41_71:
	s_and_saveexec_b64 s[8:9], s[0:1]
	s_cbranch_execz .LBB41_75
; %bb.72:
	v_subrev_u32_e32 v90, 34, v0
	s_movk_i32 s27, 0x260
	s_mov_b64 s[0:1], 0
.LBB41_73:                              ; =>This Inner Loop Header: Depth=1
	scratch_load_dwordx2 v[92:93], off, s26
	v_mov_b32_e32 v91, s27
	ds_read_b64 v[94:95], v91
	v_add_u32_e32 v90, -1, v90
	s_add_i32 s27, s27, 8
	s_add_i32 s26, s26, 8
	v_cmp_eq_u32_e32 vcc, 0, v90
	s_or_b64 s[0:1], vcc, s[0:1]
	s_waitcnt vmcnt(0) lgkmcnt(0)
	v_fmac_f64_e32 v[88:89], v[92:93], v[94:95]
	s_andn2_b64 exec, exec, s[0:1]
	s_cbranch_execnz .LBB41_73
; %bb.74:
	s_or_b64 exec, exec, s[0:1]
.LBB41_75:
	s_or_b64 exec, exec, s[8:9]
	v_mov_b32_e32 v90, 0
	ds_read_b64 v[90:91], v90 offset:264
	s_waitcnt lgkmcnt(0)
	v_mul_f64 v[88:89], v[88:89], v[90:91]
	scratch_store_dwordx2 off, v[88:89], off offset:264
.LBB41_76:
	s_or_b64 exec, exec, s[4:5]
	scratch_load_dwordx2 v[88:89], off, off offset:256
	v_cmp_lt_u32_e64 s[0:1], 32, v0
	s_waitcnt vmcnt(0)
	ds_write_b64 v1, v[88:89]
	s_waitcnt lgkmcnt(0)
	; wave barrier
	s_and_saveexec_b64 s[4:5], s[0:1]
	s_cbranch_execz .LBB41_86
; %bb.77:
	s_andn2_b64 vcc, exec, s[6:7]
	s_cbranch_vccnz .LBB41_79
; %bb.78:
	scratch_load_dwordx2 v[88:89], v17, off
	ds_read_b64 v[90:91], v1
	s_waitcnt vmcnt(0) lgkmcnt(0)
	v_mul_f64 v[88:89], v[88:89], v[90:91]
	s_cbranch_execz .LBB41_80
	s_branch .LBB41_81
.LBB41_79:
                                        ; implicit-def: $vgpr88_vgpr89
.LBB41_80:
	ds_read_b64 v[88:89], v1
.LBB41_81:
	s_and_saveexec_b64 s[8:9], s[2:3]
	s_cbranch_execz .LBB41_85
; %bb.82:
	s_movk_i32 s26, 0x108
	v_subrev_u32_e32 v90, 33, v0
	s_movk_i32 s27, 0x258
	s_mov_b64 s[2:3], 0
.LBB41_83:                              ; =>This Inner Loop Header: Depth=1
	scratch_load_dwordx2 v[92:93], off, s26
	v_mov_b32_e32 v91, s27
	ds_read_b64 v[94:95], v91
	v_add_u32_e32 v90, -1, v90
	s_add_i32 s27, s27, 8
	s_add_i32 s26, s26, 8
	v_cmp_eq_u32_e32 vcc, 0, v90
	s_or_b64 s[2:3], vcc, s[2:3]
	s_waitcnt vmcnt(0) lgkmcnt(0)
	v_fmac_f64_e32 v[88:89], v[92:93], v[94:95]
	s_andn2_b64 exec, exec, s[2:3]
	s_cbranch_execnz .LBB41_83
; %bb.84:
	s_or_b64 exec, exec, s[2:3]
.LBB41_85:
	s_or_b64 exec, exec, s[8:9]
	v_mov_b32_e32 v90, 0
	ds_read_b64 v[90:91], v90 offset:256
	s_waitcnt lgkmcnt(0)
	v_mul_f64 v[88:89], v[88:89], v[90:91]
	scratch_store_dwordx2 off, v[88:89], off offset:256
.LBB41_86:
	s_or_b64 exec, exec, s[4:5]
	scratch_load_dwordx2 v[88:89], off, off offset:248
	v_cmp_lt_u32_e64 s[2:3], 31, v0
	s_waitcnt vmcnt(0)
	ds_write_b64 v1, v[88:89]
	s_waitcnt lgkmcnt(0)
	; wave barrier
	s_and_saveexec_b64 s[4:5], s[2:3]
	s_cbranch_execz .LBB41_96
; %bb.87:
	s_andn2_b64 vcc, exec, s[6:7]
	s_cbranch_vccnz .LBB41_89
; %bb.88:
	scratch_load_dwordx2 v[88:89], v17, off
	ds_read_b64 v[90:91], v1
	s_waitcnt vmcnt(0) lgkmcnt(0)
	v_mul_f64 v[88:89], v[88:89], v[90:91]
	s_cbranch_execz .LBB41_90
	s_branch .LBB41_91
.LBB41_89:
                                        ; implicit-def: $vgpr88_vgpr89
.LBB41_90:
	ds_read_b64 v[88:89], v1
.LBB41_91:
	s_and_saveexec_b64 s[8:9], s[0:1]
	s_cbranch_execz .LBB41_95
; %bb.92:
	v_subrev_u32_e32 v90, 32, v0
	s_movk_i32 s26, 0x250
	s_mov_b64 s[0:1], 0
.LBB41_93:                              ; =>This Inner Loop Header: Depth=1
	scratch_load_dwordx2 v[92:93], off, s25
	v_mov_b32_e32 v91, s26
	ds_read_b64 v[94:95], v91
	v_add_u32_e32 v90, -1, v90
	s_add_i32 s26, s26, 8
	s_add_i32 s25, s25, 8
	v_cmp_eq_u32_e32 vcc, 0, v90
	s_or_b64 s[0:1], vcc, s[0:1]
	s_waitcnt vmcnt(0) lgkmcnt(0)
	v_fmac_f64_e32 v[88:89], v[92:93], v[94:95]
	s_andn2_b64 exec, exec, s[0:1]
	s_cbranch_execnz .LBB41_93
; %bb.94:
	s_or_b64 exec, exec, s[0:1]
.LBB41_95:
	s_or_b64 exec, exec, s[8:9]
	v_mov_b32_e32 v90, 0
	ds_read_b64 v[90:91], v90 offset:248
	s_waitcnt lgkmcnt(0)
	v_mul_f64 v[88:89], v[88:89], v[90:91]
	scratch_store_dwordx2 off, v[88:89], off offset:248
.LBB41_96:
	s_or_b64 exec, exec, s[4:5]
	scratch_load_dwordx2 v[88:89], off, off offset:240
	v_cmp_lt_u32_e64 s[0:1], 30, v0
	s_waitcnt vmcnt(0)
	ds_write_b64 v1, v[88:89]
	s_waitcnt lgkmcnt(0)
	; wave barrier
	s_and_saveexec_b64 s[4:5], s[0:1]
	s_cbranch_execz .LBB41_106
; %bb.97:
	s_andn2_b64 vcc, exec, s[6:7]
	s_cbranch_vccnz .LBB41_99
; %bb.98:
	scratch_load_dwordx2 v[88:89], v17, off
	ds_read_b64 v[90:91], v1
	s_waitcnt vmcnt(0) lgkmcnt(0)
	v_mul_f64 v[88:89], v[88:89], v[90:91]
	s_cbranch_execz .LBB41_100
	s_branch .LBB41_101
.LBB41_99:
                                        ; implicit-def: $vgpr88_vgpr89
.LBB41_100:
	ds_read_b64 v[88:89], v1
.LBB41_101:
	s_and_saveexec_b64 s[8:9], s[2:3]
	s_cbranch_execz .LBB41_105
; %bb.102:
	s_movk_i32 s25, 0xf8
	v_subrev_u32_e32 v90, 31, v0
	s_movk_i32 s26, 0x248
	s_mov_b64 s[2:3], 0
.LBB41_103:                             ; =>This Inner Loop Header: Depth=1
	scratch_load_dwordx2 v[92:93], off, s25
	v_mov_b32_e32 v91, s26
	ds_read_b64 v[94:95], v91
	v_add_u32_e32 v90, -1, v90
	s_add_i32 s26, s26, 8
	s_add_i32 s25, s25, 8
	v_cmp_eq_u32_e32 vcc, 0, v90
	s_or_b64 s[2:3], vcc, s[2:3]
	s_waitcnt vmcnt(0) lgkmcnt(0)
	v_fmac_f64_e32 v[88:89], v[92:93], v[94:95]
	s_andn2_b64 exec, exec, s[2:3]
	s_cbranch_execnz .LBB41_103
; %bb.104:
	s_or_b64 exec, exec, s[2:3]
.LBB41_105:
	s_or_b64 exec, exec, s[8:9]
	v_mov_b32_e32 v90, 0
	ds_read_b64 v[90:91], v90 offset:240
	s_waitcnt lgkmcnt(0)
	v_mul_f64 v[88:89], v[88:89], v[90:91]
	scratch_store_dwordx2 off, v[88:89], off offset:240
.LBB41_106:
	s_or_b64 exec, exec, s[4:5]
	scratch_load_dwordx2 v[88:89], off, off offset:232
	v_cmp_lt_u32_e64 s[2:3], 29, v0
	s_waitcnt vmcnt(0)
	ds_write_b64 v1, v[88:89]
	s_waitcnt lgkmcnt(0)
	; wave barrier
	s_and_saveexec_b64 s[4:5], s[2:3]
	s_cbranch_execz .LBB41_116
; %bb.107:
	s_andn2_b64 vcc, exec, s[6:7]
	s_cbranch_vccnz .LBB41_109
; %bb.108:
	scratch_load_dwordx2 v[88:89], v17, off
	ds_read_b64 v[90:91], v1
	s_waitcnt vmcnt(0) lgkmcnt(0)
	v_mul_f64 v[88:89], v[88:89], v[90:91]
	s_cbranch_execz .LBB41_110
	s_branch .LBB41_111
.LBB41_109:
                                        ; implicit-def: $vgpr88_vgpr89
.LBB41_110:
	ds_read_b64 v[88:89], v1
.LBB41_111:
	s_and_saveexec_b64 s[8:9], s[0:1]
	s_cbranch_execz .LBB41_115
; %bb.112:
	v_subrev_u32_e32 v90, 30, v0
	s_movk_i32 s25, 0x240
	s_mov_b64 s[0:1], 0
.LBB41_113:                             ; =>This Inner Loop Header: Depth=1
	scratch_load_dwordx2 v[92:93], off, s24
	v_mov_b32_e32 v91, s25
	ds_read_b64 v[94:95], v91
	v_add_u32_e32 v90, -1, v90
	s_add_i32 s25, s25, 8
	s_add_i32 s24, s24, 8
	v_cmp_eq_u32_e32 vcc, 0, v90
	s_or_b64 s[0:1], vcc, s[0:1]
	s_waitcnt vmcnt(0) lgkmcnt(0)
	v_fmac_f64_e32 v[88:89], v[92:93], v[94:95]
	s_andn2_b64 exec, exec, s[0:1]
	s_cbranch_execnz .LBB41_113
; %bb.114:
	s_or_b64 exec, exec, s[0:1]
.LBB41_115:
	s_or_b64 exec, exec, s[8:9]
	v_mov_b32_e32 v90, 0
	ds_read_b64 v[90:91], v90 offset:232
	s_waitcnt lgkmcnt(0)
	v_mul_f64 v[88:89], v[88:89], v[90:91]
	scratch_store_dwordx2 off, v[88:89], off offset:232
.LBB41_116:
	s_or_b64 exec, exec, s[4:5]
	scratch_load_dwordx2 v[88:89], off, off offset:224
	v_cmp_lt_u32_e64 s[0:1], 28, v0
	s_waitcnt vmcnt(0)
	ds_write_b64 v1, v[88:89]
	s_waitcnt lgkmcnt(0)
	; wave barrier
	s_and_saveexec_b64 s[4:5], s[0:1]
	s_cbranch_execz .LBB41_126
; %bb.117:
	s_andn2_b64 vcc, exec, s[6:7]
	s_cbranch_vccnz .LBB41_119
; %bb.118:
	scratch_load_dwordx2 v[88:89], v17, off
	ds_read_b64 v[90:91], v1
	s_waitcnt vmcnt(0) lgkmcnt(0)
	v_mul_f64 v[88:89], v[88:89], v[90:91]
	s_cbranch_execz .LBB41_120
	s_branch .LBB41_121
.LBB41_119:
                                        ; implicit-def: $vgpr88_vgpr89
.LBB41_120:
	ds_read_b64 v[88:89], v1
.LBB41_121:
	s_and_saveexec_b64 s[8:9], s[2:3]
	s_cbranch_execz .LBB41_125
; %bb.122:
	s_movk_i32 s24, 0xe8
	v_subrev_u32_e32 v90, 29, v0
	s_movk_i32 s25, 0x238
	s_mov_b64 s[2:3], 0
.LBB41_123:                             ; =>This Inner Loop Header: Depth=1
	scratch_load_dwordx2 v[92:93], off, s24
	v_mov_b32_e32 v91, s25
	ds_read_b64 v[94:95], v91
	v_add_u32_e32 v90, -1, v90
	s_add_i32 s25, s25, 8
	s_add_i32 s24, s24, 8
	v_cmp_eq_u32_e32 vcc, 0, v90
	s_or_b64 s[2:3], vcc, s[2:3]
	s_waitcnt vmcnt(0) lgkmcnt(0)
	v_fmac_f64_e32 v[88:89], v[92:93], v[94:95]
	s_andn2_b64 exec, exec, s[2:3]
	s_cbranch_execnz .LBB41_123
; %bb.124:
	s_or_b64 exec, exec, s[2:3]
.LBB41_125:
	s_or_b64 exec, exec, s[8:9]
	v_mov_b32_e32 v90, 0
	ds_read_b64 v[90:91], v90 offset:224
	s_waitcnt lgkmcnt(0)
	v_mul_f64 v[88:89], v[88:89], v[90:91]
	scratch_store_dwordx2 off, v[88:89], off offset:224
.LBB41_126:
	s_or_b64 exec, exec, s[4:5]
	scratch_load_dwordx2 v[88:89], off, off offset:216
	v_cmp_lt_u32_e64 s[2:3], 27, v0
	s_waitcnt vmcnt(0)
	ds_write_b64 v1, v[88:89]
	s_waitcnt lgkmcnt(0)
	; wave barrier
	s_and_saveexec_b64 s[4:5], s[2:3]
	s_cbranch_execz .LBB41_136
; %bb.127:
	s_andn2_b64 vcc, exec, s[6:7]
	s_cbranch_vccnz .LBB41_129
; %bb.128:
	scratch_load_dwordx2 v[88:89], v17, off
	ds_read_b64 v[90:91], v1
	s_waitcnt vmcnt(0) lgkmcnt(0)
	v_mul_f64 v[88:89], v[88:89], v[90:91]
	s_cbranch_execz .LBB41_130
	s_branch .LBB41_131
.LBB41_129:
                                        ; implicit-def: $vgpr88_vgpr89
.LBB41_130:
	ds_read_b64 v[88:89], v1
.LBB41_131:
	s_and_saveexec_b64 s[8:9], s[0:1]
	s_cbranch_execz .LBB41_135
; %bb.132:
	v_subrev_u32_e32 v90, 28, v0
	s_movk_i32 s24, 0x230
	s_mov_b64 s[0:1], 0
.LBB41_133:                             ; =>This Inner Loop Header: Depth=1
	scratch_load_dwordx2 v[92:93], off, s23
	v_mov_b32_e32 v91, s24
	ds_read_b64 v[94:95], v91
	v_add_u32_e32 v90, -1, v90
	s_add_i32 s24, s24, 8
	s_add_i32 s23, s23, 8
	v_cmp_eq_u32_e32 vcc, 0, v90
	s_or_b64 s[0:1], vcc, s[0:1]
	s_waitcnt vmcnt(0) lgkmcnt(0)
	v_fmac_f64_e32 v[88:89], v[92:93], v[94:95]
	s_andn2_b64 exec, exec, s[0:1]
	s_cbranch_execnz .LBB41_133
; %bb.134:
	s_or_b64 exec, exec, s[0:1]
.LBB41_135:
	s_or_b64 exec, exec, s[8:9]
	v_mov_b32_e32 v90, 0
	ds_read_b64 v[90:91], v90 offset:216
	s_waitcnt lgkmcnt(0)
	v_mul_f64 v[88:89], v[88:89], v[90:91]
	scratch_store_dwordx2 off, v[88:89], off offset:216
.LBB41_136:
	s_or_b64 exec, exec, s[4:5]
	scratch_load_dwordx2 v[88:89], off, off offset:208
	v_cmp_lt_u32_e64 s[0:1], 26, v0
	s_waitcnt vmcnt(0)
	ds_write_b64 v1, v[88:89]
	s_waitcnt lgkmcnt(0)
	; wave barrier
	s_and_saveexec_b64 s[4:5], s[0:1]
	s_cbranch_execz .LBB41_146
; %bb.137:
	s_andn2_b64 vcc, exec, s[6:7]
	s_cbranch_vccnz .LBB41_139
; %bb.138:
	scratch_load_dwordx2 v[88:89], v17, off
	ds_read_b64 v[90:91], v1
	s_waitcnt vmcnt(0) lgkmcnt(0)
	v_mul_f64 v[88:89], v[88:89], v[90:91]
	s_cbranch_execz .LBB41_140
	s_branch .LBB41_141
.LBB41_139:
                                        ; implicit-def: $vgpr88_vgpr89
.LBB41_140:
	ds_read_b64 v[88:89], v1
.LBB41_141:
	s_and_saveexec_b64 s[8:9], s[2:3]
	s_cbranch_execz .LBB41_145
; %bb.142:
	s_movk_i32 s23, 0xd8
	v_subrev_u32_e32 v90, 27, v0
	s_movk_i32 s24, 0x228
	s_mov_b64 s[2:3], 0
.LBB41_143:                             ; =>This Inner Loop Header: Depth=1
	scratch_load_dwordx2 v[92:93], off, s23
	v_mov_b32_e32 v91, s24
	ds_read_b64 v[94:95], v91
	v_add_u32_e32 v90, -1, v90
	s_add_i32 s24, s24, 8
	s_add_i32 s23, s23, 8
	v_cmp_eq_u32_e32 vcc, 0, v90
	s_or_b64 s[2:3], vcc, s[2:3]
	s_waitcnt vmcnt(0) lgkmcnt(0)
	v_fmac_f64_e32 v[88:89], v[92:93], v[94:95]
	s_andn2_b64 exec, exec, s[2:3]
	s_cbranch_execnz .LBB41_143
; %bb.144:
	s_or_b64 exec, exec, s[2:3]
.LBB41_145:
	s_or_b64 exec, exec, s[8:9]
	v_mov_b32_e32 v90, 0
	ds_read_b64 v[90:91], v90 offset:208
	s_waitcnt lgkmcnt(0)
	v_mul_f64 v[88:89], v[88:89], v[90:91]
	scratch_store_dwordx2 off, v[88:89], off offset:208
.LBB41_146:
	s_or_b64 exec, exec, s[4:5]
	scratch_load_dwordx2 v[88:89], off, off offset:200
	v_cmp_lt_u32_e64 s[2:3], 25, v0
	s_waitcnt vmcnt(0)
	ds_write_b64 v1, v[88:89]
	s_waitcnt lgkmcnt(0)
	; wave barrier
	s_and_saveexec_b64 s[4:5], s[2:3]
	s_cbranch_execz .LBB41_156
; %bb.147:
	s_andn2_b64 vcc, exec, s[6:7]
	s_cbranch_vccnz .LBB41_149
; %bb.148:
	scratch_load_dwordx2 v[88:89], v17, off
	ds_read_b64 v[90:91], v1
	s_waitcnt vmcnt(0) lgkmcnt(0)
	v_mul_f64 v[88:89], v[88:89], v[90:91]
	s_cbranch_execz .LBB41_150
	s_branch .LBB41_151
.LBB41_149:
                                        ; implicit-def: $vgpr88_vgpr89
.LBB41_150:
	ds_read_b64 v[88:89], v1
.LBB41_151:
	s_and_saveexec_b64 s[8:9], s[0:1]
	s_cbranch_execz .LBB41_155
; %bb.152:
	v_subrev_u32_e32 v90, 26, v0
	s_movk_i32 s23, 0x220
	s_mov_b64 s[0:1], 0
.LBB41_153:                             ; =>This Inner Loop Header: Depth=1
	scratch_load_dwordx2 v[92:93], off, s22
	v_mov_b32_e32 v91, s23
	ds_read_b64 v[94:95], v91
	v_add_u32_e32 v90, -1, v90
	s_add_i32 s23, s23, 8
	s_add_i32 s22, s22, 8
	v_cmp_eq_u32_e32 vcc, 0, v90
	s_or_b64 s[0:1], vcc, s[0:1]
	s_waitcnt vmcnt(0) lgkmcnt(0)
	v_fmac_f64_e32 v[88:89], v[92:93], v[94:95]
	s_andn2_b64 exec, exec, s[0:1]
	s_cbranch_execnz .LBB41_153
; %bb.154:
	s_or_b64 exec, exec, s[0:1]
.LBB41_155:
	s_or_b64 exec, exec, s[8:9]
	v_mov_b32_e32 v90, 0
	ds_read_b64 v[90:91], v90 offset:200
	s_waitcnt lgkmcnt(0)
	v_mul_f64 v[88:89], v[88:89], v[90:91]
	scratch_store_dwordx2 off, v[88:89], off offset:200
.LBB41_156:
	s_or_b64 exec, exec, s[4:5]
	scratch_load_dwordx2 v[88:89], off, off offset:192
	v_cmp_lt_u32_e64 s[0:1], 24, v0
	s_waitcnt vmcnt(0)
	ds_write_b64 v1, v[88:89]
	s_waitcnt lgkmcnt(0)
	; wave barrier
	s_and_saveexec_b64 s[4:5], s[0:1]
	s_cbranch_execz .LBB41_166
; %bb.157:
	s_andn2_b64 vcc, exec, s[6:7]
	s_cbranch_vccnz .LBB41_159
; %bb.158:
	scratch_load_dwordx2 v[88:89], v17, off
	ds_read_b64 v[90:91], v1
	s_waitcnt vmcnt(0) lgkmcnt(0)
	v_mul_f64 v[88:89], v[88:89], v[90:91]
	s_cbranch_execz .LBB41_160
	s_branch .LBB41_161
.LBB41_159:
                                        ; implicit-def: $vgpr88_vgpr89
.LBB41_160:
	ds_read_b64 v[88:89], v1
.LBB41_161:
	s_and_saveexec_b64 s[8:9], s[2:3]
	s_cbranch_execz .LBB41_165
; %bb.162:
	s_movk_i32 s22, 0xc8
	v_subrev_u32_e32 v90, 25, v0
	s_movk_i32 s23, 0x218
	s_mov_b64 s[2:3], 0
.LBB41_163:                             ; =>This Inner Loop Header: Depth=1
	scratch_load_dwordx2 v[92:93], off, s22
	v_mov_b32_e32 v91, s23
	ds_read_b64 v[94:95], v91
	v_add_u32_e32 v90, -1, v90
	s_add_i32 s23, s23, 8
	s_add_i32 s22, s22, 8
	v_cmp_eq_u32_e32 vcc, 0, v90
	s_or_b64 s[2:3], vcc, s[2:3]
	s_waitcnt vmcnt(0) lgkmcnt(0)
	v_fmac_f64_e32 v[88:89], v[92:93], v[94:95]
	s_andn2_b64 exec, exec, s[2:3]
	s_cbranch_execnz .LBB41_163
; %bb.164:
	s_or_b64 exec, exec, s[2:3]
.LBB41_165:
	s_or_b64 exec, exec, s[8:9]
	v_mov_b32_e32 v90, 0
	ds_read_b64 v[90:91], v90 offset:192
	s_waitcnt lgkmcnt(0)
	v_mul_f64 v[88:89], v[88:89], v[90:91]
	scratch_store_dwordx2 off, v[88:89], off offset:192
.LBB41_166:
	s_or_b64 exec, exec, s[4:5]
	scratch_load_dwordx2 v[88:89], off, off offset:184
	v_cmp_lt_u32_e64 s[2:3], 23, v0
	s_waitcnt vmcnt(0)
	ds_write_b64 v1, v[88:89]
	s_waitcnt lgkmcnt(0)
	; wave barrier
	s_and_saveexec_b64 s[4:5], s[2:3]
	s_cbranch_execz .LBB41_176
; %bb.167:
	s_andn2_b64 vcc, exec, s[6:7]
	s_cbranch_vccnz .LBB41_169
; %bb.168:
	scratch_load_dwordx2 v[88:89], v17, off
	ds_read_b64 v[90:91], v1
	s_waitcnt vmcnt(0) lgkmcnt(0)
	v_mul_f64 v[88:89], v[88:89], v[90:91]
	s_cbranch_execz .LBB41_170
	s_branch .LBB41_171
.LBB41_169:
                                        ; implicit-def: $vgpr88_vgpr89
.LBB41_170:
	ds_read_b64 v[88:89], v1
.LBB41_171:
	s_and_saveexec_b64 s[8:9], s[0:1]
	s_cbranch_execz .LBB41_175
; %bb.172:
	v_subrev_u32_e32 v90, 24, v0
	s_movk_i32 s22, 0x210
	s_mov_b64 s[0:1], 0
.LBB41_173:                             ; =>This Inner Loop Header: Depth=1
	scratch_load_dwordx2 v[92:93], off, s21
	v_mov_b32_e32 v91, s22
	ds_read_b64 v[94:95], v91
	v_add_u32_e32 v90, -1, v90
	s_add_i32 s22, s22, 8
	s_add_i32 s21, s21, 8
	v_cmp_eq_u32_e32 vcc, 0, v90
	s_or_b64 s[0:1], vcc, s[0:1]
	s_waitcnt vmcnt(0) lgkmcnt(0)
	v_fmac_f64_e32 v[88:89], v[92:93], v[94:95]
	s_andn2_b64 exec, exec, s[0:1]
	s_cbranch_execnz .LBB41_173
; %bb.174:
	s_or_b64 exec, exec, s[0:1]
.LBB41_175:
	s_or_b64 exec, exec, s[8:9]
	v_mov_b32_e32 v90, 0
	ds_read_b64 v[90:91], v90 offset:184
	s_waitcnt lgkmcnt(0)
	v_mul_f64 v[88:89], v[88:89], v[90:91]
	scratch_store_dwordx2 off, v[88:89], off offset:184
.LBB41_176:
	s_or_b64 exec, exec, s[4:5]
	scratch_load_dwordx2 v[88:89], off, off offset:176
	v_cmp_lt_u32_e64 s[0:1], 22, v0
	s_waitcnt vmcnt(0)
	ds_write_b64 v1, v[88:89]
	s_waitcnt lgkmcnt(0)
	; wave barrier
	s_and_saveexec_b64 s[4:5], s[0:1]
	s_cbranch_execz .LBB41_186
; %bb.177:
	s_andn2_b64 vcc, exec, s[6:7]
	s_cbranch_vccnz .LBB41_179
; %bb.178:
	scratch_load_dwordx2 v[88:89], v17, off
	ds_read_b64 v[90:91], v1
	s_waitcnt vmcnt(0) lgkmcnt(0)
	v_mul_f64 v[88:89], v[88:89], v[90:91]
	s_cbranch_execz .LBB41_180
	s_branch .LBB41_181
.LBB41_179:
                                        ; implicit-def: $vgpr88_vgpr89
.LBB41_180:
	ds_read_b64 v[88:89], v1
.LBB41_181:
	s_and_saveexec_b64 s[8:9], s[2:3]
	s_cbranch_execz .LBB41_185
; %bb.182:
	s_movk_i32 s21, 0xb8
	v_subrev_u32_e32 v90, 23, v0
	s_movk_i32 s22, 0x208
	s_mov_b64 s[2:3], 0
.LBB41_183:                             ; =>This Inner Loop Header: Depth=1
	scratch_load_dwordx2 v[92:93], off, s21
	v_mov_b32_e32 v91, s22
	ds_read_b64 v[94:95], v91
	v_add_u32_e32 v90, -1, v90
	s_add_i32 s22, s22, 8
	s_add_i32 s21, s21, 8
	v_cmp_eq_u32_e32 vcc, 0, v90
	s_or_b64 s[2:3], vcc, s[2:3]
	s_waitcnt vmcnt(0) lgkmcnt(0)
	v_fmac_f64_e32 v[88:89], v[92:93], v[94:95]
	s_andn2_b64 exec, exec, s[2:3]
	s_cbranch_execnz .LBB41_183
; %bb.184:
	s_or_b64 exec, exec, s[2:3]
.LBB41_185:
	s_or_b64 exec, exec, s[8:9]
	v_mov_b32_e32 v90, 0
	ds_read_b64 v[90:91], v90 offset:176
	s_waitcnt lgkmcnt(0)
	v_mul_f64 v[88:89], v[88:89], v[90:91]
	scratch_store_dwordx2 off, v[88:89], off offset:176
.LBB41_186:
	s_or_b64 exec, exec, s[4:5]
	scratch_load_dwordx2 v[88:89], off, off offset:168
	v_cmp_lt_u32_e64 s[2:3], 21, v0
	s_waitcnt vmcnt(0)
	ds_write_b64 v1, v[88:89]
	s_waitcnt lgkmcnt(0)
	; wave barrier
	s_and_saveexec_b64 s[4:5], s[2:3]
	s_cbranch_execz .LBB41_196
; %bb.187:
	s_andn2_b64 vcc, exec, s[6:7]
	s_cbranch_vccnz .LBB41_189
; %bb.188:
	scratch_load_dwordx2 v[88:89], v17, off
	ds_read_b64 v[90:91], v1
	s_waitcnt vmcnt(0) lgkmcnt(0)
	v_mul_f64 v[88:89], v[88:89], v[90:91]
	s_cbranch_execz .LBB41_190
	s_branch .LBB41_191
.LBB41_189:
                                        ; implicit-def: $vgpr88_vgpr89
.LBB41_190:
	ds_read_b64 v[88:89], v1
.LBB41_191:
	s_and_saveexec_b64 s[8:9], s[0:1]
	s_cbranch_execz .LBB41_195
; %bb.192:
	v_subrev_u32_e32 v90, 22, v0
	s_movk_i32 s21, 0x200
	s_mov_b64 s[0:1], 0
.LBB41_193:                             ; =>This Inner Loop Header: Depth=1
	scratch_load_dwordx2 v[92:93], off, s20
	v_mov_b32_e32 v91, s21
	ds_read_b64 v[94:95], v91
	v_add_u32_e32 v90, -1, v90
	s_add_i32 s21, s21, 8
	s_add_i32 s20, s20, 8
	v_cmp_eq_u32_e32 vcc, 0, v90
	s_or_b64 s[0:1], vcc, s[0:1]
	s_waitcnt vmcnt(0) lgkmcnt(0)
	v_fmac_f64_e32 v[88:89], v[92:93], v[94:95]
	s_andn2_b64 exec, exec, s[0:1]
	s_cbranch_execnz .LBB41_193
; %bb.194:
	s_or_b64 exec, exec, s[0:1]
.LBB41_195:
	s_or_b64 exec, exec, s[8:9]
	v_mov_b32_e32 v90, 0
	ds_read_b64 v[90:91], v90 offset:168
	s_waitcnt lgkmcnt(0)
	v_mul_f64 v[88:89], v[88:89], v[90:91]
	scratch_store_dwordx2 off, v[88:89], off offset:168
.LBB41_196:
	s_or_b64 exec, exec, s[4:5]
	scratch_load_dwordx2 v[88:89], off, off offset:160
	v_cmp_lt_u32_e64 s[0:1], 20, v0
	s_waitcnt vmcnt(0)
	ds_write_b64 v1, v[88:89]
	s_waitcnt lgkmcnt(0)
	; wave barrier
	s_and_saveexec_b64 s[4:5], s[0:1]
	s_cbranch_execz .LBB41_206
; %bb.197:
	s_andn2_b64 vcc, exec, s[6:7]
	s_cbranch_vccnz .LBB41_199
; %bb.198:
	scratch_load_dwordx2 v[88:89], v17, off
	ds_read_b64 v[90:91], v1
	s_waitcnt vmcnt(0) lgkmcnt(0)
	v_mul_f64 v[88:89], v[88:89], v[90:91]
	s_cbranch_execz .LBB41_200
	s_branch .LBB41_201
.LBB41_199:
                                        ; implicit-def: $vgpr88_vgpr89
.LBB41_200:
	ds_read_b64 v[88:89], v1
.LBB41_201:
	s_and_saveexec_b64 s[8:9], s[2:3]
	s_cbranch_execz .LBB41_205
; %bb.202:
	s_movk_i32 s20, 0xa8
	v_subrev_u32_e32 v90, 21, v0
	s_movk_i32 s21, 0x1f8
	s_mov_b64 s[2:3], 0
.LBB41_203:                             ; =>This Inner Loop Header: Depth=1
	scratch_load_dwordx2 v[92:93], off, s20
	v_mov_b32_e32 v91, s21
	ds_read_b64 v[94:95], v91
	v_add_u32_e32 v90, -1, v90
	s_add_i32 s21, s21, 8
	s_add_i32 s20, s20, 8
	v_cmp_eq_u32_e32 vcc, 0, v90
	s_or_b64 s[2:3], vcc, s[2:3]
	s_waitcnt vmcnt(0) lgkmcnt(0)
	v_fmac_f64_e32 v[88:89], v[92:93], v[94:95]
	s_andn2_b64 exec, exec, s[2:3]
	s_cbranch_execnz .LBB41_203
; %bb.204:
	s_or_b64 exec, exec, s[2:3]
.LBB41_205:
	s_or_b64 exec, exec, s[8:9]
	v_mov_b32_e32 v90, 0
	ds_read_b64 v[90:91], v90 offset:160
	s_waitcnt lgkmcnt(0)
	v_mul_f64 v[88:89], v[88:89], v[90:91]
	scratch_store_dwordx2 off, v[88:89], off offset:160
.LBB41_206:
	s_or_b64 exec, exec, s[4:5]
	scratch_load_dwordx2 v[88:89], off, off offset:152
	v_cmp_lt_u32_e64 s[2:3], 19, v0
	s_waitcnt vmcnt(0)
	ds_write_b64 v1, v[88:89]
	s_waitcnt lgkmcnt(0)
	; wave barrier
	s_and_saveexec_b64 s[4:5], s[2:3]
	s_cbranch_execz .LBB41_216
; %bb.207:
	s_andn2_b64 vcc, exec, s[6:7]
	s_cbranch_vccnz .LBB41_209
; %bb.208:
	scratch_load_dwordx2 v[88:89], v17, off
	ds_read_b64 v[90:91], v1
	s_waitcnt vmcnt(0) lgkmcnt(0)
	v_mul_f64 v[88:89], v[88:89], v[90:91]
	s_cbranch_execz .LBB41_210
	s_branch .LBB41_211
.LBB41_209:
                                        ; implicit-def: $vgpr88_vgpr89
.LBB41_210:
	ds_read_b64 v[88:89], v1
.LBB41_211:
	s_and_saveexec_b64 s[8:9], s[0:1]
	s_cbranch_execz .LBB41_215
; %bb.212:
	v_subrev_u32_e32 v90, 20, v0
	s_movk_i32 s20, 0x1f0
	s_mov_b64 s[0:1], 0
.LBB41_213:                             ; =>This Inner Loop Header: Depth=1
	scratch_load_dwordx2 v[92:93], off, s19
	v_mov_b32_e32 v91, s20
	ds_read_b64 v[94:95], v91
	v_add_u32_e32 v90, -1, v90
	s_add_i32 s20, s20, 8
	s_add_i32 s19, s19, 8
	v_cmp_eq_u32_e32 vcc, 0, v90
	s_or_b64 s[0:1], vcc, s[0:1]
	s_waitcnt vmcnt(0) lgkmcnt(0)
	v_fmac_f64_e32 v[88:89], v[92:93], v[94:95]
	s_andn2_b64 exec, exec, s[0:1]
	s_cbranch_execnz .LBB41_213
; %bb.214:
	s_or_b64 exec, exec, s[0:1]
.LBB41_215:
	s_or_b64 exec, exec, s[8:9]
	v_mov_b32_e32 v90, 0
	ds_read_b64 v[90:91], v90 offset:152
	s_waitcnt lgkmcnt(0)
	v_mul_f64 v[88:89], v[88:89], v[90:91]
	scratch_store_dwordx2 off, v[88:89], off offset:152
.LBB41_216:
	s_or_b64 exec, exec, s[4:5]
	scratch_load_dwordx2 v[88:89], off, off offset:144
	v_cmp_lt_u32_e64 s[0:1], 18, v0
	s_waitcnt vmcnt(0)
	ds_write_b64 v1, v[88:89]
	s_waitcnt lgkmcnt(0)
	; wave barrier
	s_and_saveexec_b64 s[4:5], s[0:1]
	s_cbranch_execz .LBB41_226
; %bb.217:
	s_andn2_b64 vcc, exec, s[6:7]
	s_cbranch_vccnz .LBB41_219
; %bb.218:
	scratch_load_dwordx2 v[88:89], v17, off
	ds_read_b64 v[90:91], v1
	s_waitcnt vmcnt(0) lgkmcnt(0)
	v_mul_f64 v[88:89], v[88:89], v[90:91]
	s_cbranch_execz .LBB41_220
	s_branch .LBB41_221
.LBB41_219:
                                        ; implicit-def: $vgpr88_vgpr89
.LBB41_220:
	ds_read_b64 v[88:89], v1
.LBB41_221:
	s_and_saveexec_b64 s[8:9], s[2:3]
	s_cbranch_execz .LBB41_225
; %bb.222:
	s_movk_i32 s19, 0x98
	v_subrev_u32_e32 v90, 19, v0
	s_movk_i32 s20, 0x1e8
	s_mov_b64 s[2:3], 0
.LBB41_223:                             ; =>This Inner Loop Header: Depth=1
	scratch_load_dwordx2 v[92:93], off, s19
	v_mov_b32_e32 v91, s20
	ds_read_b64 v[94:95], v91
	v_add_u32_e32 v90, -1, v90
	s_add_i32 s20, s20, 8
	s_add_i32 s19, s19, 8
	v_cmp_eq_u32_e32 vcc, 0, v90
	s_or_b64 s[2:3], vcc, s[2:3]
	s_waitcnt vmcnt(0) lgkmcnt(0)
	v_fmac_f64_e32 v[88:89], v[92:93], v[94:95]
	s_andn2_b64 exec, exec, s[2:3]
	s_cbranch_execnz .LBB41_223
; %bb.224:
	s_or_b64 exec, exec, s[2:3]
.LBB41_225:
	s_or_b64 exec, exec, s[8:9]
	v_mov_b32_e32 v90, 0
	ds_read_b64 v[90:91], v90 offset:144
	s_waitcnt lgkmcnt(0)
	v_mul_f64 v[88:89], v[88:89], v[90:91]
	scratch_store_dwordx2 off, v[88:89], off offset:144
.LBB41_226:
	s_or_b64 exec, exec, s[4:5]
	scratch_load_dwordx2 v[88:89], off, off offset:136
	v_cmp_lt_u32_e64 s[2:3], 17, v0
	s_waitcnt vmcnt(0)
	ds_write_b64 v1, v[88:89]
	s_waitcnt lgkmcnt(0)
	; wave barrier
	s_and_saveexec_b64 s[4:5], s[2:3]
	s_cbranch_execz .LBB41_236
; %bb.227:
	s_andn2_b64 vcc, exec, s[6:7]
	s_cbranch_vccnz .LBB41_229
; %bb.228:
	scratch_load_dwordx2 v[88:89], v17, off
	ds_read_b64 v[90:91], v1
	s_waitcnt vmcnt(0) lgkmcnt(0)
	v_mul_f64 v[88:89], v[88:89], v[90:91]
	s_cbranch_execz .LBB41_230
	s_branch .LBB41_231
.LBB41_229:
                                        ; implicit-def: $vgpr88_vgpr89
.LBB41_230:
	ds_read_b64 v[88:89], v1
.LBB41_231:
	s_and_saveexec_b64 s[8:9], s[0:1]
	s_cbranch_execz .LBB41_235
; %bb.232:
	v_subrev_u32_e32 v90, 18, v0
	s_movk_i32 s19, 0x1e0
	s_mov_b64 s[0:1], 0
.LBB41_233:                             ; =>This Inner Loop Header: Depth=1
	scratch_load_dwordx2 v[92:93], off, s18
	v_mov_b32_e32 v91, s19
	ds_read_b64 v[94:95], v91
	v_add_u32_e32 v90, -1, v90
	s_add_i32 s19, s19, 8
	s_add_i32 s18, s18, 8
	v_cmp_eq_u32_e32 vcc, 0, v90
	s_or_b64 s[0:1], vcc, s[0:1]
	s_waitcnt vmcnt(0) lgkmcnt(0)
	v_fmac_f64_e32 v[88:89], v[92:93], v[94:95]
	s_andn2_b64 exec, exec, s[0:1]
	s_cbranch_execnz .LBB41_233
; %bb.234:
	s_or_b64 exec, exec, s[0:1]
.LBB41_235:
	s_or_b64 exec, exec, s[8:9]
	v_mov_b32_e32 v90, 0
	ds_read_b64 v[90:91], v90 offset:136
	s_waitcnt lgkmcnt(0)
	v_mul_f64 v[88:89], v[88:89], v[90:91]
	scratch_store_dwordx2 off, v[88:89], off offset:136
.LBB41_236:
	s_or_b64 exec, exec, s[4:5]
	scratch_load_dwordx2 v[88:89], off, off offset:128
	v_cmp_lt_u32_e64 s[0:1], 16, v0
	s_waitcnt vmcnt(0)
	ds_write_b64 v1, v[88:89]
	s_waitcnt lgkmcnt(0)
	; wave barrier
	s_and_saveexec_b64 s[4:5], s[0:1]
	s_cbranch_execz .LBB41_246
; %bb.237:
	s_andn2_b64 vcc, exec, s[6:7]
	s_cbranch_vccnz .LBB41_239
; %bb.238:
	scratch_load_dwordx2 v[88:89], v17, off
	ds_read_b64 v[90:91], v1
	s_waitcnt vmcnt(0) lgkmcnt(0)
	v_mul_f64 v[88:89], v[88:89], v[90:91]
	s_cbranch_execz .LBB41_240
	s_branch .LBB41_241
.LBB41_239:
                                        ; implicit-def: $vgpr88_vgpr89
.LBB41_240:
	ds_read_b64 v[88:89], v1
.LBB41_241:
	s_and_saveexec_b64 s[8:9], s[2:3]
	s_cbranch_execz .LBB41_245
; %bb.242:
	s_movk_i32 s18, 0x88
	v_subrev_u32_e32 v90, 17, v0
	s_movk_i32 s19, 0x1d8
	s_mov_b64 s[2:3], 0
.LBB41_243:                             ; =>This Inner Loop Header: Depth=1
	scratch_load_dwordx2 v[92:93], off, s18
	v_mov_b32_e32 v91, s19
	ds_read_b64 v[94:95], v91
	v_add_u32_e32 v90, -1, v90
	s_add_i32 s19, s19, 8
	s_add_i32 s18, s18, 8
	v_cmp_eq_u32_e32 vcc, 0, v90
	s_or_b64 s[2:3], vcc, s[2:3]
	s_waitcnt vmcnt(0) lgkmcnt(0)
	v_fmac_f64_e32 v[88:89], v[92:93], v[94:95]
	s_andn2_b64 exec, exec, s[2:3]
	s_cbranch_execnz .LBB41_243
; %bb.244:
	s_or_b64 exec, exec, s[2:3]
.LBB41_245:
	s_or_b64 exec, exec, s[8:9]
	v_mov_b32_e32 v90, 0
	ds_read_b64 v[90:91], v90 offset:128
	s_waitcnt lgkmcnt(0)
	v_mul_f64 v[88:89], v[88:89], v[90:91]
	scratch_store_dwordx2 off, v[88:89], off offset:128
.LBB41_246:
	s_or_b64 exec, exec, s[4:5]
	scratch_load_dwordx2 v[88:89], off, off offset:120
	v_cmp_lt_u32_e64 s[2:3], 15, v0
	s_waitcnt vmcnt(0)
	ds_write_b64 v1, v[88:89]
	s_waitcnt lgkmcnt(0)
	; wave barrier
	s_and_saveexec_b64 s[4:5], s[2:3]
	s_cbranch_execz .LBB41_256
; %bb.247:
	s_andn2_b64 vcc, exec, s[6:7]
	s_cbranch_vccnz .LBB41_249
; %bb.248:
	scratch_load_dwordx2 v[88:89], v17, off
	ds_read_b64 v[90:91], v1
	s_waitcnt vmcnt(0) lgkmcnt(0)
	v_mul_f64 v[88:89], v[88:89], v[90:91]
	s_cbranch_execz .LBB41_250
	s_branch .LBB41_251
.LBB41_249:
                                        ; implicit-def: $vgpr88_vgpr89
.LBB41_250:
	ds_read_b64 v[88:89], v1
.LBB41_251:
	s_and_saveexec_b64 s[8:9], s[0:1]
	s_cbranch_execz .LBB41_255
; %bb.252:
	v_add_u32_e32 v90, -16, v0
	s_movk_i32 s18, 0x1d0
	s_mov_b64 s[0:1], 0
.LBB41_253:                             ; =>This Inner Loop Header: Depth=1
	scratch_load_dwordx2 v[92:93], off, s17
	v_mov_b32_e32 v91, s18
	ds_read_b64 v[94:95], v91
	v_add_u32_e32 v90, -1, v90
	s_add_i32 s18, s18, 8
	s_add_i32 s17, s17, 8
	v_cmp_eq_u32_e32 vcc, 0, v90
	s_or_b64 s[0:1], vcc, s[0:1]
	s_waitcnt vmcnt(0) lgkmcnt(0)
	v_fmac_f64_e32 v[88:89], v[92:93], v[94:95]
	s_andn2_b64 exec, exec, s[0:1]
	s_cbranch_execnz .LBB41_253
; %bb.254:
	s_or_b64 exec, exec, s[0:1]
.LBB41_255:
	s_or_b64 exec, exec, s[8:9]
	v_mov_b32_e32 v90, 0
	ds_read_b64 v[90:91], v90 offset:120
	s_waitcnt lgkmcnt(0)
	v_mul_f64 v[88:89], v[88:89], v[90:91]
	scratch_store_dwordx2 off, v[88:89], off offset:120
.LBB41_256:
	s_or_b64 exec, exec, s[4:5]
	scratch_load_dwordx2 v[88:89], off, off offset:112
	v_cmp_lt_u32_e64 s[0:1], 14, v0
	s_waitcnt vmcnt(0)
	ds_write_b64 v1, v[88:89]
	s_waitcnt lgkmcnt(0)
	; wave barrier
	s_and_saveexec_b64 s[4:5], s[0:1]
	s_cbranch_execz .LBB41_266
; %bb.257:
	s_andn2_b64 vcc, exec, s[6:7]
	s_cbranch_vccnz .LBB41_259
; %bb.258:
	scratch_load_dwordx2 v[88:89], v17, off
	ds_read_b64 v[90:91], v1
	s_waitcnt vmcnt(0) lgkmcnt(0)
	v_mul_f64 v[88:89], v[88:89], v[90:91]
	s_cbranch_execz .LBB41_260
	s_branch .LBB41_261
.LBB41_259:
                                        ; implicit-def: $vgpr88_vgpr89
.LBB41_260:
	ds_read_b64 v[88:89], v1
.LBB41_261:
	s_and_saveexec_b64 s[8:9], s[2:3]
	s_cbranch_execz .LBB41_265
; %bb.262:
	s_movk_i32 s17, 0x78
	v_add_u32_e32 v90, -15, v0
	s_movk_i32 s18, 0x1c8
	s_mov_b64 s[2:3], 0
.LBB41_263:                             ; =>This Inner Loop Header: Depth=1
	scratch_load_dwordx2 v[92:93], off, s17
	v_mov_b32_e32 v91, s18
	ds_read_b64 v[94:95], v91
	v_add_u32_e32 v90, -1, v90
	s_add_i32 s18, s18, 8
	s_add_i32 s17, s17, 8
	v_cmp_eq_u32_e32 vcc, 0, v90
	s_or_b64 s[2:3], vcc, s[2:3]
	s_waitcnt vmcnt(0) lgkmcnt(0)
	v_fmac_f64_e32 v[88:89], v[92:93], v[94:95]
	s_andn2_b64 exec, exec, s[2:3]
	s_cbranch_execnz .LBB41_263
; %bb.264:
	s_or_b64 exec, exec, s[2:3]
.LBB41_265:
	s_or_b64 exec, exec, s[8:9]
	v_mov_b32_e32 v90, 0
	ds_read_b64 v[90:91], v90 offset:112
	s_waitcnt lgkmcnt(0)
	v_mul_f64 v[88:89], v[88:89], v[90:91]
	scratch_store_dwordx2 off, v[88:89], off offset:112
.LBB41_266:
	s_or_b64 exec, exec, s[4:5]
	scratch_load_dwordx2 v[88:89], off, off offset:104
	v_cmp_lt_u32_e64 s[2:3], 13, v0
	s_waitcnt vmcnt(0)
	ds_write_b64 v1, v[88:89]
	s_waitcnt lgkmcnt(0)
	; wave barrier
	s_and_saveexec_b64 s[4:5], s[2:3]
	s_cbranch_execz .LBB41_276
; %bb.267:
	s_andn2_b64 vcc, exec, s[6:7]
	s_cbranch_vccnz .LBB41_269
; %bb.268:
	scratch_load_dwordx2 v[88:89], v17, off
	ds_read_b64 v[90:91], v1
	s_waitcnt vmcnt(0) lgkmcnt(0)
	v_mul_f64 v[88:89], v[88:89], v[90:91]
	s_cbranch_execz .LBB41_270
	s_branch .LBB41_271
.LBB41_269:
                                        ; implicit-def: $vgpr88_vgpr89
.LBB41_270:
	ds_read_b64 v[88:89], v1
.LBB41_271:
	s_and_saveexec_b64 s[8:9], s[0:1]
	s_cbranch_execz .LBB41_275
; %bb.272:
	v_add_u32_e32 v90, -14, v0
	s_movk_i32 s17, 0x1c0
	s_mov_b64 s[0:1], 0
.LBB41_273:                             ; =>This Inner Loop Header: Depth=1
	scratch_load_dwordx2 v[92:93], off, s16
	v_mov_b32_e32 v91, s17
	ds_read_b64 v[94:95], v91
	v_add_u32_e32 v90, -1, v90
	s_add_i32 s17, s17, 8
	s_add_i32 s16, s16, 8
	v_cmp_eq_u32_e32 vcc, 0, v90
	s_or_b64 s[0:1], vcc, s[0:1]
	s_waitcnt vmcnt(0) lgkmcnt(0)
	v_fmac_f64_e32 v[88:89], v[92:93], v[94:95]
	s_andn2_b64 exec, exec, s[0:1]
	s_cbranch_execnz .LBB41_273
; %bb.274:
	s_or_b64 exec, exec, s[0:1]
.LBB41_275:
	s_or_b64 exec, exec, s[8:9]
	v_mov_b32_e32 v90, 0
	ds_read_b64 v[90:91], v90 offset:104
	s_waitcnt lgkmcnt(0)
	v_mul_f64 v[88:89], v[88:89], v[90:91]
	scratch_store_dwordx2 off, v[88:89], off offset:104
.LBB41_276:
	s_or_b64 exec, exec, s[4:5]
	scratch_load_dwordx2 v[88:89], off, off offset:96
	v_cmp_lt_u32_e64 s[0:1], 12, v0
	s_waitcnt vmcnt(0)
	ds_write_b64 v1, v[88:89]
	s_waitcnt lgkmcnt(0)
	; wave barrier
	s_and_saveexec_b64 s[4:5], s[0:1]
	s_cbranch_execz .LBB41_286
; %bb.277:
	s_andn2_b64 vcc, exec, s[6:7]
	s_cbranch_vccnz .LBB41_279
; %bb.278:
	scratch_load_dwordx2 v[88:89], v17, off
	ds_read_b64 v[90:91], v1
	s_waitcnt vmcnt(0) lgkmcnt(0)
	v_mul_f64 v[88:89], v[88:89], v[90:91]
	s_cbranch_execz .LBB41_280
	s_branch .LBB41_281
.LBB41_279:
                                        ; implicit-def: $vgpr88_vgpr89
.LBB41_280:
	ds_read_b64 v[88:89], v1
.LBB41_281:
	s_and_saveexec_b64 s[8:9], s[2:3]
	s_cbranch_execz .LBB41_285
; %bb.282:
	s_movk_i32 s16, 0x68
	v_add_u32_e32 v90, -13, v0
	s_movk_i32 s17, 0x1b8
	s_mov_b64 s[2:3], 0
.LBB41_283:                             ; =>This Inner Loop Header: Depth=1
	scratch_load_dwordx2 v[92:93], off, s16
	v_mov_b32_e32 v91, s17
	ds_read_b64 v[94:95], v91
	v_add_u32_e32 v90, -1, v90
	s_add_i32 s17, s17, 8
	s_add_i32 s16, s16, 8
	v_cmp_eq_u32_e32 vcc, 0, v90
	s_or_b64 s[2:3], vcc, s[2:3]
	s_waitcnt vmcnt(0) lgkmcnt(0)
	v_fmac_f64_e32 v[88:89], v[92:93], v[94:95]
	s_andn2_b64 exec, exec, s[2:3]
	s_cbranch_execnz .LBB41_283
; %bb.284:
	s_or_b64 exec, exec, s[2:3]
.LBB41_285:
	s_or_b64 exec, exec, s[8:9]
	v_mov_b32_e32 v90, 0
	ds_read_b64 v[90:91], v90 offset:96
	s_waitcnt lgkmcnt(0)
	v_mul_f64 v[88:89], v[88:89], v[90:91]
	scratch_store_dwordx2 off, v[88:89], off offset:96
.LBB41_286:
	s_or_b64 exec, exec, s[4:5]
	scratch_load_dwordx2 v[88:89], off, off offset:88
	v_cmp_lt_u32_e64 s[2:3], 11, v0
	s_waitcnt vmcnt(0)
	ds_write_b64 v1, v[88:89]
	s_waitcnt lgkmcnt(0)
	; wave barrier
	s_and_saveexec_b64 s[4:5], s[2:3]
	s_cbranch_execz .LBB41_296
; %bb.287:
	s_andn2_b64 vcc, exec, s[6:7]
	s_cbranch_vccnz .LBB41_289
; %bb.288:
	scratch_load_dwordx2 v[88:89], v17, off
	ds_read_b64 v[90:91], v1
	s_waitcnt vmcnt(0) lgkmcnt(0)
	v_mul_f64 v[88:89], v[88:89], v[90:91]
	s_cbranch_execz .LBB41_290
	s_branch .LBB41_291
.LBB41_289:
                                        ; implicit-def: $vgpr88_vgpr89
.LBB41_290:
	ds_read_b64 v[88:89], v1
.LBB41_291:
	s_and_saveexec_b64 s[8:9], s[0:1]
	s_cbranch_execz .LBB41_295
; %bb.292:
	v_add_u32_e32 v90, -12, v0
	s_movk_i32 s16, 0x1b0
	s_mov_b64 s[0:1], 0
.LBB41_293:                             ; =>This Inner Loop Header: Depth=1
	scratch_load_dwordx2 v[92:93], off, s15
	v_mov_b32_e32 v91, s16
	ds_read_b64 v[94:95], v91
	v_add_u32_e32 v90, -1, v90
	s_add_i32 s16, s16, 8
	s_add_i32 s15, s15, 8
	v_cmp_eq_u32_e32 vcc, 0, v90
	s_or_b64 s[0:1], vcc, s[0:1]
	s_waitcnt vmcnt(0) lgkmcnt(0)
	v_fmac_f64_e32 v[88:89], v[92:93], v[94:95]
	s_andn2_b64 exec, exec, s[0:1]
	s_cbranch_execnz .LBB41_293
; %bb.294:
	s_or_b64 exec, exec, s[0:1]
.LBB41_295:
	s_or_b64 exec, exec, s[8:9]
	v_mov_b32_e32 v90, 0
	ds_read_b64 v[90:91], v90 offset:88
	s_waitcnt lgkmcnt(0)
	v_mul_f64 v[88:89], v[88:89], v[90:91]
	scratch_store_dwordx2 off, v[88:89], off offset:88
.LBB41_296:
	s_or_b64 exec, exec, s[4:5]
	scratch_load_dwordx2 v[88:89], off, off offset:80
	v_cmp_lt_u32_e64 s[0:1], 10, v0
	s_waitcnt vmcnt(0)
	ds_write_b64 v1, v[88:89]
	s_waitcnt lgkmcnt(0)
	; wave barrier
	s_and_saveexec_b64 s[4:5], s[0:1]
	s_cbranch_execz .LBB41_306
; %bb.297:
	s_andn2_b64 vcc, exec, s[6:7]
	s_cbranch_vccnz .LBB41_299
; %bb.298:
	scratch_load_dwordx2 v[88:89], v17, off
	ds_read_b64 v[90:91], v1
	s_waitcnt vmcnt(0) lgkmcnt(0)
	v_mul_f64 v[88:89], v[88:89], v[90:91]
	s_cbranch_execz .LBB41_300
	s_branch .LBB41_301
.LBB41_299:
                                        ; implicit-def: $vgpr88_vgpr89
.LBB41_300:
	ds_read_b64 v[88:89], v1
.LBB41_301:
	s_and_saveexec_b64 s[8:9], s[2:3]
	s_cbranch_execz .LBB41_305
; %bb.302:
	s_movk_i32 s15, 0x58
	v_add_u32_e32 v90, -11, v0
	s_movk_i32 s16, 0x1a8
	s_mov_b64 s[2:3], 0
.LBB41_303:                             ; =>This Inner Loop Header: Depth=1
	scratch_load_dwordx2 v[92:93], off, s15
	v_mov_b32_e32 v91, s16
	ds_read_b64 v[94:95], v91
	v_add_u32_e32 v90, -1, v90
	s_add_i32 s16, s16, 8
	s_add_i32 s15, s15, 8
	v_cmp_eq_u32_e32 vcc, 0, v90
	s_or_b64 s[2:3], vcc, s[2:3]
	s_waitcnt vmcnt(0) lgkmcnt(0)
	v_fmac_f64_e32 v[88:89], v[92:93], v[94:95]
	s_andn2_b64 exec, exec, s[2:3]
	s_cbranch_execnz .LBB41_303
; %bb.304:
	s_or_b64 exec, exec, s[2:3]
.LBB41_305:
	s_or_b64 exec, exec, s[8:9]
	v_mov_b32_e32 v90, 0
	ds_read_b64 v[90:91], v90 offset:80
	s_waitcnt lgkmcnt(0)
	v_mul_f64 v[88:89], v[88:89], v[90:91]
	scratch_store_dwordx2 off, v[88:89], off offset:80
.LBB41_306:
	s_or_b64 exec, exec, s[4:5]
	scratch_load_dwordx2 v[88:89], off, off offset:72
	v_cmp_lt_u32_e64 s[2:3], 9, v0
	s_waitcnt vmcnt(0)
	ds_write_b64 v1, v[88:89]
	s_waitcnt lgkmcnt(0)
	; wave barrier
	s_and_saveexec_b64 s[4:5], s[2:3]
	s_cbranch_execz .LBB41_316
; %bb.307:
	s_andn2_b64 vcc, exec, s[6:7]
	s_cbranch_vccnz .LBB41_309
; %bb.308:
	scratch_load_dwordx2 v[88:89], v17, off
	ds_read_b64 v[90:91], v1
	s_waitcnt vmcnt(0) lgkmcnt(0)
	v_mul_f64 v[88:89], v[88:89], v[90:91]
	s_cbranch_execz .LBB41_310
	s_branch .LBB41_311
.LBB41_309:
                                        ; implicit-def: $vgpr88_vgpr89
.LBB41_310:
	ds_read_b64 v[88:89], v1
.LBB41_311:
	s_and_saveexec_b64 s[8:9], s[0:1]
	s_cbranch_execz .LBB41_315
; %bb.312:
	v_add_u32_e32 v90, -10, v0
	s_movk_i32 s15, 0x1a0
	s_mov_b64 s[0:1], 0
.LBB41_313:                             ; =>This Inner Loop Header: Depth=1
	scratch_load_dwordx2 v[92:93], off, s14
	v_mov_b32_e32 v91, s15
	ds_read_b64 v[94:95], v91
	v_add_u32_e32 v90, -1, v90
	s_add_i32 s15, s15, 8
	s_add_i32 s14, s14, 8
	v_cmp_eq_u32_e32 vcc, 0, v90
	s_or_b64 s[0:1], vcc, s[0:1]
	s_waitcnt vmcnt(0) lgkmcnt(0)
	v_fmac_f64_e32 v[88:89], v[92:93], v[94:95]
	s_andn2_b64 exec, exec, s[0:1]
	s_cbranch_execnz .LBB41_313
; %bb.314:
	s_or_b64 exec, exec, s[0:1]
.LBB41_315:
	s_or_b64 exec, exec, s[8:9]
	v_mov_b32_e32 v90, 0
	ds_read_b64 v[90:91], v90 offset:72
	s_waitcnt lgkmcnt(0)
	v_mul_f64 v[88:89], v[88:89], v[90:91]
	scratch_store_dwordx2 off, v[88:89], off offset:72
.LBB41_316:
	s_or_b64 exec, exec, s[4:5]
	scratch_load_dwordx2 v[88:89], off, off offset:64
	v_cmp_lt_u32_e64 s[0:1], 8, v0
	s_waitcnt vmcnt(0)
	ds_write_b64 v1, v[88:89]
	s_waitcnt lgkmcnt(0)
	; wave barrier
	s_and_saveexec_b64 s[4:5], s[0:1]
	s_cbranch_execz .LBB41_326
; %bb.317:
	s_andn2_b64 vcc, exec, s[6:7]
	s_cbranch_vccnz .LBB41_319
; %bb.318:
	scratch_load_dwordx2 v[88:89], v17, off
	ds_read_b64 v[90:91], v1
	s_waitcnt vmcnt(0) lgkmcnt(0)
	v_mul_f64 v[88:89], v[88:89], v[90:91]
	s_cbranch_execz .LBB41_320
	s_branch .LBB41_321
.LBB41_319:
                                        ; implicit-def: $vgpr88_vgpr89
.LBB41_320:
	ds_read_b64 v[88:89], v1
.LBB41_321:
	s_and_saveexec_b64 s[8:9], s[2:3]
	s_cbranch_execz .LBB41_325
; %bb.322:
	s_movk_i32 s14, 0x48
	v_add_u32_e32 v90, -9, v0
	s_movk_i32 s15, 0x198
	s_mov_b64 s[2:3], 0
.LBB41_323:                             ; =>This Inner Loop Header: Depth=1
	scratch_load_dwordx2 v[92:93], off, s14
	v_mov_b32_e32 v91, s15
	ds_read_b64 v[94:95], v91
	v_add_u32_e32 v90, -1, v90
	s_add_i32 s15, s15, 8
	s_add_i32 s14, s14, 8
	v_cmp_eq_u32_e32 vcc, 0, v90
	s_or_b64 s[2:3], vcc, s[2:3]
	s_waitcnt vmcnt(0) lgkmcnt(0)
	v_fmac_f64_e32 v[88:89], v[92:93], v[94:95]
	s_andn2_b64 exec, exec, s[2:3]
	s_cbranch_execnz .LBB41_323
; %bb.324:
	s_or_b64 exec, exec, s[2:3]
.LBB41_325:
	s_or_b64 exec, exec, s[8:9]
	v_mov_b32_e32 v90, 0
	ds_read_b64 v[90:91], v90 offset:64
	s_waitcnt lgkmcnt(0)
	v_mul_f64 v[88:89], v[88:89], v[90:91]
	scratch_store_dwordx2 off, v[88:89], off offset:64
.LBB41_326:
	s_or_b64 exec, exec, s[4:5]
	scratch_load_dwordx2 v[88:89], off, off offset:56
	v_cmp_lt_u32_e64 s[2:3], 7, v0
	s_waitcnt vmcnt(0)
	ds_write_b64 v1, v[88:89]
	s_waitcnt lgkmcnt(0)
	; wave barrier
	s_and_saveexec_b64 s[4:5], s[2:3]
	s_cbranch_execz .LBB41_336
; %bb.327:
	s_andn2_b64 vcc, exec, s[6:7]
	s_cbranch_vccnz .LBB41_329
; %bb.328:
	scratch_load_dwordx2 v[88:89], v17, off
	ds_read_b64 v[90:91], v1
	s_waitcnt vmcnt(0) lgkmcnt(0)
	v_mul_f64 v[88:89], v[88:89], v[90:91]
	s_cbranch_execz .LBB41_330
	s_branch .LBB41_331
.LBB41_329:
                                        ; implicit-def: $vgpr88_vgpr89
.LBB41_330:
	ds_read_b64 v[88:89], v1
.LBB41_331:
	s_and_saveexec_b64 s[8:9], s[0:1]
	s_cbranch_execz .LBB41_335
; %bb.332:
	v_add_u32_e32 v90, -8, v0
	s_movk_i32 s14, 0x190
	s_mov_b64 s[0:1], 0
.LBB41_333:                             ; =>This Inner Loop Header: Depth=1
	scratch_load_dwordx2 v[92:93], off, s13
	v_mov_b32_e32 v91, s14
	ds_read_b64 v[94:95], v91
	v_add_u32_e32 v90, -1, v90
	s_add_i32 s14, s14, 8
	s_add_i32 s13, s13, 8
	v_cmp_eq_u32_e32 vcc, 0, v90
	s_or_b64 s[0:1], vcc, s[0:1]
	s_waitcnt vmcnt(0) lgkmcnt(0)
	v_fmac_f64_e32 v[88:89], v[92:93], v[94:95]
	s_andn2_b64 exec, exec, s[0:1]
	s_cbranch_execnz .LBB41_333
; %bb.334:
	s_or_b64 exec, exec, s[0:1]
.LBB41_335:
	s_or_b64 exec, exec, s[8:9]
	v_mov_b32_e32 v90, 0
	ds_read_b64 v[90:91], v90 offset:56
	s_waitcnt lgkmcnt(0)
	v_mul_f64 v[88:89], v[88:89], v[90:91]
	scratch_store_dwordx2 off, v[88:89], off offset:56
.LBB41_336:
	s_or_b64 exec, exec, s[4:5]
	scratch_load_dwordx2 v[88:89], off, off offset:48
	v_cmp_lt_u32_e64 s[0:1], 6, v0
	s_waitcnt vmcnt(0)
	ds_write_b64 v1, v[88:89]
	s_waitcnt lgkmcnt(0)
	; wave barrier
	s_and_saveexec_b64 s[4:5], s[0:1]
	s_cbranch_execz .LBB41_346
; %bb.337:
	s_andn2_b64 vcc, exec, s[6:7]
	s_cbranch_vccnz .LBB41_339
; %bb.338:
	scratch_load_dwordx2 v[88:89], v17, off
	ds_read_b64 v[90:91], v1
	s_waitcnt vmcnt(0) lgkmcnt(0)
	v_mul_f64 v[88:89], v[88:89], v[90:91]
	s_cbranch_execz .LBB41_340
	s_branch .LBB41_341
.LBB41_339:
                                        ; implicit-def: $vgpr88_vgpr89
.LBB41_340:
	ds_read_b64 v[88:89], v1
.LBB41_341:
	s_and_saveexec_b64 s[8:9], s[2:3]
	s_cbranch_execz .LBB41_345
; %bb.342:
	s_mov_b32 s13, 56
	v_add_u32_e32 v90, -7, v0
	s_movk_i32 s14, 0x188
	s_mov_b64 s[2:3], 0
.LBB41_343:                             ; =>This Inner Loop Header: Depth=1
	scratch_load_dwordx2 v[92:93], off, s13
	v_mov_b32_e32 v91, s14
	ds_read_b64 v[94:95], v91
	v_add_u32_e32 v90, -1, v90
	s_add_i32 s14, s14, 8
	s_add_i32 s13, s13, 8
	v_cmp_eq_u32_e32 vcc, 0, v90
	s_or_b64 s[2:3], vcc, s[2:3]
	s_waitcnt vmcnt(0) lgkmcnt(0)
	v_fmac_f64_e32 v[88:89], v[92:93], v[94:95]
	s_andn2_b64 exec, exec, s[2:3]
	s_cbranch_execnz .LBB41_343
; %bb.344:
	s_or_b64 exec, exec, s[2:3]
.LBB41_345:
	s_or_b64 exec, exec, s[8:9]
	v_mov_b32_e32 v90, 0
	ds_read_b64 v[90:91], v90 offset:48
	s_waitcnt lgkmcnt(0)
	v_mul_f64 v[88:89], v[88:89], v[90:91]
	scratch_store_dwordx2 off, v[88:89], off offset:48
.LBB41_346:
	s_or_b64 exec, exec, s[4:5]
	scratch_load_dwordx2 v[88:89], off, off offset:40
	v_cmp_lt_u32_e64 s[2:3], 5, v0
	s_waitcnt vmcnt(0)
	ds_write_b64 v1, v[88:89]
	s_waitcnt lgkmcnt(0)
	; wave barrier
	s_and_saveexec_b64 s[4:5], s[2:3]
	s_cbranch_execz .LBB41_356
; %bb.347:
	s_andn2_b64 vcc, exec, s[6:7]
	s_cbranch_vccnz .LBB41_349
; %bb.348:
	scratch_load_dwordx2 v[88:89], v17, off
	ds_read_b64 v[90:91], v1
	s_waitcnt vmcnt(0) lgkmcnt(0)
	v_mul_f64 v[88:89], v[88:89], v[90:91]
	s_cbranch_execz .LBB41_350
	s_branch .LBB41_351
.LBB41_349:
                                        ; implicit-def: $vgpr88_vgpr89
.LBB41_350:
	ds_read_b64 v[88:89], v1
.LBB41_351:
	s_and_saveexec_b64 s[8:9], s[0:1]
	s_cbranch_execz .LBB41_355
; %bb.352:
	v_add_u32_e32 v90, -6, v0
	s_movk_i32 s13, 0x180
	s_mov_b64 s[0:1], 0
.LBB41_353:                             ; =>This Inner Loop Header: Depth=1
	scratch_load_dwordx2 v[92:93], off, s12
	v_mov_b32_e32 v91, s13
	ds_read_b64 v[94:95], v91
	v_add_u32_e32 v90, -1, v90
	s_add_i32 s13, s13, 8
	s_add_i32 s12, s12, 8
	v_cmp_eq_u32_e32 vcc, 0, v90
	s_or_b64 s[0:1], vcc, s[0:1]
	s_waitcnt vmcnt(0) lgkmcnt(0)
	v_fmac_f64_e32 v[88:89], v[92:93], v[94:95]
	s_andn2_b64 exec, exec, s[0:1]
	s_cbranch_execnz .LBB41_353
; %bb.354:
	s_or_b64 exec, exec, s[0:1]
.LBB41_355:
	s_or_b64 exec, exec, s[8:9]
	v_mov_b32_e32 v90, 0
	ds_read_b64 v[90:91], v90 offset:40
	s_waitcnt lgkmcnt(0)
	v_mul_f64 v[88:89], v[88:89], v[90:91]
	scratch_store_dwordx2 off, v[88:89], off offset:40
.LBB41_356:
	s_or_b64 exec, exec, s[4:5]
	scratch_load_dwordx2 v[88:89], off, off offset:32
	v_cmp_lt_u32_e64 s[0:1], 4, v0
	s_waitcnt vmcnt(0)
	ds_write_b64 v1, v[88:89]
	s_waitcnt lgkmcnt(0)
	; wave barrier
	s_and_saveexec_b64 s[4:5], s[0:1]
	s_cbranch_execz .LBB41_366
; %bb.357:
	s_andn2_b64 vcc, exec, s[6:7]
	s_cbranch_vccnz .LBB41_359
; %bb.358:
	scratch_load_dwordx2 v[88:89], v17, off
	ds_read_b64 v[90:91], v1
	s_waitcnt vmcnt(0) lgkmcnt(0)
	v_mul_f64 v[88:89], v[88:89], v[90:91]
	s_cbranch_execz .LBB41_360
	s_branch .LBB41_361
.LBB41_359:
                                        ; implicit-def: $vgpr88_vgpr89
.LBB41_360:
	ds_read_b64 v[88:89], v1
.LBB41_361:
	s_and_saveexec_b64 s[8:9], s[2:3]
	s_cbranch_execz .LBB41_365
; %bb.362:
	s_mov_b32 s12, 40
	v_add_u32_e32 v90, -5, v0
	s_movk_i32 s13, 0x178
	s_mov_b64 s[2:3], 0
.LBB41_363:                             ; =>This Inner Loop Header: Depth=1
	scratch_load_dwordx2 v[92:93], off, s12
	v_mov_b32_e32 v91, s13
	ds_read_b64 v[94:95], v91
	v_add_u32_e32 v90, -1, v90
	s_add_i32 s13, s13, 8
	s_add_i32 s12, s12, 8
	v_cmp_eq_u32_e32 vcc, 0, v90
	s_or_b64 s[2:3], vcc, s[2:3]
	s_waitcnt vmcnt(0) lgkmcnt(0)
	v_fmac_f64_e32 v[88:89], v[92:93], v[94:95]
	s_andn2_b64 exec, exec, s[2:3]
	s_cbranch_execnz .LBB41_363
; %bb.364:
	s_or_b64 exec, exec, s[2:3]
.LBB41_365:
	s_or_b64 exec, exec, s[8:9]
	v_mov_b32_e32 v90, 0
	ds_read_b64 v[90:91], v90 offset:32
	s_waitcnt lgkmcnt(0)
	v_mul_f64 v[88:89], v[88:89], v[90:91]
	scratch_store_dwordx2 off, v[88:89], off offset:32
.LBB41_366:
	s_or_b64 exec, exec, s[4:5]
	scratch_load_dwordx2 v[88:89], off, off offset:24
	v_cmp_lt_u32_e64 s[2:3], 3, v0
	s_waitcnt vmcnt(0)
	ds_write_b64 v1, v[88:89]
	s_waitcnt lgkmcnt(0)
	; wave barrier
	s_and_saveexec_b64 s[4:5], s[2:3]
	s_cbranch_execz .LBB41_376
; %bb.367:
	s_andn2_b64 vcc, exec, s[6:7]
	s_cbranch_vccnz .LBB41_369
; %bb.368:
	scratch_load_dwordx2 v[88:89], v17, off
	ds_read_b64 v[90:91], v1
	s_waitcnt vmcnt(0) lgkmcnt(0)
	v_mul_f64 v[88:89], v[88:89], v[90:91]
	s_cbranch_execz .LBB41_370
	s_branch .LBB41_371
.LBB41_369:
                                        ; implicit-def: $vgpr88_vgpr89
.LBB41_370:
	ds_read_b64 v[88:89], v1
.LBB41_371:
	s_and_saveexec_b64 s[8:9], s[0:1]
	s_cbranch_execz .LBB41_375
; %bb.372:
	v_add_u32_e32 v90, -4, v0
	s_movk_i32 s12, 0x170
	s_mov_b64 s[0:1], 0
.LBB41_373:                             ; =>This Inner Loop Header: Depth=1
	scratch_load_dwordx2 v[92:93], off, s11
	v_mov_b32_e32 v91, s12
	ds_read_b64 v[94:95], v91
	v_add_u32_e32 v90, -1, v90
	s_add_i32 s12, s12, 8
	s_add_i32 s11, s11, 8
	v_cmp_eq_u32_e32 vcc, 0, v90
	s_or_b64 s[0:1], vcc, s[0:1]
	s_waitcnt vmcnt(0) lgkmcnt(0)
	v_fmac_f64_e32 v[88:89], v[92:93], v[94:95]
	s_andn2_b64 exec, exec, s[0:1]
	s_cbranch_execnz .LBB41_373
; %bb.374:
	s_or_b64 exec, exec, s[0:1]
.LBB41_375:
	s_or_b64 exec, exec, s[8:9]
	v_mov_b32_e32 v90, 0
	ds_read_b64 v[90:91], v90 offset:24
	s_waitcnt lgkmcnt(0)
	v_mul_f64 v[88:89], v[88:89], v[90:91]
	scratch_store_dwordx2 off, v[88:89], off offset:24
.LBB41_376:
	s_or_b64 exec, exec, s[4:5]
	scratch_load_dwordx2 v[88:89], off, off offset:16
	v_cmp_lt_u32_e64 s[0:1], 2, v0
	s_waitcnt vmcnt(0)
	ds_write_b64 v1, v[88:89]
	s_waitcnt lgkmcnt(0)
	; wave barrier
	s_and_saveexec_b64 s[4:5], s[0:1]
	s_cbranch_execz .LBB41_386
; %bb.377:
	s_andn2_b64 vcc, exec, s[6:7]
	s_cbranch_vccnz .LBB41_379
; %bb.378:
	scratch_load_dwordx2 v[88:89], v17, off
	ds_read_b64 v[90:91], v1
	s_waitcnt vmcnt(0) lgkmcnt(0)
	v_mul_f64 v[88:89], v[88:89], v[90:91]
	s_cbranch_execz .LBB41_380
	s_branch .LBB41_381
.LBB41_379:
                                        ; implicit-def: $vgpr88_vgpr89
.LBB41_380:
	ds_read_b64 v[88:89], v1
.LBB41_381:
	s_and_saveexec_b64 s[8:9], s[2:3]
	s_cbranch_execz .LBB41_385
; %bb.382:
	s_mov_b32 s11, 24
	v_add_u32_e32 v90, -3, v0
	s_movk_i32 s12, 0x168
	s_mov_b64 s[2:3], 0
.LBB41_383:                             ; =>This Inner Loop Header: Depth=1
	scratch_load_dwordx2 v[92:93], off, s11
	v_mov_b32_e32 v91, s12
	ds_read_b64 v[94:95], v91
	v_add_u32_e32 v90, -1, v90
	s_add_i32 s12, s12, 8
	s_add_i32 s11, s11, 8
	v_cmp_eq_u32_e32 vcc, 0, v90
	s_or_b64 s[2:3], vcc, s[2:3]
	s_waitcnt vmcnt(0) lgkmcnt(0)
	v_fmac_f64_e32 v[88:89], v[92:93], v[94:95]
	s_andn2_b64 exec, exec, s[2:3]
	s_cbranch_execnz .LBB41_383
; %bb.384:
	s_or_b64 exec, exec, s[2:3]
.LBB41_385:
	s_or_b64 exec, exec, s[8:9]
	v_mov_b32_e32 v90, 0
	ds_read_b64 v[90:91], v90 offset:16
	s_waitcnt lgkmcnt(0)
	v_mul_f64 v[88:89], v[88:89], v[90:91]
	scratch_store_dwordx2 off, v[88:89], off offset:16
.LBB41_386:
	s_or_b64 exec, exec, s[4:5]
	scratch_load_dwordx2 v[88:89], off, off offset:8
	v_cmp_lt_u32_e64 s[2:3], 1, v0
	s_waitcnt vmcnt(0)
	ds_write_b64 v1, v[88:89]
	s_waitcnt lgkmcnt(0)
	; wave barrier
	s_and_saveexec_b64 s[4:5], s[2:3]
	s_cbranch_execz .LBB41_396
; %bb.387:
	s_andn2_b64 vcc, exec, s[6:7]
	s_cbranch_vccnz .LBB41_389
; %bb.388:
	scratch_load_dwordx2 v[88:89], v17, off
	ds_read_b64 v[90:91], v1
	s_waitcnt vmcnt(0) lgkmcnt(0)
	v_mul_f64 v[88:89], v[88:89], v[90:91]
	s_cbranch_execz .LBB41_390
	s_branch .LBB41_391
.LBB41_389:
                                        ; implicit-def: $vgpr88_vgpr89
.LBB41_390:
	ds_read_b64 v[88:89], v1
.LBB41_391:
	s_and_saveexec_b64 s[8:9], s[0:1]
	s_cbranch_execz .LBB41_395
; %bb.392:
	v_add_u32_e32 v90, -2, v0
	s_movk_i32 s11, 0x160
	s_mov_b64 s[0:1], 0
.LBB41_393:                             ; =>This Inner Loop Header: Depth=1
	scratch_load_dwordx2 v[92:93], off, s10
	v_mov_b32_e32 v91, s11
	ds_read_b64 v[94:95], v91
	v_add_u32_e32 v90, -1, v90
	s_add_i32 s11, s11, 8
	s_add_i32 s10, s10, 8
	v_cmp_eq_u32_e32 vcc, 0, v90
	s_or_b64 s[0:1], vcc, s[0:1]
	s_waitcnt vmcnt(0) lgkmcnt(0)
	v_fmac_f64_e32 v[88:89], v[92:93], v[94:95]
	s_andn2_b64 exec, exec, s[0:1]
	s_cbranch_execnz .LBB41_393
; %bb.394:
	s_or_b64 exec, exec, s[0:1]
.LBB41_395:
	s_or_b64 exec, exec, s[8:9]
	v_mov_b32_e32 v90, 0
	ds_read_b64 v[90:91], v90 offset:8
	s_waitcnt lgkmcnt(0)
	v_mul_f64 v[88:89], v[88:89], v[90:91]
	scratch_store_dwordx2 off, v[88:89], off offset:8
.LBB41_396:
	s_or_b64 exec, exec, s[4:5]
	scratch_load_dwordx2 v[88:89], off, off
	v_cmp_ne_u32_e32 vcc, 0, v0
	s_waitcnt vmcnt(0)
	ds_write_b64 v1, v[88:89]
	s_waitcnt lgkmcnt(0)
	; wave barrier
	s_and_saveexec_b64 s[0:1], vcc
	s_cbranch_execz .LBB41_406
; %bb.397:
	s_andn2_b64 vcc, exec, s[6:7]
	s_cbranch_vccnz .LBB41_399
; %bb.398:
	scratch_load_dwordx2 v[88:89], v17, off
	ds_read_b64 v[90:91], v1
	s_waitcnt vmcnt(0) lgkmcnt(0)
	v_mul_f64 v[88:89], v[88:89], v[90:91]
	s_cbranch_execz .LBB41_400
	s_branch .LBB41_401
.LBB41_399:
                                        ; implicit-def: $vgpr88_vgpr89
.LBB41_400:
	ds_read_b64 v[88:89], v1
.LBB41_401:
	s_and_saveexec_b64 s[4:5], s[2:3]
	s_cbranch_execz .LBB41_405
; %bb.402:
	s_or_b32 s8, 0, 8
	v_add_u32_e32 v90, -1, v0
	s_movk_i32 s9, 0x158
	s_mov_b64 s[2:3], 0
.LBB41_403:                             ; =>This Inner Loop Header: Depth=1
	scratch_load_dwordx2 v[92:93], off, s8
	v_mov_b32_e32 v91, s9
	ds_read_b64 v[94:95], v91
	v_add_u32_e32 v90, -1, v90
	s_add_i32 s9, s9, 8
	s_add_i32 s8, s8, 8
	v_cmp_eq_u32_e32 vcc, 0, v90
	s_or_b64 s[2:3], vcc, s[2:3]
	s_waitcnt vmcnt(0) lgkmcnt(0)
	v_fmac_f64_e32 v[88:89], v[92:93], v[94:95]
	s_andn2_b64 exec, exec, s[2:3]
	s_cbranch_execnz .LBB41_403
; %bb.404:
	s_or_b64 exec, exec, s[2:3]
.LBB41_405:
	s_or_b64 exec, exec, s[4:5]
	v_mov_b32_e32 v90, 0
	ds_read_b64 v[90:91], v90
	s_waitcnt lgkmcnt(0)
	v_mul_f64 v[88:89], v[88:89], v[90:91]
	scratch_store_dwordx2 off, v[88:89], off
.LBB41_406:
	s_or_b64 exec, exec, s[0:1]
	s_mov_b64 s[0:1], 0
.LBB41_407:
	s_and_b64 vcc, exec, s[0:1]
	s_cbranch_vccz .LBB41_809
; %bb.408:
	scratch_load_dwordx2 v[88:89], off, off offset:8
	v_cmp_eq_u32_e64 s[2:3], 0, v0
	s_waitcnt vmcnt(0)
	ds_write_b64 v1, v[88:89]
	s_waitcnt lgkmcnt(0)
	; wave barrier
	s_and_saveexec_b64 s[0:1], s[2:3]
	s_cbranch_execz .LBB41_414
; %bb.409:
	s_and_b64 vcc, exec, s[6:7]
	s_cbranch_vccz .LBB41_411
; %bb.410:
	scratch_load_dwordx2 v[88:89], v17, off
	ds_read_b64 v[90:91], v1
	s_waitcnt vmcnt(0) lgkmcnt(0)
	v_mul_f64 v[88:89], v[88:89], v[90:91]
	s_cbranch_execz .LBB41_412
	s_branch .LBB41_413
.LBB41_411:
                                        ; implicit-def: $vgpr88_vgpr89
.LBB41_412:
	ds_read_b64 v[88:89], v1
.LBB41_413:
	v_mov_b32_e32 v90, 0
	ds_read_b64 v[90:91], v90 offset:8
	s_waitcnt lgkmcnt(0)
	v_mul_f64 v[88:89], v[88:89], v[90:91]
	scratch_store_dwordx2 off, v[88:89], off offset:8
.LBB41_414:
	s_or_b64 exec, exec, s[0:1]
	scratch_load_dwordx2 v[88:89], off, off offset:16
	v_cndmask_b32_e64 v90, 0, 1, s[6:7]
	v_cmp_gt_u32_e32 vcc, 2, v0
	v_cmp_ne_u32_e64 s[0:1], 1, v90
	s_waitcnt vmcnt(0)
	ds_write_b64 v1, v[88:89]
	s_waitcnt lgkmcnt(0)
	; wave barrier
	s_and_saveexec_b64 s[4:5], vcc
	s_cbranch_execz .LBB41_420
; %bb.415:
	s_and_b64 vcc, exec, s[0:1]
	s_cbranch_vccnz .LBB41_417
; %bb.416:
	scratch_load_dwordx2 v[88:89], v17, off
	ds_read_b64 v[90:91], v1
	s_waitcnt vmcnt(0) lgkmcnt(0)
	v_mul_f64 v[88:89], v[88:89], v[90:91]
	s_cbranch_execz .LBB41_418
	s_branch .LBB41_419
.LBB41_417:
                                        ; implicit-def: $vgpr88_vgpr89
.LBB41_418:
	ds_read_b64 v[88:89], v1
.LBB41_419:
	scratch_load_dwordx2 v[94:95], off, off offset:8
	v_mov_b32_e32 v90, 0
	ds_read2_b64 v[90:93], v90 offset0:2 offset1:43
	s_waitcnt vmcnt(0) lgkmcnt(0)
	v_fma_f64 v[92:93], v[94:95], v[92:93], v[88:89]
	v_cndmask_b32_e64 v89, v89, v93, s[2:3]
	v_cndmask_b32_e64 v88, v88, v92, s[2:3]
	v_mul_f64 v[88:89], v[88:89], v[90:91]
	scratch_store_dwordx2 off, v[88:89], off offset:16
.LBB41_420:
	s_or_b64 exec, exec, s[4:5]
	scratch_load_dwordx2 v[88:89], off, off offset:24
	v_cmp_gt_u32_e32 vcc, 3, v0
	s_waitcnt vmcnt(0)
	ds_write_b64 v1, v[88:89]
	s_waitcnt lgkmcnt(0)
	; wave barrier
	s_and_saveexec_b64 s[4:5], vcc
	s_cbranch_execz .LBB41_428
; %bb.421:
	s_and_b64 vcc, exec, s[0:1]
	s_cbranch_vccnz .LBB41_423
; %bb.422:
	scratch_load_dwordx2 v[88:89], v17, off
	ds_read_b64 v[90:91], v1
	s_waitcnt vmcnt(0) lgkmcnt(0)
	v_mul_f64 v[88:89], v[88:89], v[90:91]
	s_cbranch_execz .LBB41_424
	s_branch .LBB41_425
.LBB41_423:
                                        ; implicit-def: $vgpr88_vgpr89
.LBB41_424:
	ds_read_b64 v[88:89], v1
.LBB41_425:
	v_cmp_ne_u32_e32 vcc, 2, v0
	s_and_saveexec_b64 s[6:7], vcc
	s_cbranch_execz .LBB41_427
; %bb.426:
	scratch_load_dwordx2 v[90:91], v17, off offset:8
	scratch_load_dwordx2 v[92:93], off, off offset:16
	ds_read_b64 v[94:95], v1 offset:8
	v_mov_b32_e32 v96, 0
	ds_read_b64 v[96:97], v96 offset:352
	s_waitcnt vmcnt(1) lgkmcnt(1)
	v_fmac_f64_e32 v[88:89], v[90:91], v[94:95]
	s_waitcnt vmcnt(0) lgkmcnt(0)
	v_fma_f64 v[90:91], v[92:93], v[96:97], v[88:89]
	v_cndmask_b32_e64 v89, v89, v91, s[2:3]
	v_cndmask_b32_e64 v88, v88, v90, s[2:3]
.LBB41_427:
	s_or_b64 exec, exec, s[6:7]
	v_mov_b32_e32 v90, 0
	ds_read_b64 v[90:91], v90 offset:24
	s_waitcnt lgkmcnt(0)
	v_mul_f64 v[88:89], v[88:89], v[90:91]
	scratch_store_dwordx2 off, v[88:89], off offset:24
.LBB41_428:
	s_or_b64 exec, exec, s[4:5]
	scratch_load_dwordx2 v[88:89], off, off offset:32
	v_cmp_gt_u32_e32 vcc, 4, v0
	s_waitcnt vmcnt(0)
	ds_write_b64 v1, v[88:89]
	s_waitcnt lgkmcnt(0)
	; wave barrier
	s_and_saveexec_b64 s[2:3], vcc
	s_cbranch_execz .LBB41_438
; %bb.429:
	s_and_b64 vcc, exec, s[0:1]
	s_cbranch_vccnz .LBB41_431
; %bb.430:
	scratch_load_dwordx2 v[88:89], v17, off
	ds_read_b64 v[90:91], v1
	s_waitcnt vmcnt(0) lgkmcnt(0)
	v_mul_f64 v[88:89], v[88:89], v[90:91]
	s_cbranch_execz .LBB41_432
	s_branch .LBB41_433
.LBB41_431:
                                        ; implicit-def: $vgpr88_vgpr89
.LBB41_432:
	ds_read_b64 v[88:89], v1
.LBB41_433:
	v_cmp_ne_u32_e32 vcc, 3, v0
	s_and_saveexec_b64 s[4:5], vcc
	s_cbranch_execz .LBB41_437
; %bb.434:
	s_mov_b32 s6, 0
	v_add_u32_e32 v90, 0x158, v16
	v_add3_u32 v91, v16, s6, 8
	s_mov_b64 s[6:7], 0
	v_mov_b32_e32 v92, v0
.LBB41_435:                             ; =>This Inner Loop Header: Depth=1
	scratch_load_dwordx2 v[94:95], v91, off
	ds_read_b64 v[96:97], v90
	v_add_u32_e32 v92, 1, v92
	v_cmp_lt_u32_e32 vcc, 2, v92
	v_add_u32_e32 v90, 8, v90
	v_add_u32_e32 v91, 8, v91
	s_or_b64 s[6:7], vcc, s[6:7]
	s_waitcnt vmcnt(0) lgkmcnt(0)
	v_fmac_f64_e32 v[88:89], v[94:95], v[96:97]
	s_andn2_b64 exec, exec, s[6:7]
	s_cbranch_execnz .LBB41_435
; %bb.436:
	s_or_b64 exec, exec, s[6:7]
.LBB41_437:
	s_or_b64 exec, exec, s[4:5]
	v_mov_b32_e32 v90, 0
	ds_read_b64 v[90:91], v90 offset:32
	s_waitcnt lgkmcnt(0)
	v_mul_f64 v[88:89], v[88:89], v[90:91]
	scratch_store_dwordx2 off, v[88:89], off offset:32
.LBB41_438:
	s_or_b64 exec, exec, s[2:3]
	scratch_load_dwordx2 v[88:89], off, off offset:40
	v_cmp_gt_u32_e32 vcc, 5, v0
	s_waitcnt vmcnt(0)
	ds_write_b64 v1, v[88:89]
	s_waitcnt lgkmcnt(0)
	; wave barrier
	s_and_saveexec_b64 s[2:3], vcc
	s_cbranch_execz .LBB41_448
; %bb.439:
	s_and_b64 vcc, exec, s[0:1]
	s_cbranch_vccnz .LBB41_441
; %bb.440:
	scratch_load_dwordx2 v[88:89], v17, off
	ds_read_b64 v[90:91], v1
	s_waitcnt vmcnt(0) lgkmcnt(0)
	v_mul_f64 v[88:89], v[88:89], v[90:91]
	s_cbranch_execz .LBB41_442
	s_branch .LBB41_443
.LBB41_441:
                                        ; implicit-def: $vgpr88_vgpr89
.LBB41_442:
	ds_read_b64 v[88:89], v1
.LBB41_443:
	v_cmp_ne_u32_e32 vcc, 4, v0
	s_and_saveexec_b64 s[4:5], vcc
	s_cbranch_execz .LBB41_447
; %bb.444:
	s_mov_b32 s6, 0
	v_add_u32_e32 v90, 0x158, v16
	v_add3_u32 v91, v16, s6, 8
	s_mov_b64 s[6:7], 0
	v_mov_b32_e32 v92, v0
.LBB41_445:                             ; =>This Inner Loop Header: Depth=1
	scratch_load_dwordx2 v[94:95], v91, off
	ds_read_b64 v[96:97], v90
	v_add_u32_e32 v92, 1, v92
	v_cmp_lt_u32_e32 vcc, 3, v92
	v_add_u32_e32 v90, 8, v90
	v_add_u32_e32 v91, 8, v91
	s_or_b64 s[6:7], vcc, s[6:7]
	s_waitcnt vmcnt(0) lgkmcnt(0)
	v_fmac_f64_e32 v[88:89], v[94:95], v[96:97]
	s_andn2_b64 exec, exec, s[6:7]
	s_cbranch_execnz .LBB41_445
; %bb.446:
	s_or_b64 exec, exec, s[6:7]
.LBB41_447:
	s_or_b64 exec, exec, s[4:5]
	v_mov_b32_e32 v90, 0
	ds_read_b64 v[90:91], v90 offset:40
	s_waitcnt lgkmcnt(0)
	v_mul_f64 v[88:89], v[88:89], v[90:91]
	scratch_store_dwordx2 off, v[88:89], off offset:40
.LBB41_448:
	;; [unrolled: 55-line block ×36, first 2 shown]
	s_or_b64 exec, exec, s[2:3]
	scratch_load_dwordx2 v[88:89], off, off offset:320
	v_cmp_gt_u32_e64 s[2:3], 40, v0
	s_waitcnt vmcnt(0)
	ds_write_b64 v1, v[88:89]
	s_waitcnt lgkmcnt(0)
	; wave barrier
	s_and_saveexec_b64 s[4:5], s[2:3]
	s_cbranch_execz .LBB41_798
; %bb.789:
	s_and_b64 vcc, exec, s[0:1]
	s_cbranch_vccnz .LBB41_791
; %bb.790:
	scratch_load_dwordx2 v[88:89], v17, off
	ds_read_b64 v[90:91], v1
	s_waitcnt vmcnt(0) lgkmcnt(0)
	v_mul_f64 v[88:89], v[88:89], v[90:91]
	s_cbranch_execz .LBB41_792
	s_branch .LBB41_793
.LBB41_791:
                                        ; implicit-def: $vgpr88_vgpr89
.LBB41_792:
	ds_read_b64 v[88:89], v1
.LBB41_793:
	v_cmp_ne_u32_e32 vcc, 39, v0
	s_and_saveexec_b64 s[6:7], vcc
	s_cbranch_execz .LBB41_797
; %bb.794:
	s_mov_b32 s8, 0
	v_add_u32_e32 v90, 0x158, v16
	v_add3_u32 v91, v16, s8, 8
	s_mov_b64 s[8:9], 0
	v_mov_b32_e32 v92, v0
.LBB41_795:                             ; =>This Inner Loop Header: Depth=1
	scratch_load_dwordx2 v[94:95], v91, off
	ds_read_b64 v[96:97], v90
	v_add_u32_e32 v92, 1, v92
	v_cmp_lt_u32_e32 vcc, 38, v92
	v_add_u32_e32 v90, 8, v90
	v_add_u32_e32 v91, 8, v91
	s_or_b64 s[8:9], vcc, s[8:9]
	s_waitcnt vmcnt(0) lgkmcnt(0)
	v_fmac_f64_e32 v[88:89], v[94:95], v[96:97]
	s_andn2_b64 exec, exec, s[8:9]
	s_cbranch_execnz .LBB41_795
; %bb.796:
	s_or_b64 exec, exec, s[8:9]
.LBB41_797:
	s_or_b64 exec, exec, s[6:7]
	v_mov_b32_e32 v90, 0
	ds_read_b64 v[90:91], v90 offset:320
	s_waitcnt lgkmcnt(0)
	v_mul_f64 v[88:89], v[88:89], v[90:91]
	scratch_store_dwordx2 off, v[88:89], off offset:320
.LBB41_798:
	s_or_b64 exec, exec, s[4:5]
	scratch_load_dwordx2 v[88:89], off, off offset:328
	v_cmp_ne_u32_e32 vcc, 41, v0
	s_waitcnt vmcnt(0)
	ds_write_b64 v1, v[88:89]
	s_waitcnt lgkmcnt(0)
	; wave barrier
	s_and_saveexec_b64 s[4:5], vcc
	s_cbranch_execz .LBB41_808
; %bb.799:
	s_and_b64 vcc, exec, s[0:1]
	s_cbranch_vccnz .LBB41_801
; %bb.800:
	scratch_load_dwordx2 v[88:89], v17, off
	ds_read_b64 v[90:91], v1
	s_waitcnt vmcnt(0) lgkmcnt(0)
	v_mul_f64 v[88:89], v[88:89], v[90:91]
	s_cbranch_execz .LBB41_802
	s_branch .LBB41_803
.LBB41_801:
                                        ; implicit-def: $vgpr88_vgpr89
.LBB41_802:
	ds_read_b64 v[88:89], v1
.LBB41_803:
	s_and_saveexec_b64 s[0:1], s[2:3]
	s_cbranch_execz .LBB41_807
; %bb.804:
	s_mov_b32 s2, 0
	v_add_u32_e32 v1, 0x158, v16
	v_add3_u32 v16, v16, s2, 8
	s_mov_b64 s[2:3], 0
.LBB41_805:                             ; =>This Inner Loop Header: Depth=1
	scratch_load_dwordx2 v[90:91], v16, off
	ds_read_b64 v[92:93], v1
	v_add_u32_e32 v0, 1, v0
	v_cmp_lt_u32_e32 vcc, 39, v0
	v_add_u32_e32 v1, 8, v1
	v_add_u32_e32 v16, 8, v16
	s_or_b64 s[2:3], vcc, s[2:3]
	s_waitcnt vmcnt(0) lgkmcnt(0)
	v_fmac_f64_e32 v[88:89], v[90:91], v[92:93]
	s_andn2_b64 exec, exec, s[2:3]
	s_cbranch_execnz .LBB41_805
; %bb.806:
	s_or_b64 exec, exec, s[2:3]
.LBB41_807:
	s_or_b64 exec, exec, s[0:1]
	v_mov_b32_e32 v0, 0
	ds_read_b64 v[0:1], v0 offset:328
	s_waitcnt lgkmcnt(0)
	v_mul_f64 v[0:1], v[88:89], v[0:1]
	scratch_store_dwordx2 off, v[0:1], off offset:328
.LBB41_808:
	s_or_b64 exec, exec, s[4:5]
.LBB41_809:
	scratch_load_dwordx4 v[88:91], off, off
	s_waitcnt vmcnt(0)
	global_store_dwordx2 v[2:3], v[88:89], off
	global_store_dwordx2 v[4:5], v[90:91], off
	scratch_load_dwordx4 v[0:3], off, off offset:16
	s_waitcnt vmcnt(0)
	global_store_dwordx2 v[6:7], v[0:1], off
	global_store_dwordx2 v[8:9], v[2:3], off
	scratch_load_dwordx4 v[0:3], off, off offset:32
	;; [unrolled: 4-line block ×20, first 2 shown]
	s_waitcnt vmcnt(0)
	global_store_dwordx2 v[72:73], v[0:1], off
	global_store_dwordx2 v[76:77], v[2:3], off
.LBB41_810:
	s_endpgm
	.section	.rodata,"a",@progbits
	.p2align	6, 0x0
	.amdhsa_kernel _ZN9rocsolver6v33100L18trti2_kernel_smallILi42EdPdEEv13rocblas_fill_17rocblas_diagonal_T1_iil
		.amdhsa_group_segment_fixed_size 672
		.amdhsa_private_segment_fixed_size 352
		.amdhsa_kernarg_size 32
		.amdhsa_user_sgpr_count 2
		.amdhsa_user_sgpr_dispatch_ptr 0
		.amdhsa_user_sgpr_queue_ptr 0
		.amdhsa_user_sgpr_kernarg_segment_ptr 1
		.amdhsa_user_sgpr_dispatch_id 0
		.amdhsa_user_sgpr_kernarg_preload_length 0
		.amdhsa_user_sgpr_kernarg_preload_offset 0
		.amdhsa_user_sgpr_private_segment_size 0
		.amdhsa_uses_dynamic_stack 0
		.amdhsa_enable_private_segment 1
		.amdhsa_system_sgpr_workgroup_id_x 1
		.amdhsa_system_sgpr_workgroup_id_y 0
		.amdhsa_system_sgpr_workgroup_id_z 0
		.amdhsa_system_sgpr_workgroup_info 0
		.amdhsa_system_vgpr_workitem_id 0
		.amdhsa_next_free_vgpr 98
		.amdhsa_next_free_sgpr 31
		.amdhsa_accum_offset 100
		.amdhsa_reserve_vcc 1
		.amdhsa_float_round_mode_32 0
		.amdhsa_float_round_mode_16_64 0
		.amdhsa_float_denorm_mode_32 3
		.amdhsa_float_denorm_mode_16_64 3
		.amdhsa_dx10_clamp 1
		.amdhsa_ieee_mode 1
		.amdhsa_fp16_overflow 0
		.amdhsa_tg_split 0
		.amdhsa_exception_fp_ieee_invalid_op 0
		.amdhsa_exception_fp_denorm_src 0
		.amdhsa_exception_fp_ieee_div_zero 0
		.amdhsa_exception_fp_ieee_overflow 0
		.amdhsa_exception_fp_ieee_underflow 0
		.amdhsa_exception_fp_ieee_inexact 0
		.amdhsa_exception_int_div_zero 0
	.end_amdhsa_kernel
	.section	.text._ZN9rocsolver6v33100L18trti2_kernel_smallILi42EdPdEEv13rocblas_fill_17rocblas_diagonal_T1_iil,"axG",@progbits,_ZN9rocsolver6v33100L18trti2_kernel_smallILi42EdPdEEv13rocblas_fill_17rocblas_diagonal_T1_iil,comdat
.Lfunc_end41:
	.size	_ZN9rocsolver6v33100L18trti2_kernel_smallILi42EdPdEEv13rocblas_fill_17rocblas_diagonal_T1_iil, .Lfunc_end41-_ZN9rocsolver6v33100L18trti2_kernel_smallILi42EdPdEEv13rocblas_fill_17rocblas_diagonal_T1_iil
                                        ; -- End function
	.set _ZN9rocsolver6v33100L18trti2_kernel_smallILi42EdPdEEv13rocblas_fill_17rocblas_diagonal_T1_iil.num_vgpr, 98
	.set _ZN9rocsolver6v33100L18trti2_kernel_smallILi42EdPdEEv13rocblas_fill_17rocblas_diagonal_T1_iil.num_agpr, 0
	.set _ZN9rocsolver6v33100L18trti2_kernel_smallILi42EdPdEEv13rocblas_fill_17rocblas_diagonal_T1_iil.numbered_sgpr, 31
	.set _ZN9rocsolver6v33100L18trti2_kernel_smallILi42EdPdEEv13rocblas_fill_17rocblas_diagonal_T1_iil.num_named_barrier, 0
	.set _ZN9rocsolver6v33100L18trti2_kernel_smallILi42EdPdEEv13rocblas_fill_17rocblas_diagonal_T1_iil.private_seg_size, 352
	.set _ZN9rocsolver6v33100L18trti2_kernel_smallILi42EdPdEEv13rocblas_fill_17rocblas_diagonal_T1_iil.uses_vcc, 1
	.set _ZN9rocsolver6v33100L18trti2_kernel_smallILi42EdPdEEv13rocblas_fill_17rocblas_diagonal_T1_iil.uses_flat_scratch, 0
	.set _ZN9rocsolver6v33100L18trti2_kernel_smallILi42EdPdEEv13rocblas_fill_17rocblas_diagonal_T1_iil.has_dyn_sized_stack, 0
	.set _ZN9rocsolver6v33100L18trti2_kernel_smallILi42EdPdEEv13rocblas_fill_17rocblas_diagonal_T1_iil.has_recursion, 0
	.set _ZN9rocsolver6v33100L18trti2_kernel_smallILi42EdPdEEv13rocblas_fill_17rocblas_diagonal_T1_iil.has_indirect_call, 0
	.section	.AMDGPU.csdata,"",@progbits
; Kernel info:
; codeLenInByte = 19928
; TotalNumSgprs: 37
; NumVgprs: 98
; NumAgprs: 0
; TotalNumVgprs: 98
; ScratchSize: 352
; MemoryBound: 0
; FloatMode: 240
; IeeeMode: 1
; LDSByteSize: 672 bytes/workgroup (compile time only)
; SGPRBlocks: 4
; VGPRBlocks: 12
; NumSGPRsForWavesPerEU: 37
; NumVGPRsForWavesPerEU: 98
; AccumOffset: 100
; Occupancy: 4
; WaveLimiterHint : 0
; COMPUTE_PGM_RSRC2:SCRATCH_EN: 1
; COMPUTE_PGM_RSRC2:USER_SGPR: 2
; COMPUTE_PGM_RSRC2:TRAP_HANDLER: 0
; COMPUTE_PGM_RSRC2:TGID_X_EN: 1
; COMPUTE_PGM_RSRC2:TGID_Y_EN: 0
; COMPUTE_PGM_RSRC2:TGID_Z_EN: 0
; COMPUTE_PGM_RSRC2:TIDIG_COMP_CNT: 0
; COMPUTE_PGM_RSRC3_GFX90A:ACCUM_OFFSET: 24
; COMPUTE_PGM_RSRC3_GFX90A:TG_SPLIT: 0
	.section	.text._ZN9rocsolver6v33100L18trti2_kernel_smallILi43EdPdEEv13rocblas_fill_17rocblas_diagonal_T1_iil,"axG",@progbits,_ZN9rocsolver6v33100L18trti2_kernel_smallILi43EdPdEEv13rocblas_fill_17rocblas_diagonal_T1_iil,comdat
	.globl	_ZN9rocsolver6v33100L18trti2_kernel_smallILi43EdPdEEv13rocblas_fill_17rocblas_diagonal_T1_iil ; -- Begin function _ZN9rocsolver6v33100L18trti2_kernel_smallILi43EdPdEEv13rocblas_fill_17rocblas_diagonal_T1_iil
	.p2align	8
	.type	_ZN9rocsolver6v33100L18trti2_kernel_smallILi43EdPdEEv13rocblas_fill_17rocblas_diagonal_T1_iil,@function
_ZN9rocsolver6v33100L18trti2_kernel_smallILi43EdPdEEv13rocblas_fill_17rocblas_diagonal_T1_iil: ; @_ZN9rocsolver6v33100L18trti2_kernel_smallILi43EdPdEEv13rocblas_fill_17rocblas_diagonal_T1_iil
; %bb.0:
	v_cmp_gt_u32_e32 vcc, 43, v0
	s_and_saveexec_b64 s[4:5], vcc
	s_cbranch_execz .LBB42_830
; %bb.1:
	s_load_dwordx8 s[4:11], s[0:1], 0x0
	s_ashr_i32 s3, s2, 31
	v_lshlrev_b32_e32 v12, 3, v0
	v_mov_b32_e32 v13, 0
	s_waitcnt lgkmcnt(0)
	s_ashr_i32 s1, s8, 31
	s_mov_b32 s0, s8
	s_mul_hi_u32 s8, s10, s2
	s_mul_i32 s3, s10, s3
	s_add_i32 s3, s8, s3
	s_mul_i32 s8, s11, s2
	s_add_i32 s3, s3, s8
	s_mul_i32 s2, s10, s2
	s_lshl_b64 s[2:3], s[2:3], 3
	s_add_u32 s2, s6, s2
	s_addc_u32 s3, s7, s3
	s_lshl_b64 s[0:1], s[0:1], 3
	s_add_u32 s0, s2, s0
	s_addc_u32 s1, s3, s1
	v_lshl_add_u64 v[2:3], s[0:1], 0, v[12:13]
	s_ashr_i32 s3, s9, 31
	s_mov_b32 s2, s9
	v_lshl_add_u64 v[4:5], s[2:3], 3, v[2:3]
	global_load_dwordx2 v[6:7], v12, s[0:1]
	global_load_dwordx2 v[8:9], v[4:5], off
	s_add_i32 s2, s9, s9
	s_cmpk_lg_i32 s5, 0x84
	s_cselect_b64 s[6:7], -1, 0
	s_cmpk_eq_i32 s5, 0x84
	s_waitcnt vmcnt(0)
	scratch_store_dwordx4 off, v[6:9], off
	s_nop 1
	v_add_u32_e32 v8, s2, v0
	v_add_u32_e32 v10, s9, v8
	v_ashrrev_i32_e32 v9, 31, v8
	v_ashrrev_i32_e32 v11, 31, v10
	v_lshl_add_u64 v[6:7], v[8:9], 3, s[0:1]
	v_lshl_add_u64 v[8:9], v[10:11], 3, s[0:1]
	global_load_dwordx2 v[14:15], v[6:7], off
	global_load_dwordx2 v[16:17], v[8:9], off
	s_waitcnt vmcnt(0)
	scratch_store_dwordx4 off, v[14:17], off offset:16
	s_nop 1
	v_add_u32_e32 v14, s9, v10
	v_add_u32_e32 v16, s9, v14
	v_ashrrev_i32_e32 v15, 31, v14
	v_ashrrev_i32_e32 v17, 31, v16
	v_lshl_add_u64 v[10:11], v[14:15], 3, s[0:1]
	v_lshl_add_u64 v[14:15], v[16:17], 3, s[0:1]
	global_load_dwordx2 v[18:19], v[10:11], off
	global_load_dwordx2 v[20:21], v[14:15], off
	s_waitcnt vmcnt(0)
	scratch_store_dwordx4 off, v[18:21], off offset:32
	;; [unrolled: 11-line block ×17, first 2 shown]
	s_nop 1
	v_add_u32_e32 v78, s9, v76
	v_add_u32_e32 v80, s9, v78
	v_ashrrev_i32_e32 v79, 31, v78
	v_ashrrev_i32_e32 v81, 31, v80
	v_lshl_add_u64 v[76:77], v[78:79], 3, s[0:1]
	v_lshl_add_u64 v[78:79], v[80:81], 3, s[0:1]
	global_load_dwordx2 v[82:83], v[76:77], off
	global_load_dwordx2 v[84:85], v[78:79], off
	v_add_u32_e32 v80, s9, v80
	v_ashrrev_i32_e32 v81, 31, v80
	s_waitcnt vmcnt(0)
	scratch_store_dwordx4 off, v[82:85], off offset:288
	s_nop 1
	v_lshl_add_u64 v[82:83], v[80:81], 3, s[0:1]
	v_add_u32_e32 v80, s9, v80
	v_ashrrev_i32_e32 v81, 31, v80
	v_lshl_add_u64 v[84:85], v[80:81], 3, s[0:1]
	global_load_dwordx2 v[86:87], v[82:83], off
	global_load_dwordx2 v[88:89], v[84:85], off
	v_add_u32_e32 v80, s9, v80
	v_ashrrev_i32_e32 v81, 31, v80
	s_waitcnt vmcnt(0)
	scratch_store_dwordx4 off, v[86:89], off offset:304
	s_nop 1
	v_lshl_add_u64 v[86:87], v[80:81], 3, s[0:1]
	v_add_u32_e32 v80, s9, v80
	v_ashrrev_i32_e32 v81, 31, v80
	v_lshl_add_u64 v[88:89], v[80:81], 3, s[0:1]
	global_load_dwordx2 v[90:91], v[86:87], off
	global_load_dwordx2 v[92:93], v[88:89], off
	v_add_u32_e32 v80, s9, v80
	v_ashrrev_i32_e32 v81, 31, v80
	v_lshl_add_u64 v[80:81], v[80:81], 3, s[0:1]
	s_waitcnt vmcnt(0)
	scratch_store_dwordx4 off, v[90:93], off offset:320
	global_load_dwordx2 v[90:91], v[80:81], off
	s_waitcnt vmcnt(0)
	scratch_store_dwordx2 off, v[90:91], off offset:336
	v_mov_b64_e32 v[90:91], -1.0
	s_cbranch_scc1 .LBB42_3
; %bb.2:
	scratch_load_dwordx2 v[90:91], v12, off
	s_waitcnt vmcnt(0)
	v_div_scale_f64 v[92:93], s[0:1], v[90:91], v[90:91], 1.0
	v_rcp_f64_e32 v[94:95], v[92:93]
	v_div_scale_f64 v[96:97], vcc, 1.0, v[90:91], 1.0
	v_fma_f64 v[98:99], -v[92:93], v[94:95], 1.0
	v_fmac_f64_e32 v[94:95], v[94:95], v[98:99]
	v_fma_f64 v[98:99], -v[92:93], v[94:95], 1.0
	v_fmac_f64_e32 v[94:95], v[94:95], v[98:99]
	v_mul_f64 v[98:99], v[96:97], v[94:95]
	v_fma_f64 v[92:93], -v[92:93], v[98:99], v[96:97]
	v_div_fmas_f64 v[92:93], v[92:93], v[94:95], v[98:99]
	v_div_fixup_f64 v[90:91], v[92:93], v[90:91], 1.0
	scratch_store_dwordx2 v12, v[90:91], off
	v_xor_b32_e32 v91, 0x80000000, v91
.LBB42_3:
	s_cmpk_eq_i32 s4, 0x79
	v_add_u32_e32 v1, 0x160, v12
	v_mov_b32_e32 v13, v12
	s_mov_b64 s[0:1], -1
	ds_write_b64 v12, v[90:91]
	s_cbranch_scc1 .LBB42_417
; %bb.4:
	scratch_load_dwordx2 v[90:91], off, off offset:328
	s_movk_i32 s8, 0x50
	s_movk_i32 s9, 0x60
	;; [unrolled: 1-line block ×16, first 2 shown]
	v_cmp_eq_u32_e64 s[0:1], 42, v0
	s_waitcnt vmcnt(0)
	ds_write_b64 v1, v[90:91]
	s_waitcnt lgkmcnt(0)
	; wave barrier
	s_and_saveexec_b64 s[2:3], s[0:1]
	s_cbranch_execz .LBB42_10
; %bb.5:
	s_and_b64 vcc, exec, s[6:7]
	s_cbranch_vccz .LBB42_7
; %bb.6:
	scratch_load_dwordx2 v[90:91], v13, off
	ds_read_b64 v[92:93], v1
	s_waitcnt vmcnt(0) lgkmcnt(0)
	v_mul_f64 v[90:91], v[90:91], v[92:93]
	s_cbranch_execz .LBB42_8
	s_branch .LBB42_9
.LBB42_7:
                                        ; implicit-def: $vgpr90_vgpr91
.LBB42_8:
	ds_read_b64 v[90:91], v1
.LBB42_9:
	v_mov_b32_e32 v92, 0
	ds_read_b64 v[92:93], v92 offset:328
	s_waitcnt lgkmcnt(0)
	v_mul_f64 v[90:91], v[90:91], v[92:93]
	scratch_store_dwordx2 off, v[90:91], off offset:328
.LBB42_10:
	s_or_b64 exec, exec, s[2:3]
	scratch_load_dwordx2 v[90:91], off, off offset:320
	s_mov_b32 s10, 16
	s_mov_b32 s11, 32
	;; [unrolled: 1-line block ×6, first 2 shown]
	v_cmp_lt_u32_e64 s[4:5], 40, v0
	s_waitcnt vmcnt(0)
	ds_write_b64 v1, v[90:91]
	s_waitcnt lgkmcnt(0)
	; wave barrier
	s_and_saveexec_b64 s[2:3], s[4:5]
	s_cbranch_execz .LBB42_16
; %bb.11:
	s_andn2_b64 vcc, exec, s[6:7]
	s_cbranch_vccnz .LBB42_13
; %bb.12:
	scratch_load_dwordx2 v[90:91], v13, off
	ds_read_b64 v[92:93], v1
	s_waitcnt vmcnt(0) lgkmcnt(0)
	v_mul_f64 v[90:91], v[90:91], v[92:93]
	s_cbranch_execz .LBB42_14
	s_branch .LBB42_15
.LBB42_13:
                                        ; implicit-def: $vgpr90_vgpr91
.LBB42_14:
	ds_read_b64 v[90:91], v1
.LBB42_15:
	scratch_load_dwordx2 v[96:97], off, off offset:328
	v_mov_b32_e32 v92, 0
	ds_read2_b64 v[92:95], v92 offset0:40 offset1:85
	s_waitcnt vmcnt(0) lgkmcnt(0)
	v_fma_f64 v[94:95], v[96:97], v[94:95], v[90:91]
	v_cndmask_b32_e64 v91, v91, v95, s[0:1]
	v_cndmask_b32_e64 v90, v90, v94, s[0:1]
	v_mul_f64 v[90:91], v[90:91], v[92:93]
	scratch_store_dwordx2 off, v[90:91], off offset:320
.LBB42_16:
	s_or_b64 exec, exec, s[2:3]
	scratch_load_dwordx2 v[90:91], off, off offset:312
	v_cmp_lt_u32_e64 s[2:3], 39, v0
	s_waitcnt vmcnt(0)
	ds_write_b64 v1, v[90:91]
	s_waitcnt lgkmcnt(0)
	; wave barrier
	s_and_saveexec_b64 s[0:1], s[2:3]
	s_cbranch_execz .LBB42_26
; %bb.17:
	s_andn2_b64 vcc, exec, s[6:7]
	s_cbranch_vccnz .LBB42_19
; %bb.18:
	scratch_load_dwordx2 v[90:91], v13, off
	ds_read_b64 v[92:93], v1
	s_waitcnt vmcnt(0) lgkmcnt(0)
	v_mul_f64 v[90:91], v[90:91], v[92:93]
	s_cbranch_execz .LBB42_20
	s_branch .LBB42_21
.LBB42_19:
                                        ; implicit-def: $vgpr90_vgpr91
.LBB42_20:
	ds_read_b64 v[90:91], v1
.LBB42_21:
	s_and_saveexec_b64 s[8:9], s[4:5]
	s_cbranch_execz .LBB42_25
; %bb.22:
	v_subrev_u32_e32 v92, 40, v0
	s_movk_i32 s30, 0x2a0
	s_mov_b64 s[4:5], 0
.LBB42_23:                              ; =>This Inner Loop Header: Depth=1
	scratch_load_dwordx2 v[94:95], off, s29
	v_mov_b32_e32 v93, s30
	ds_read_b64 v[96:97], v93
	v_add_u32_e32 v92, -1, v92
	s_add_i32 s30, s30, 8
	s_add_i32 s29, s29, 8
	v_cmp_eq_u32_e32 vcc, 0, v92
	s_or_b64 s[4:5], vcc, s[4:5]
	s_waitcnt vmcnt(0) lgkmcnt(0)
	v_fmac_f64_e32 v[90:91], v[94:95], v[96:97]
	s_andn2_b64 exec, exec, s[4:5]
	s_cbranch_execnz .LBB42_23
; %bb.24:
	s_or_b64 exec, exec, s[4:5]
.LBB42_25:
	s_or_b64 exec, exec, s[8:9]
	v_mov_b32_e32 v92, 0
	ds_read_b64 v[92:93], v92 offset:312
	s_waitcnt lgkmcnt(0)
	v_mul_f64 v[90:91], v[90:91], v[92:93]
	scratch_store_dwordx2 off, v[90:91], off offset:312
.LBB42_26:
	s_or_b64 exec, exec, s[0:1]
	scratch_load_dwordx2 v[90:91], off, off offset:304
	v_cmp_lt_u32_e64 s[0:1], 38, v0
	s_waitcnt vmcnt(0)
	ds_write_b64 v1, v[90:91]
	s_waitcnt lgkmcnt(0)
	; wave barrier
	s_and_saveexec_b64 s[4:5], s[0:1]
	s_cbranch_execz .LBB42_36
; %bb.27:
	s_andn2_b64 vcc, exec, s[6:7]
	s_cbranch_vccnz .LBB42_29
; %bb.28:
	scratch_load_dwordx2 v[90:91], v13, off
	ds_read_b64 v[92:93], v1
	s_waitcnt vmcnt(0) lgkmcnt(0)
	v_mul_f64 v[90:91], v[90:91], v[92:93]
	s_cbranch_execz .LBB42_30
	s_branch .LBB42_31
.LBB42_29:
                                        ; implicit-def: $vgpr90_vgpr91
.LBB42_30:
	ds_read_b64 v[90:91], v1
.LBB42_31:
	s_and_saveexec_b64 s[8:9], s[2:3]
	s_cbranch_execz .LBB42_35
; %bb.32:
	s_movk_i32 s29, 0x138
	v_subrev_u32_e32 v92, 39, v0
	s_movk_i32 s30, 0x298
	s_mov_b64 s[2:3], 0
.LBB42_33:                              ; =>This Inner Loop Header: Depth=1
	scratch_load_dwordx2 v[94:95], off, s29
	v_mov_b32_e32 v93, s30
	ds_read_b64 v[96:97], v93
	v_add_u32_e32 v92, -1, v92
	s_add_i32 s30, s30, 8
	s_add_i32 s29, s29, 8
	v_cmp_eq_u32_e32 vcc, 0, v92
	s_or_b64 s[2:3], vcc, s[2:3]
	s_waitcnt vmcnt(0) lgkmcnt(0)
	v_fmac_f64_e32 v[90:91], v[94:95], v[96:97]
	s_andn2_b64 exec, exec, s[2:3]
	s_cbranch_execnz .LBB42_33
; %bb.34:
	s_or_b64 exec, exec, s[2:3]
.LBB42_35:
	s_or_b64 exec, exec, s[8:9]
	v_mov_b32_e32 v92, 0
	ds_read_b64 v[92:93], v92 offset:304
	s_waitcnt lgkmcnt(0)
	v_mul_f64 v[90:91], v[90:91], v[92:93]
	scratch_store_dwordx2 off, v[90:91], off offset:304
.LBB42_36:
	s_or_b64 exec, exec, s[4:5]
	scratch_load_dwordx2 v[90:91], off, off offset:296
	v_cmp_lt_u32_e64 s[2:3], 37, v0
	s_waitcnt vmcnt(0)
	ds_write_b64 v1, v[90:91]
	s_waitcnt lgkmcnt(0)
	; wave barrier
	s_and_saveexec_b64 s[4:5], s[2:3]
	s_cbranch_execz .LBB42_46
; %bb.37:
	s_andn2_b64 vcc, exec, s[6:7]
	s_cbranch_vccnz .LBB42_39
; %bb.38:
	scratch_load_dwordx2 v[90:91], v13, off
	ds_read_b64 v[92:93], v1
	s_waitcnt vmcnt(0) lgkmcnt(0)
	v_mul_f64 v[90:91], v[90:91], v[92:93]
	s_cbranch_execz .LBB42_40
	s_branch .LBB42_41
.LBB42_39:
                                        ; implicit-def: $vgpr90_vgpr91
.LBB42_40:
	ds_read_b64 v[90:91], v1
.LBB42_41:
	s_and_saveexec_b64 s[8:9], s[0:1]
	s_cbranch_execz .LBB42_45
; %bb.42:
	v_subrev_u32_e32 v92, 38, v0
	s_movk_i32 s29, 0x290
	s_mov_b64 s[0:1], 0
.LBB42_43:                              ; =>This Inner Loop Header: Depth=1
	scratch_load_dwordx2 v[94:95], off, s28
	v_mov_b32_e32 v93, s29
	ds_read_b64 v[96:97], v93
	v_add_u32_e32 v92, -1, v92
	s_add_i32 s29, s29, 8
	s_add_i32 s28, s28, 8
	v_cmp_eq_u32_e32 vcc, 0, v92
	s_or_b64 s[0:1], vcc, s[0:1]
	s_waitcnt vmcnt(0) lgkmcnt(0)
	v_fmac_f64_e32 v[90:91], v[94:95], v[96:97]
	s_andn2_b64 exec, exec, s[0:1]
	s_cbranch_execnz .LBB42_43
; %bb.44:
	s_or_b64 exec, exec, s[0:1]
.LBB42_45:
	s_or_b64 exec, exec, s[8:9]
	v_mov_b32_e32 v92, 0
	ds_read_b64 v[92:93], v92 offset:296
	s_waitcnt lgkmcnt(0)
	v_mul_f64 v[90:91], v[90:91], v[92:93]
	scratch_store_dwordx2 off, v[90:91], off offset:296
.LBB42_46:
	s_or_b64 exec, exec, s[4:5]
	scratch_load_dwordx2 v[90:91], off, off offset:288
	v_cmp_lt_u32_e64 s[0:1], 36, v0
	s_waitcnt vmcnt(0)
	ds_write_b64 v1, v[90:91]
	s_waitcnt lgkmcnt(0)
	; wave barrier
	s_and_saveexec_b64 s[4:5], s[0:1]
	s_cbranch_execz .LBB42_56
; %bb.47:
	s_andn2_b64 vcc, exec, s[6:7]
	s_cbranch_vccnz .LBB42_49
; %bb.48:
	scratch_load_dwordx2 v[90:91], v13, off
	ds_read_b64 v[92:93], v1
	s_waitcnt vmcnt(0) lgkmcnt(0)
	v_mul_f64 v[90:91], v[90:91], v[92:93]
	s_cbranch_execz .LBB42_50
	s_branch .LBB42_51
.LBB42_49:
                                        ; implicit-def: $vgpr90_vgpr91
.LBB42_50:
	ds_read_b64 v[90:91], v1
.LBB42_51:
	s_and_saveexec_b64 s[8:9], s[2:3]
	s_cbranch_execz .LBB42_55
; %bb.52:
	s_movk_i32 s28, 0x128
	v_subrev_u32_e32 v92, 37, v0
	s_movk_i32 s29, 0x288
	s_mov_b64 s[2:3], 0
.LBB42_53:                              ; =>This Inner Loop Header: Depth=1
	scratch_load_dwordx2 v[94:95], off, s28
	v_mov_b32_e32 v93, s29
	ds_read_b64 v[96:97], v93
	v_add_u32_e32 v92, -1, v92
	s_add_i32 s29, s29, 8
	s_add_i32 s28, s28, 8
	v_cmp_eq_u32_e32 vcc, 0, v92
	s_or_b64 s[2:3], vcc, s[2:3]
	s_waitcnt vmcnt(0) lgkmcnt(0)
	v_fmac_f64_e32 v[90:91], v[94:95], v[96:97]
	s_andn2_b64 exec, exec, s[2:3]
	s_cbranch_execnz .LBB42_53
; %bb.54:
	s_or_b64 exec, exec, s[2:3]
.LBB42_55:
	s_or_b64 exec, exec, s[8:9]
	v_mov_b32_e32 v92, 0
	ds_read_b64 v[92:93], v92 offset:288
	s_waitcnt lgkmcnt(0)
	v_mul_f64 v[90:91], v[90:91], v[92:93]
	scratch_store_dwordx2 off, v[90:91], off offset:288
.LBB42_56:
	s_or_b64 exec, exec, s[4:5]
	scratch_load_dwordx2 v[90:91], off, off offset:280
	v_cmp_lt_u32_e64 s[2:3], 35, v0
	s_waitcnt vmcnt(0)
	ds_write_b64 v1, v[90:91]
	s_waitcnt lgkmcnt(0)
	; wave barrier
	s_and_saveexec_b64 s[4:5], s[2:3]
	s_cbranch_execz .LBB42_66
; %bb.57:
	s_andn2_b64 vcc, exec, s[6:7]
	s_cbranch_vccnz .LBB42_59
; %bb.58:
	scratch_load_dwordx2 v[90:91], v13, off
	ds_read_b64 v[92:93], v1
	s_waitcnt vmcnt(0) lgkmcnt(0)
	v_mul_f64 v[90:91], v[90:91], v[92:93]
	s_cbranch_execz .LBB42_60
	s_branch .LBB42_61
.LBB42_59:
                                        ; implicit-def: $vgpr90_vgpr91
.LBB42_60:
	ds_read_b64 v[90:91], v1
.LBB42_61:
	s_and_saveexec_b64 s[8:9], s[0:1]
	s_cbranch_execz .LBB42_65
; %bb.62:
	v_subrev_u32_e32 v92, 36, v0
	s_movk_i32 s28, 0x280
	s_mov_b64 s[0:1], 0
.LBB42_63:                              ; =>This Inner Loop Header: Depth=1
	scratch_load_dwordx2 v[94:95], off, s27
	v_mov_b32_e32 v93, s28
	ds_read_b64 v[96:97], v93
	v_add_u32_e32 v92, -1, v92
	s_add_i32 s28, s28, 8
	s_add_i32 s27, s27, 8
	v_cmp_eq_u32_e32 vcc, 0, v92
	s_or_b64 s[0:1], vcc, s[0:1]
	s_waitcnt vmcnt(0) lgkmcnt(0)
	v_fmac_f64_e32 v[90:91], v[94:95], v[96:97]
	s_andn2_b64 exec, exec, s[0:1]
	s_cbranch_execnz .LBB42_63
; %bb.64:
	s_or_b64 exec, exec, s[0:1]
.LBB42_65:
	s_or_b64 exec, exec, s[8:9]
	v_mov_b32_e32 v92, 0
	ds_read_b64 v[92:93], v92 offset:280
	s_waitcnt lgkmcnt(0)
	v_mul_f64 v[90:91], v[90:91], v[92:93]
	scratch_store_dwordx2 off, v[90:91], off offset:280
.LBB42_66:
	s_or_b64 exec, exec, s[4:5]
	scratch_load_dwordx2 v[90:91], off, off offset:272
	v_cmp_lt_u32_e64 s[0:1], 34, v0
	s_waitcnt vmcnt(0)
	ds_write_b64 v1, v[90:91]
	s_waitcnt lgkmcnt(0)
	; wave barrier
	s_and_saveexec_b64 s[4:5], s[0:1]
	s_cbranch_execz .LBB42_76
; %bb.67:
	s_andn2_b64 vcc, exec, s[6:7]
	s_cbranch_vccnz .LBB42_69
; %bb.68:
	scratch_load_dwordx2 v[90:91], v13, off
	ds_read_b64 v[92:93], v1
	s_waitcnt vmcnt(0) lgkmcnt(0)
	v_mul_f64 v[90:91], v[90:91], v[92:93]
	s_cbranch_execz .LBB42_70
	s_branch .LBB42_71
.LBB42_69:
                                        ; implicit-def: $vgpr90_vgpr91
.LBB42_70:
	ds_read_b64 v[90:91], v1
.LBB42_71:
	s_and_saveexec_b64 s[8:9], s[2:3]
	s_cbranch_execz .LBB42_75
; %bb.72:
	s_movk_i32 s27, 0x118
	v_subrev_u32_e32 v92, 35, v0
	s_movk_i32 s28, 0x278
	s_mov_b64 s[2:3], 0
.LBB42_73:                              ; =>This Inner Loop Header: Depth=1
	scratch_load_dwordx2 v[94:95], off, s27
	v_mov_b32_e32 v93, s28
	ds_read_b64 v[96:97], v93
	v_add_u32_e32 v92, -1, v92
	s_add_i32 s28, s28, 8
	s_add_i32 s27, s27, 8
	v_cmp_eq_u32_e32 vcc, 0, v92
	s_or_b64 s[2:3], vcc, s[2:3]
	s_waitcnt vmcnt(0) lgkmcnt(0)
	v_fmac_f64_e32 v[90:91], v[94:95], v[96:97]
	s_andn2_b64 exec, exec, s[2:3]
	s_cbranch_execnz .LBB42_73
; %bb.74:
	s_or_b64 exec, exec, s[2:3]
.LBB42_75:
	s_or_b64 exec, exec, s[8:9]
	v_mov_b32_e32 v92, 0
	ds_read_b64 v[92:93], v92 offset:272
	s_waitcnt lgkmcnt(0)
	v_mul_f64 v[90:91], v[90:91], v[92:93]
	scratch_store_dwordx2 off, v[90:91], off offset:272
.LBB42_76:
	s_or_b64 exec, exec, s[4:5]
	scratch_load_dwordx2 v[90:91], off, off offset:264
	v_cmp_lt_u32_e64 s[2:3], 33, v0
	s_waitcnt vmcnt(0)
	ds_write_b64 v1, v[90:91]
	s_waitcnt lgkmcnt(0)
	; wave barrier
	s_and_saveexec_b64 s[4:5], s[2:3]
	s_cbranch_execz .LBB42_86
; %bb.77:
	s_andn2_b64 vcc, exec, s[6:7]
	s_cbranch_vccnz .LBB42_79
; %bb.78:
	scratch_load_dwordx2 v[90:91], v13, off
	ds_read_b64 v[92:93], v1
	s_waitcnt vmcnt(0) lgkmcnt(0)
	v_mul_f64 v[90:91], v[90:91], v[92:93]
	s_cbranch_execz .LBB42_80
	s_branch .LBB42_81
.LBB42_79:
                                        ; implicit-def: $vgpr90_vgpr91
.LBB42_80:
	ds_read_b64 v[90:91], v1
.LBB42_81:
	s_and_saveexec_b64 s[8:9], s[0:1]
	s_cbranch_execz .LBB42_85
; %bb.82:
	v_subrev_u32_e32 v92, 34, v0
	s_movk_i32 s27, 0x270
	s_mov_b64 s[0:1], 0
.LBB42_83:                              ; =>This Inner Loop Header: Depth=1
	scratch_load_dwordx2 v[94:95], off, s26
	v_mov_b32_e32 v93, s27
	ds_read_b64 v[96:97], v93
	v_add_u32_e32 v92, -1, v92
	s_add_i32 s27, s27, 8
	s_add_i32 s26, s26, 8
	v_cmp_eq_u32_e32 vcc, 0, v92
	s_or_b64 s[0:1], vcc, s[0:1]
	s_waitcnt vmcnt(0) lgkmcnt(0)
	v_fmac_f64_e32 v[90:91], v[94:95], v[96:97]
	s_andn2_b64 exec, exec, s[0:1]
	s_cbranch_execnz .LBB42_83
; %bb.84:
	s_or_b64 exec, exec, s[0:1]
.LBB42_85:
	s_or_b64 exec, exec, s[8:9]
	v_mov_b32_e32 v92, 0
	ds_read_b64 v[92:93], v92 offset:264
	s_waitcnt lgkmcnt(0)
	v_mul_f64 v[90:91], v[90:91], v[92:93]
	scratch_store_dwordx2 off, v[90:91], off offset:264
.LBB42_86:
	s_or_b64 exec, exec, s[4:5]
	scratch_load_dwordx2 v[90:91], off, off offset:256
	v_cmp_lt_u32_e64 s[0:1], 32, v0
	s_waitcnt vmcnt(0)
	ds_write_b64 v1, v[90:91]
	s_waitcnt lgkmcnt(0)
	; wave barrier
	s_and_saveexec_b64 s[4:5], s[0:1]
	s_cbranch_execz .LBB42_96
; %bb.87:
	s_andn2_b64 vcc, exec, s[6:7]
	s_cbranch_vccnz .LBB42_89
; %bb.88:
	scratch_load_dwordx2 v[90:91], v13, off
	ds_read_b64 v[92:93], v1
	s_waitcnt vmcnt(0) lgkmcnt(0)
	v_mul_f64 v[90:91], v[90:91], v[92:93]
	s_cbranch_execz .LBB42_90
	s_branch .LBB42_91
.LBB42_89:
                                        ; implicit-def: $vgpr90_vgpr91
.LBB42_90:
	ds_read_b64 v[90:91], v1
.LBB42_91:
	s_and_saveexec_b64 s[8:9], s[2:3]
	s_cbranch_execz .LBB42_95
; %bb.92:
	s_movk_i32 s26, 0x108
	v_subrev_u32_e32 v92, 33, v0
	s_movk_i32 s27, 0x268
	s_mov_b64 s[2:3], 0
.LBB42_93:                              ; =>This Inner Loop Header: Depth=1
	scratch_load_dwordx2 v[94:95], off, s26
	v_mov_b32_e32 v93, s27
	ds_read_b64 v[96:97], v93
	v_add_u32_e32 v92, -1, v92
	s_add_i32 s27, s27, 8
	s_add_i32 s26, s26, 8
	v_cmp_eq_u32_e32 vcc, 0, v92
	s_or_b64 s[2:3], vcc, s[2:3]
	s_waitcnt vmcnt(0) lgkmcnt(0)
	v_fmac_f64_e32 v[90:91], v[94:95], v[96:97]
	s_andn2_b64 exec, exec, s[2:3]
	s_cbranch_execnz .LBB42_93
; %bb.94:
	s_or_b64 exec, exec, s[2:3]
.LBB42_95:
	s_or_b64 exec, exec, s[8:9]
	v_mov_b32_e32 v92, 0
	ds_read_b64 v[92:93], v92 offset:256
	s_waitcnt lgkmcnt(0)
	v_mul_f64 v[90:91], v[90:91], v[92:93]
	scratch_store_dwordx2 off, v[90:91], off offset:256
.LBB42_96:
	s_or_b64 exec, exec, s[4:5]
	scratch_load_dwordx2 v[90:91], off, off offset:248
	v_cmp_lt_u32_e64 s[2:3], 31, v0
	s_waitcnt vmcnt(0)
	ds_write_b64 v1, v[90:91]
	s_waitcnt lgkmcnt(0)
	; wave barrier
	s_and_saveexec_b64 s[4:5], s[2:3]
	s_cbranch_execz .LBB42_106
; %bb.97:
	s_andn2_b64 vcc, exec, s[6:7]
	s_cbranch_vccnz .LBB42_99
; %bb.98:
	scratch_load_dwordx2 v[90:91], v13, off
	ds_read_b64 v[92:93], v1
	s_waitcnt vmcnt(0) lgkmcnt(0)
	v_mul_f64 v[90:91], v[90:91], v[92:93]
	s_cbranch_execz .LBB42_100
	s_branch .LBB42_101
.LBB42_99:
                                        ; implicit-def: $vgpr90_vgpr91
.LBB42_100:
	ds_read_b64 v[90:91], v1
.LBB42_101:
	s_and_saveexec_b64 s[8:9], s[0:1]
	s_cbranch_execz .LBB42_105
; %bb.102:
	v_subrev_u32_e32 v92, 32, v0
	s_movk_i32 s26, 0x260
	s_mov_b64 s[0:1], 0
.LBB42_103:                             ; =>This Inner Loop Header: Depth=1
	scratch_load_dwordx2 v[94:95], off, s25
	v_mov_b32_e32 v93, s26
	ds_read_b64 v[96:97], v93
	v_add_u32_e32 v92, -1, v92
	s_add_i32 s26, s26, 8
	s_add_i32 s25, s25, 8
	v_cmp_eq_u32_e32 vcc, 0, v92
	s_or_b64 s[0:1], vcc, s[0:1]
	s_waitcnt vmcnt(0) lgkmcnt(0)
	v_fmac_f64_e32 v[90:91], v[94:95], v[96:97]
	s_andn2_b64 exec, exec, s[0:1]
	s_cbranch_execnz .LBB42_103
; %bb.104:
	s_or_b64 exec, exec, s[0:1]
.LBB42_105:
	s_or_b64 exec, exec, s[8:9]
	v_mov_b32_e32 v92, 0
	ds_read_b64 v[92:93], v92 offset:248
	s_waitcnt lgkmcnt(0)
	v_mul_f64 v[90:91], v[90:91], v[92:93]
	scratch_store_dwordx2 off, v[90:91], off offset:248
.LBB42_106:
	s_or_b64 exec, exec, s[4:5]
	scratch_load_dwordx2 v[90:91], off, off offset:240
	v_cmp_lt_u32_e64 s[0:1], 30, v0
	s_waitcnt vmcnt(0)
	ds_write_b64 v1, v[90:91]
	s_waitcnt lgkmcnt(0)
	; wave barrier
	s_and_saveexec_b64 s[4:5], s[0:1]
	s_cbranch_execz .LBB42_116
; %bb.107:
	s_andn2_b64 vcc, exec, s[6:7]
	s_cbranch_vccnz .LBB42_109
; %bb.108:
	scratch_load_dwordx2 v[90:91], v13, off
	ds_read_b64 v[92:93], v1
	s_waitcnt vmcnt(0) lgkmcnt(0)
	v_mul_f64 v[90:91], v[90:91], v[92:93]
	s_cbranch_execz .LBB42_110
	s_branch .LBB42_111
.LBB42_109:
                                        ; implicit-def: $vgpr90_vgpr91
.LBB42_110:
	ds_read_b64 v[90:91], v1
.LBB42_111:
	s_and_saveexec_b64 s[8:9], s[2:3]
	s_cbranch_execz .LBB42_115
; %bb.112:
	s_movk_i32 s25, 0xf8
	v_subrev_u32_e32 v92, 31, v0
	s_movk_i32 s26, 0x258
	s_mov_b64 s[2:3], 0
.LBB42_113:                             ; =>This Inner Loop Header: Depth=1
	scratch_load_dwordx2 v[94:95], off, s25
	v_mov_b32_e32 v93, s26
	ds_read_b64 v[96:97], v93
	v_add_u32_e32 v92, -1, v92
	s_add_i32 s26, s26, 8
	s_add_i32 s25, s25, 8
	v_cmp_eq_u32_e32 vcc, 0, v92
	s_or_b64 s[2:3], vcc, s[2:3]
	s_waitcnt vmcnt(0) lgkmcnt(0)
	v_fmac_f64_e32 v[90:91], v[94:95], v[96:97]
	s_andn2_b64 exec, exec, s[2:3]
	s_cbranch_execnz .LBB42_113
; %bb.114:
	s_or_b64 exec, exec, s[2:3]
.LBB42_115:
	s_or_b64 exec, exec, s[8:9]
	v_mov_b32_e32 v92, 0
	ds_read_b64 v[92:93], v92 offset:240
	s_waitcnt lgkmcnt(0)
	v_mul_f64 v[90:91], v[90:91], v[92:93]
	scratch_store_dwordx2 off, v[90:91], off offset:240
.LBB42_116:
	s_or_b64 exec, exec, s[4:5]
	scratch_load_dwordx2 v[90:91], off, off offset:232
	v_cmp_lt_u32_e64 s[2:3], 29, v0
	s_waitcnt vmcnt(0)
	ds_write_b64 v1, v[90:91]
	s_waitcnt lgkmcnt(0)
	; wave barrier
	s_and_saveexec_b64 s[4:5], s[2:3]
	s_cbranch_execz .LBB42_126
; %bb.117:
	s_andn2_b64 vcc, exec, s[6:7]
	s_cbranch_vccnz .LBB42_119
; %bb.118:
	scratch_load_dwordx2 v[90:91], v13, off
	ds_read_b64 v[92:93], v1
	s_waitcnt vmcnt(0) lgkmcnt(0)
	v_mul_f64 v[90:91], v[90:91], v[92:93]
	s_cbranch_execz .LBB42_120
	s_branch .LBB42_121
.LBB42_119:
                                        ; implicit-def: $vgpr90_vgpr91
.LBB42_120:
	ds_read_b64 v[90:91], v1
.LBB42_121:
	s_and_saveexec_b64 s[8:9], s[0:1]
	s_cbranch_execz .LBB42_125
; %bb.122:
	v_subrev_u32_e32 v92, 30, v0
	s_movk_i32 s25, 0x250
	s_mov_b64 s[0:1], 0
.LBB42_123:                             ; =>This Inner Loop Header: Depth=1
	scratch_load_dwordx2 v[94:95], off, s24
	v_mov_b32_e32 v93, s25
	ds_read_b64 v[96:97], v93
	v_add_u32_e32 v92, -1, v92
	s_add_i32 s25, s25, 8
	s_add_i32 s24, s24, 8
	v_cmp_eq_u32_e32 vcc, 0, v92
	s_or_b64 s[0:1], vcc, s[0:1]
	s_waitcnt vmcnt(0) lgkmcnt(0)
	v_fmac_f64_e32 v[90:91], v[94:95], v[96:97]
	s_andn2_b64 exec, exec, s[0:1]
	s_cbranch_execnz .LBB42_123
; %bb.124:
	s_or_b64 exec, exec, s[0:1]
.LBB42_125:
	s_or_b64 exec, exec, s[8:9]
	v_mov_b32_e32 v92, 0
	ds_read_b64 v[92:93], v92 offset:232
	s_waitcnt lgkmcnt(0)
	v_mul_f64 v[90:91], v[90:91], v[92:93]
	scratch_store_dwordx2 off, v[90:91], off offset:232
.LBB42_126:
	s_or_b64 exec, exec, s[4:5]
	scratch_load_dwordx2 v[90:91], off, off offset:224
	v_cmp_lt_u32_e64 s[0:1], 28, v0
	s_waitcnt vmcnt(0)
	ds_write_b64 v1, v[90:91]
	s_waitcnt lgkmcnt(0)
	; wave barrier
	s_and_saveexec_b64 s[4:5], s[0:1]
	s_cbranch_execz .LBB42_136
; %bb.127:
	s_andn2_b64 vcc, exec, s[6:7]
	s_cbranch_vccnz .LBB42_129
; %bb.128:
	scratch_load_dwordx2 v[90:91], v13, off
	ds_read_b64 v[92:93], v1
	s_waitcnt vmcnt(0) lgkmcnt(0)
	v_mul_f64 v[90:91], v[90:91], v[92:93]
	s_cbranch_execz .LBB42_130
	s_branch .LBB42_131
.LBB42_129:
                                        ; implicit-def: $vgpr90_vgpr91
.LBB42_130:
	ds_read_b64 v[90:91], v1
.LBB42_131:
	s_and_saveexec_b64 s[8:9], s[2:3]
	s_cbranch_execz .LBB42_135
; %bb.132:
	s_movk_i32 s24, 0xe8
	v_subrev_u32_e32 v92, 29, v0
	s_movk_i32 s25, 0x248
	s_mov_b64 s[2:3], 0
.LBB42_133:                             ; =>This Inner Loop Header: Depth=1
	scratch_load_dwordx2 v[94:95], off, s24
	v_mov_b32_e32 v93, s25
	ds_read_b64 v[96:97], v93
	v_add_u32_e32 v92, -1, v92
	s_add_i32 s25, s25, 8
	s_add_i32 s24, s24, 8
	v_cmp_eq_u32_e32 vcc, 0, v92
	s_or_b64 s[2:3], vcc, s[2:3]
	s_waitcnt vmcnt(0) lgkmcnt(0)
	v_fmac_f64_e32 v[90:91], v[94:95], v[96:97]
	s_andn2_b64 exec, exec, s[2:3]
	s_cbranch_execnz .LBB42_133
; %bb.134:
	s_or_b64 exec, exec, s[2:3]
.LBB42_135:
	s_or_b64 exec, exec, s[8:9]
	v_mov_b32_e32 v92, 0
	ds_read_b64 v[92:93], v92 offset:224
	s_waitcnt lgkmcnt(0)
	v_mul_f64 v[90:91], v[90:91], v[92:93]
	scratch_store_dwordx2 off, v[90:91], off offset:224
.LBB42_136:
	s_or_b64 exec, exec, s[4:5]
	scratch_load_dwordx2 v[90:91], off, off offset:216
	v_cmp_lt_u32_e64 s[2:3], 27, v0
	s_waitcnt vmcnt(0)
	ds_write_b64 v1, v[90:91]
	s_waitcnt lgkmcnt(0)
	; wave barrier
	s_and_saveexec_b64 s[4:5], s[2:3]
	s_cbranch_execz .LBB42_146
; %bb.137:
	s_andn2_b64 vcc, exec, s[6:7]
	s_cbranch_vccnz .LBB42_139
; %bb.138:
	scratch_load_dwordx2 v[90:91], v13, off
	ds_read_b64 v[92:93], v1
	s_waitcnt vmcnt(0) lgkmcnt(0)
	v_mul_f64 v[90:91], v[90:91], v[92:93]
	s_cbranch_execz .LBB42_140
	s_branch .LBB42_141
.LBB42_139:
                                        ; implicit-def: $vgpr90_vgpr91
.LBB42_140:
	ds_read_b64 v[90:91], v1
.LBB42_141:
	s_and_saveexec_b64 s[8:9], s[0:1]
	s_cbranch_execz .LBB42_145
; %bb.142:
	v_subrev_u32_e32 v92, 28, v0
	s_movk_i32 s24, 0x240
	s_mov_b64 s[0:1], 0
.LBB42_143:                             ; =>This Inner Loop Header: Depth=1
	scratch_load_dwordx2 v[94:95], off, s23
	v_mov_b32_e32 v93, s24
	ds_read_b64 v[96:97], v93
	v_add_u32_e32 v92, -1, v92
	s_add_i32 s24, s24, 8
	s_add_i32 s23, s23, 8
	v_cmp_eq_u32_e32 vcc, 0, v92
	s_or_b64 s[0:1], vcc, s[0:1]
	s_waitcnt vmcnt(0) lgkmcnt(0)
	v_fmac_f64_e32 v[90:91], v[94:95], v[96:97]
	s_andn2_b64 exec, exec, s[0:1]
	s_cbranch_execnz .LBB42_143
; %bb.144:
	s_or_b64 exec, exec, s[0:1]
.LBB42_145:
	s_or_b64 exec, exec, s[8:9]
	v_mov_b32_e32 v92, 0
	ds_read_b64 v[92:93], v92 offset:216
	s_waitcnt lgkmcnt(0)
	v_mul_f64 v[90:91], v[90:91], v[92:93]
	scratch_store_dwordx2 off, v[90:91], off offset:216
.LBB42_146:
	s_or_b64 exec, exec, s[4:5]
	scratch_load_dwordx2 v[90:91], off, off offset:208
	v_cmp_lt_u32_e64 s[0:1], 26, v0
	s_waitcnt vmcnt(0)
	ds_write_b64 v1, v[90:91]
	s_waitcnt lgkmcnt(0)
	; wave barrier
	s_and_saveexec_b64 s[4:5], s[0:1]
	s_cbranch_execz .LBB42_156
; %bb.147:
	s_andn2_b64 vcc, exec, s[6:7]
	s_cbranch_vccnz .LBB42_149
; %bb.148:
	scratch_load_dwordx2 v[90:91], v13, off
	ds_read_b64 v[92:93], v1
	s_waitcnt vmcnt(0) lgkmcnt(0)
	v_mul_f64 v[90:91], v[90:91], v[92:93]
	s_cbranch_execz .LBB42_150
	s_branch .LBB42_151
.LBB42_149:
                                        ; implicit-def: $vgpr90_vgpr91
.LBB42_150:
	ds_read_b64 v[90:91], v1
.LBB42_151:
	s_and_saveexec_b64 s[8:9], s[2:3]
	s_cbranch_execz .LBB42_155
; %bb.152:
	s_movk_i32 s23, 0xd8
	v_subrev_u32_e32 v92, 27, v0
	s_movk_i32 s24, 0x238
	s_mov_b64 s[2:3], 0
.LBB42_153:                             ; =>This Inner Loop Header: Depth=1
	scratch_load_dwordx2 v[94:95], off, s23
	v_mov_b32_e32 v93, s24
	ds_read_b64 v[96:97], v93
	v_add_u32_e32 v92, -1, v92
	s_add_i32 s24, s24, 8
	s_add_i32 s23, s23, 8
	v_cmp_eq_u32_e32 vcc, 0, v92
	s_or_b64 s[2:3], vcc, s[2:3]
	s_waitcnt vmcnt(0) lgkmcnt(0)
	v_fmac_f64_e32 v[90:91], v[94:95], v[96:97]
	s_andn2_b64 exec, exec, s[2:3]
	s_cbranch_execnz .LBB42_153
; %bb.154:
	s_or_b64 exec, exec, s[2:3]
.LBB42_155:
	s_or_b64 exec, exec, s[8:9]
	v_mov_b32_e32 v92, 0
	ds_read_b64 v[92:93], v92 offset:208
	s_waitcnt lgkmcnt(0)
	v_mul_f64 v[90:91], v[90:91], v[92:93]
	scratch_store_dwordx2 off, v[90:91], off offset:208
.LBB42_156:
	s_or_b64 exec, exec, s[4:5]
	scratch_load_dwordx2 v[90:91], off, off offset:200
	v_cmp_lt_u32_e64 s[2:3], 25, v0
	s_waitcnt vmcnt(0)
	ds_write_b64 v1, v[90:91]
	s_waitcnt lgkmcnt(0)
	; wave barrier
	s_and_saveexec_b64 s[4:5], s[2:3]
	s_cbranch_execz .LBB42_166
; %bb.157:
	s_andn2_b64 vcc, exec, s[6:7]
	s_cbranch_vccnz .LBB42_159
; %bb.158:
	scratch_load_dwordx2 v[90:91], v13, off
	ds_read_b64 v[92:93], v1
	s_waitcnt vmcnt(0) lgkmcnt(0)
	v_mul_f64 v[90:91], v[90:91], v[92:93]
	s_cbranch_execz .LBB42_160
	s_branch .LBB42_161
.LBB42_159:
                                        ; implicit-def: $vgpr90_vgpr91
.LBB42_160:
	ds_read_b64 v[90:91], v1
.LBB42_161:
	s_and_saveexec_b64 s[8:9], s[0:1]
	s_cbranch_execz .LBB42_165
; %bb.162:
	v_subrev_u32_e32 v92, 26, v0
	s_movk_i32 s23, 0x230
	s_mov_b64 s[0:1], 0
.LBB42_163:                             ; =>This Inner Loop Header: Depth=1
	scratch_load_dwordx2 v[94:95], off, s22
	v_mov_b32_e32 v93, s23
	ds_read_b64 v[96:97], v93
	v_add_u32_e32 v92, -1, v92
	s_add_i32 s23, s23, 8
	s_add_i32 s22, s22, 8
	v_cmp_eq_u32_e32 vcc, 0, v92
	s_or_b64 s[0:1], vcc, s[0:1]
	s_waitcnt vmcnt(0) lgkmcnt(0)
	v_fmac_f64_e32 v[90:91], v[94:95], v[96:97]
	s_andn2_b64 exec, exec, s[0:1]
	s_cbranch_execnz .LBB42_163
; %bb.164:
	s_or_b64 exec, exec, s[0:1]
.LBB42_165:
	s_or_b64 exec, exec, s[8:9]
	v_mov_b32_e32 v92, 0
	ds_read_b64 v[92:93], v92 offset:200
	s_waitcnt lgkmcnt(0)
	v_mul_f64 v[90:91], v[90:91], v[92:93]
	scratch_store_dwordx2 off, v[90:91], off offset:200
.LBB42_166:
	s_or_b64 exec, exec, s[4:5]
	scratch_load_dwordx2 v[90:91], off, off offset:192
	v_cmp_lt_u32_e64 s[0:1], 24, v0
	s_waitcnt vmcnt(0)
	ds_write_b64 v1, v[90:91]
	s_waitcnt lgkmcnt(0)
	; wave barrier
	s_and_saveexec_b64 s[4:5], s[0:1]
	s_cbranch_execz .LBB42_176
; %bb.167:
	s_andn2_b64 vcc, exec, s[6:7]
	s_cbranch_vccnz .LBB42_169
; %bb.168:
	scratch_load_dwordx2 v[90:91], v13, off
	ds_read_b64 v[92:93], v1
	s_waitcnt vmcnt(0) lgkmcnt(0)
	v_mul_f64 v[90:91], v[90:91], v[92:93]
	s_cbranch_execz .LBB42_170
	s_branch .LBB42_171
.LBB42_169:
                                        ; implicit-def: $vgpr90_vgpr91
.LBB42_170:
	ds_read_b64 v[90:91], v1
.LBB42_171:
	s_and_saveexec_b64 s[8:9], s[2:3]
	s_cbranch_execz .LBB42_175
; %bb.172:
	s_movk_i32 s22, 0xc8
	v_subrev_u32_e32 v92, 25, v0
	s_movk_i32 s23, 0x228
	s_mov_b64 s[2:3], 0
.LBB42_173:                             ; =>This Inner Loop Header: Depth=1
	scratch_load_dwordx2 v[94:95], off, s22
	v_mov_b32_e32 v93, s23
	ds_read_b64 v[96:97], v93
	v_add_u32_e32 v92, -1, v92
	s_add_i32 s23, s23, 8
	s_add_i32 s22, s22, 8
	v_cmp_eq_u32_e32 vcc, 0, v92
	s_or_b64 s[2:3], vcc, s[2:3]
	s_waitcnt vmcnt(0) lgkmcnt(0)
	v_fmac_f64_e32 v[90:91], v[94:95], v[96:97]
	s_andn2_b64 exec, exec, s[2:3]
	s_cbranch_execnz .LBB42_173
; %bb.174:
	s_or_b64 exec, exec, s[2:3]
.LBB42_175:
	s_or_b64 exec, exec, s[8:9]
	v_mov_b32_e32 v92, 0
	ds_read_b64 v[92:93], v92 offset:192
	s_waitcnt lgkmcnt(0)
	v_mul_f64 v[90:91], v[90:91], v[92:93]
	scratch_store_dwordx2 off, v[90:91], off offset:192
.LBB42_176:
	s_or_b64 exec, exec, s[4:5]
	scratch_load_dwordx2 v[90:91], off, off offset:184
	v_cmp_lt_u32_e64 s[2:3], 23, v0
	s_waitcnt vmcnt(0)
	ds_write_b64 v1, v[90:91]
	s_waitcnt lgkmcnt(0)
	; wave barrier
	s_and_saveexec_b64 s[4:5], s[2:3]
	s_cbranch_execz .LBB42_186
; %bb.177:
	s_andn2_b64 vcc, exec, s[6:7]
	s_cbranch_vccnz .LBB42_179
; %bb.178:
	scratch_load_dwordx2 v[90:91], v13, off
	ds_read_b64 v[92:93], v1
	s_waitcnt vmcnt(0) lgkmcnt(0)
	v_mul_f64 v[90:91], v[90:91], v[92:93]
	s_cbranch_execz .LBB42_180
	s_branch .LBB42_181
.LBB42_179:
                                        ; implicit-def: $vgpr90_vgpr91
.LBB42_180:
	ds_read_b64 v[90:91], v1
.LBB42_181:
	s_and_saveexec_b64 s[8:9], s[0:1]
	s_cbranch_execz .LBB42_185
; %bb.182:
	v_subrev_u32_e32 v92, 24, v0
	s_movk_i32 s22, 0x220
	s_mov_b64 s[0:1], 0
.LBB42_183:                             ; =>This Inner Loop Header: Depth=1
	scratch_load_dwordx2 v[94:95], off, s21
	v_mov_b32_e32 v93, s22
	ds_read_b64 v[96:97], v93
	v_add_u32_e32 v92, -1, v92
	s_add_i32 s22, s22, 8
	s_add_i32 s21, s21, 8
	v_cmp_eq_u32_e32 vcc, 0, v92
	s_or_b64 s[0:1], vcc, s[0:1]
	s_waitcnt vmcnt(0) lgkmcnt(0)
	v_fmac_f64_e32 v[90:91], v[94:95], v[96:97]
	s_andn2_b64 exec, exec, s[0:1]
	s_cbranch_execnz .LBB42_183
; %bb.184:
	s_or_b64 exec, exec, s[0:1]
.LBB42_185:
	s_or_b64 exec, exec, s[8:9]
	v_mov_b32_e32 v92, 0
	ds_read_b64 v[92:93], v92 offset:184
	s_waitcnt lgkmcnt(0)
	v_mul_f64 v[90:91], v[90:91], v[92:93]
	scratch_store_dwordx2 off, v[90:91], off offset:184
.LBB42_186:
	s_or_b64 exec, exec, s[4:5]
	scratch_load_dwordx2 v[90:91], off, off offset:176
	v_cmp_lt_u32_e64 s[0:1], 22, v0
	s_waitcnt vmcnt(0)
	ds_write_b64 v1, v[90:91]
	s_waitcnt lgkmcnt(0)
	; wave barrier
	s_and_saveexec_b64 s[4:5], s[0:1]
	s_cbranch_execz .LBB42_196
; %bb.187:
	s_andn2_b64 vcc, exec, s[6:7]
	s_cbranch_vccnz .LBB42_189
; %bb.188:
	scratch_load_dwordx2 v[90:91], v13, off
	ds_read_b64 v[92:93], v1
	s_waitcnt vmcnt(0) lgkmcnt(0)
	v_mul_f64 v[90:91], v[90:91], v[92:93]
	s_cbranch_execz .LBB42_190
	s_branch .LBB42_191
.LBB42_189:
                                        ; implicit-def: $vgpr90_vgpr91
.LBB42_190:
	ds_read_b64 v[90:91], v1
.LBB42_191:
	s_and_saveexec_b64 s[8:9], s[2:3]
	s_cbranch_execz .LBB42_195
; %bb.192:
	s_movk_i32 s21, 0xb8
	v_subrev_u32_e32 v92, 23, v0
	s_movk_i32 s22, 0x218
	s_mov_b64 s[2:3], 0
.LBB42_193:                             ; =>This Inner Loop Header: Depth=1
	scratch_load_dwordx2 v[94:95], off, s21
	v_mov_b32_e32 v93, s22
	ds_read_b64 v[96:97], v93
	v_add_u32_e32 v92, -1, v92
	s_add_i32 s22, s22, 8
	s_add_i32 s21, s21, 8
	v_cmp_eq_u32_e32 vcc, 0, v92
	s_or_b64 s[2:3], vcc, s[2:3]
	s_waitcnt vmcnt(0) lgkmcnt(0)
	v_fmac_f64_e32 v[90:91], v[94:95], v[96:97]
	s_andn2_b64 exec, exec, s[2:3]
	s_cbranch_execnz .LBB42_193
; %bb.194:
	s_or_b64 exec, exec, s[2:3]
.LBB42_195:
	s_or_b64 exec, exec, s[8:9]
	v_mov_b32_e32 v92, 0
	ds_read_b64 v[92:93], v92 offset:176
	s_waitcnt lgkmcnt(0)
	v_mul_f64 v[90:91], v[90:91], v[92:93]
	scratch_store_dwordx2 off, v[90:91], off offset:176
.LBB42_196:
	s_or_b64 exec, exec, s[4:5]
	scratch_load_dwordx2 v[90:91], off, off offset:168
	v_cmp_lt_u32_e64 s[2:3], 21, v0
	s_waitcnt vmcnt(0)
	ds_write_b64 v1, v[90:91]
	s_waitcnt lgkmcnt(0)
	; wave barrier
	s_and_saveexec_b64 s[4:5], s[2:3]
	s_cbranch_execz .LBB42_206
; %bb.197:
	s_andn2_b64 vcc, exec, s[6:7]
	s_cbranch_vccnz .LBB42_199
; %bb.198:
	scratch_load_dwordx2 v[90:91], v13, off
	ds_read_b64 v[92:93], v1
	s_waitcnt vmcnt(0) lgkmcnt(0)
	v_mul_f64 v[90:91], v[90:91], v[92:93]
	s_cbranch_execz .LBB42_200
	s_branch .LBB42_201
.LBB42_199:
                                        ; implicit-def: $vgpr90_vgpr91
.LBB42_200:
	ds_read_b64 v[90:91], v1
.LBB42_201:
	s_and_saveexec_b64 s[8:9], s[0:1]
	s_cbranch_execz .LBB42_205
; %bb.202:
	v_subrev_u32_e32 v92, 22, v0
	s_movk_i32 s21, 0x210
	s_mov_b64 s[0:1], 0
.LBB42_203:                             ; =>This Inner Loop Header: Depth=1
	scratch_load_dwordx2 v[94:95], off, s20
	v_mov_b32_e32 v93, s21
	ds_read_b64 v[96:97], v93
	v_add_u32_e32 v92, -1, v92
	s_add_i32 s21, s21, 8
	s_add_i32 s20, s20, 8
	v_cmp_eq_u32_e32 vcc, 0, v92
	s_or_b64 s[0:1], vcc, s[0:1]
	s_waitcnt vmcnt(0) lgkmcnt(0)
	v_fmac_f64_e32 v[90:91], v[94:95], v[96:97]
	s_andn2_b64 exec, exec, s[0:1]
	s_cbranch_execnz .LBB42_203
; %bb.204:
	s_or_b64 exec, exec, s[0:1]
.LBB42_205:
	s_or_b64 exec, exec, s[8:9]
	v_mov_b32_e32 v92, 0
	ds_read_b64 v[92:93], v92 offset:168
	s_waitcnt lgkmcnt(0)
	v_mul_f64 v[90:91], v[90:91], v[92:93]
	scratch_store_dwordx2 off, v[90:91], off offset:168
.LBB42_206:
	s_or_b64 exec, exec, s[4:5]
	scratch_load_dwordx2 v[90:91], off, off offset:160
	v_cmp_lt_u32_e64 s[0:1], 20, v0
	s_waitcnt vmcnt(0)
	ds_write_b64 v1, v[90:91]
	s_waitcnt lgkmcnt(0)
	; wave barrier
	s_and_saveexec_b64 s[4:5], s[0:1]
	s_cbranch_execz .LBB42_216
; %bb.207:
	s_andn2_b64 vcc, exec, s[6:7]
	s_cbranch_vccnz .LBB42_209
; %bb.208:
	scratch_load_dwordx2 v[90:91], v13, off
	ds_read_b64 v[92:93], v1
	s_waitcnt vmcnt(0) lgkmcnt(0)
	v_mul_f64 v[90:91], v[90:91], v[92:93]
	s_cbranch_execz .LBB42_210
	s_branch .LBB42_211
.LBB42_209:
                                        ; implicit-def: $vgpr90_vgpr91
.LBB42_210:
	ds_read_b64 v[90:91], v1
.LBB42_211:
	s_and_saveexec_b64 s[8:9], s[2:3]
	s_cbranch_execz .LBB42_215
; %bb.212:
	s_movk_i32 s20, 0xa8
	v_subrev_u32_e32 v92, 21, v0
	s_movk_i32 s21, 0x208
	s_mov_b64 s[2:3], 0
.LBB42_213:                             ; =>This Inner Loop Header: Depth=1
	scratch_load_dwordx2 v[94:95], off, s20
	v_mov_b32_e32 v93, s21
	ds_read_b64 v[96:97], v93
	v_add_u32_e32 v92, -1, v92
	s_add_i32 s21, s21, 8
	s_add_i32 s20, s20, 8
	v_cmp_eq_u32_e32 vcc, 0, v92
	s_or_b64 s[2:3], vcc, s[2:3]
	s_waitcnt vmcnt(0) lgkmcnt(0)
	v_fmac_f64_e32 v[90:91], v[94:95], v[96:97]
	s_andn2_b64 exec, exec, s[2:3]
	s_cbranch_execnz .LBB42_213
; %bb.214:
	s_or_b64 exec, exec, s[2:3]
.LBB42_215:
	s_or_b64 exec, exec, s[8:9]
	v_mov_b32_e32 v92, 0
	ds_read_b64 v[92:93], v92 offset:160
	s_waitcnt lgkmcnt(0)
	v_mul_f64 v[90:91], v[90:91], v[92:93]
	scratch_store_dwordx2 off, v[90:91], off offset:160
.LBB42_216:
	s_or_b64 exec, exec, s[4:5]
	scratch_load_dwordx2 v[90:91], off, off offset:152
	v_cmp_lt_u32_e64 s[2:3], 19, v0
	s_waitcnt vmcnt(0)
	ds_write_b64 v1, v[90:91]
	s_waitcnt lgkmcnt(0)
	; wave barrier
	s_and_saveexec_b64 s[4:5], s[2:3]
	s_cbranch_execz .LBB42_226
; %bb.217:
	s_andn2_b64 vcc, exec, s[6:7]
	s_cbranch_vccnz .LBB42_219
; %bb.218:
	scratch_load_dwordx2 v[90:91], v13, off
	ds_read_b64 v[92:93], v1
	s_waitcnt vmcnt(0) lgkmcnt(0)
	v_mul_f64 v[90:91], v[90:91], v[92:93]
	s_cbranch_execz .LBB42_220
	s_branch .LBB42_221
.LBB42_219:
                                        ; implicit-def: $vgpr90_vgpr91
.LBB42_220:
	ds_read_b64 v[90:91], v1
.LBB42_221:
	s_and_saveexec_b64 s[8:9], s[0:1]
	s_cbranch_execz .LBB42_225
; %bb.222:
	v_subrev_u32_e32 v92, 20, v0
	s_movk_i32 s20, 0x200
	s_mov_b64 s[0:1], 0
.LBB42_223:                             ; =>This Inner Loop Header: Depth=1
	scratch_load_dwordx2 v[94:95], off, s19
	v_mov_b32_e32 v93, s20
	ds_read_b64 v[96:97], v93
	v_add_u32_e32 v92, -1, v92
	s_add_i32 s20, s20, 8
	s_add_i32 s19, s19, 8
	v_cmp_eq_u32_e32 vcc, 0, v92
	s_or_b64 s[0:1], vcc, s[0:1]
	s_waitcnt vmcnt(0) lgkmcnt(0)
	v_fmac_f64_e32 v[90:91], v[94:95], v[96:97]
	s_andn2_b64 exec, exec, s[0:1]
	s_cbranch_execnz .LBB42_223
; %bb.224:
	s_or_b64 exec, exec, s[0:1]
.LBB42_225:
	s_or_b64 exec, exec, s[8:9]
	v_mov_b32_e32 v92, 0
	ds_read_b64 v[92:93], v92 offset:152
	s_waitcnt lgkmcnt(0)
	v_mul_f64 v[90:91], v[90:91], v[92:93]
	scratch_store_dwordx2 off, v[90:91], off offset:152
.LBB42_226:
	s_or_b64 exec, exec, s[4:5]
	scratch_load_dwordx2 v[90:91], off, off offset:144
	v_cmp_lt_u32_e64 s[0:1], 18, v0
	s_waitcnt vmcnt(0)
	ds_write_b64 v1, v[90:91]
	s_waitcnt lgkmcnt(0)
	; wave barrier
	s_and_saveexec_b64 s[4:5], s[0:1]
	s_cbranch_execz .LBB42_236
; %bb.227:
	s_andn2_b64 vcc, exec, s[6:7]
	s_cbranch_vccnz .LBB42_229
; %bb.228:
	scratch_load_dwordx2 v[90:91], v13, off
	ds_read_b64 v[92:93], v1
	s_waitcnt vmcnt(0) lgkmcnt(0)
	v_mul_f64 v[90:91], v[90:91], v[92:93]
	s_cbranch_execz .LBB42_230
	s_branch .LBB42_231
.LBB42_229:
                                        ; implicit-def: $vgpr90_vgpr91
.LBB42_230:
	ds_read_b64 v[90:91], v1
.LBB42_231:
	s_and_saveexec_b64 s[8:9], s[2:3]
	s_cbranch_execz .LBB42_235
; %bb.232:
	s_movk_i32 s19, 0x98
	v_subrev_u32_e32 v92, 19, v0
	s_movk_i32 s20, 0x1f8
	s_mov_b64 s[2:3], 0
.LBB42_233:                             ; =>This Inner Loop Header: Depth=1
	scratch_load_dwordx2 v[94:95], off, s19
	v_mov_b32_e32 v93, s20
	ds_read_b64 v[96:97], v93
	v_add_u32_e32 v92, -1, v92
	s_add_i32 s20, s20, 8
	s_add_i32 s19, s19, 8
	v_cmp_eq_u32_e32 vcc, 0, v92
	s_or_b64 s[2:3], vcc, s[2:3]
	s_waitcnt vmcnt(0) lgkmcnt(0)
	v_fmac_f64_e32 v[90:91], v[94:95], v[96:97]
	s_andn2_b64 exec, exec, s[2:3]
	s_cbranch_execnz .LBB42_233
; %bb.234:
	s_or_b64 exec, exec, s[2:3]
.LBB42_235:
	s_or_b64 exec, exec, s[8:9]
	v_mov_b32_e32 v92, 0
	ds_read_b64 v[92:93], v92 offset:144
	s_waitcnt lgkmcnt(0)
	v_mul_f64 v[90:91], v[90:91], v[92:93]
	scratch_store_dwordx2 off, v[90:91], off offset:144
.LBB42_236:
	s_or_b64 exec, exec, s[4:5]
	scratch_load_dwordx2 v[90:91], off, off offset:136
	v_cmp_lt_u32_e64 s[2:3], 17, v0
	s_waitcnt vmcnt(0)
	ds_write_b64 v1, v[90:91]
	s_waitcnt lgkmcnt(0)
	; wave barrier
	s_and_saveexec_b64 s[4:5], s[2:3]
	s_cbranch_execz .LBB42_246
; %bb.237:
	s_andn2_b64 vcc, exec, s[6:7]
	s_cbranch_vccnz .LBB42_239
; %bb.238:
	scratch_load_dwordx2 v[90:91], v13, off
	ds_read_b64 v[92:93], v1
	s_waitcnt vmcnt(0) lgkmcnt(0)
	v_mul_f64 v[90:91], v[90:91], v[92:93]
	s_cbranch_execz .LBB42_240
	s_branch .LBB42_241
.LBB42_239:
                                        ; implicit-def: $vgpr90_vgpr91
.LBB42_240:
	ds_read_b64 v[90:91], v1
.LBB42_241:
	s_and_saveexec_b64 s[8:9], s[0:1]
	s_cbranch_execz .LBB42_245
; %bb.242:
	v_subrev_u32_e32 v92, 18, v0
	s_movk_i32 s19, 0x1f0
	s_mov_b64 s[0:1], 0
.LBB42_243:                             ; =>This Inner Loop Header: Depth=1
	scratch_load_dwordx2 v[94:95], off, s18
	v_mov_b32_e32 v93, s19
	ds_read_b64 v[96:97], v93
	v_add_u32_e32 v92, -1, v92
	s_add_i32 s19, s19, 8
	s_add_i32 s18, s18, 8
	v_cmp_eq_u32_e32 vcc, 0, v92
	s_or_b64 s[0:1], vcc, s[0:1]
	s_waitcnt vmcnt(0) lgkmcnt(0)
	v_fmac_f64_e32 v[90:91], v[94:95], v[96:97]
	s_andn2_b64 exec, exec, s[0:1]
	s_cbranch_execnz .LBB42_243
; %bb.244:
	s_or_b64 exec, exec, s[0:1]
.LBB42_245:
	s_or_b64 exec, exec, s[8:9]
	v_mov_b32_e32 v92, 0
	ds_read_b64 v[92:93], v92 offset:136
	s_waitcnt lgkmcnt(0)
	v_mul_f64 v[90:91], v[90:91], v[92:93]
	scratch_store_dwordx2 off, v[90:91], off offset:136
.LBB42_246:
	s_or_b64 exec, exec, s[4:5]
	scratch_load_dwordx2 v[90:91], off, off offset:128
	v_cmp_lt_u32_e64 s[0:1], 16, v0
	s_waitcnt vmcnt(0)
	ds_write_b64 v1, v[90:91]
	s_waitcnt lgkmcnt(0)
	; wave barrier
	s_and_saveexec_b64 s[4:5], s[0:1]
	s_cbranch_execz .LBB42_256
; %bb.247:
	s_andn2_b64 vcc, exec, s[6:7]
	s_cbranch_vccnz .LBB42_249
; %bb.248:
	scratch_load_dwordx2 v[90:91], v13, off
	ds_read_b64 v[92:93], v1
	s_waitcnt vmcnt(0) lgkmcnt(0)
	v_mul_f64 v[90:91], v[90:91], v[92:93]
	s_cbranch_execz .LBB42_250
	s_branch .LBB42_251
.LBB42_249:
                                        ; implicit-def: $vgpr90_vgpr91
.LBB42_250:
	ds_read_b64 v[90:91], v1
.LBB42_251:
	s_and_saveexec_b64 s[8:9], s[2:3]
	s_cbranch_execz .LBB42_255
; %bb.252:
	s_movk_i32 s18, 0x88
	v_subrev_u32_e32 v92, 17, v0
	s_movk_i32 s19, 0x1e8
	s_mov_b64 s[2:3], 0
.LBB42_253:                             ; =>This Inner Loop Header: Depth=1
	scratch_load_dwordx2 v[94:95], off, s18
	v_mov_b32_e32 v93, s19
	ds_read_b64 v[96:97], v93
	v_add_u32_e32 v92, -1, v92
	s_add_i32 s19, s19, 8
	s_add_i32 s18, s18, 8
	v_cmp_eq_u32_e32 vcc, 0, v92
	s_or_b64 s[2:3], vcc, s[2:3]
	s_waitcnt vmcnt(0) lgkmcnt(0)
	v_fmac_f64_e32 v[90:91], v[94:95], v[96:97]
	s_andn2_b64 exec, exec, s[2:3]
	s_cbranch_execnz .LBB42_253
; %bb.254:
	s_or_b64 exec, exec, s[2:3]
.LBB42_255:
	s_or_b64 exec, exec, s[8:9]
	v_mov_b32_e32 v92, 0
	ds_read_b64 v[92:93], v92 offset:128
	s_waitcnt lgkmcnt(0)
	v_mul_f64 v[90:91], v[90:91], v[92:93]
	scratch_store_dwordx2 off, v[90:91], off offset:128
.LBB42_256:
	s_or_b64 exec, exec, s[4:5]
	scratch_load_dwordx2 v[90:91], off, off offset:120
	v_cmp_lt_u32_e64 s[2:3], 15, v0
	s_waitcnt vmcnt(0)
	ds_write_b64 v1, v[90:91]
	s_waitcnt lgkmcnt(0)
	; wave barrier
	s_and_saveexec_b64 s[4:5], s[2:3]
	s_cbranch_execz .LBB42_266
; %bb.257:
	s_andn2_b64 vcc, exec, s[6:7]
	s_cbranch_vccnz .LBB42_259
; %bb.258:
	scratch_load_dwordx2 v[90:91], v13, off
	ds_read_b64 v[92:93], v1
	s_waitcnt vmcnt(0) lgkmcnt(0)
	v_mul_f64 v[90:91], v[90:91], v[92:93]
	s_cbranch_execz .LBB42_260
	s_branch .LBB42_261
.LBB42_259:
                                        ; implicit-def: $vgpr90_vgpr91
.LBB42_260:
	ds_read_b64 v[90:91], v1
.LBB42_261:
	s_and_saveexec_b64 s[8:9], s[0:1]
	s_cbranch_execz .LBB42_265
; %bb.262:
	v_add_u32_e32 v92, -16, v0
	s_movk_i32 s18, 0x1e0
	s_mov_b64 s[0:1], 0
.LBB42_263:                             ; =>This Inner Loop Header: Depth=1
	scratch_load_dwordx2 v[94:95], off, s17
	v_mov_b32_e32 v93, s18
	ds_read_b64 v[96:97], v93
	v_add_u32_e32 v92, -1, v92
	s_add_i32 s18, s18, 8
	s_add_i32 s17, s17, 8
	v_cmp_eq_u32_e32 vcc, 0, v92
	s_or_b64 s[0:1], vcc, s[0:1]
	s_waitcnt vmcnt(0) lgkmcnt(0)
	v_fmac_f64_e32 v[90:91], v[94:95], v[96:97]
	s_andn2_b64 exec, exec, s[0:1]
	s_cbranch_execnz .LBB42_263
; %bb.264:
	s_or_b64 exec, exec, s[0:1]
.LBB42_265:
	s_or_b64 exec, exec, s[8:9]
	v_mov_b32_e32 v92, 0
	ds_read_b64 v[92:93], v92 offset:120
	s_waitcnt lgkmcnt(0)
	v_mul_f64 v[90:91], v[90:91], v[92:93]
	scratch_store_dwordx2 off, v[90:91], off offset:120
.LBB42_266:
	s_or_b64 exec, exec, s[4:5]
	scratch_load_dwordx2 v[90:91], off, off offset:112
	v_cmp_lt_u32_e64 s[0:1], 14, v0
	s_waitcnt vmcnt(0)
	ds_write_b64 v1, v[90:91]
	s_waitcnt lgkmcnt(0)
	; wave barrier
	s_and_saveexec_b64 s[4:5], s[0:1]
	s_cbranch_execz .LBB42_276
; %bb.267:
	s_andn2_b64 vcc, exec, s[6:7]
	s_cbranch_vccnz .LBB42_269
; %bb.268:
	scratch_load_dwordx2 v[90:91], v13, off
	ds_read_b64 v[92:93], v1
	s_waitcnt vmcnt(0) lgkmcnt(0)
	v_mul_f64 v[90:91], v[90:91], v[92:93]
	s_cbranch_execz .LBB42_270
	s_branch .LBB42_271
.LBB42_269:
                                        ; implicit-def: $vgpr90_vgpr91
.LBB42_270:
	ds_read_b64 v[90:91], v1
.LBB42_271:
	s_and_saveexec_b64 s[8:9], s[2:3]
	s_cbranch_execz .LBB42_275
; %bb.272:
	s_movk_i32 s17, 0x78
	v_add_u32_e32 v92, -15, v0
	s_movk_i32 s18, 0x1d8
	s_mov_b64 s[2:3], 0
.LBB42_273:                             ; =>This Inner Loop Header: Depth=1
	scratch_load_dwordx2 v[94:95], off, s17
	v_mov_b32_e32 v93, s18
	ds_read_b64 v[96:97], v93
	v_add_u32_e32 v92, -1, v92
	s_add_i32 s18, s18, 8
	s_add_i32 s17, s17, 8
	v_cmp_eq_u32_e32 vcc, 0, v92
	s_or_b64 s[2:3], vcc, s[2:3]
	s_waitcnt vmcnt(0) lgkmcnt(0)
	v_fmac_f64_e32 v[90:91], v[94:95], v[96:97]
	s_andn2_b64 exec, exec, s[2:3]
	s_cbranch_execnz .LBB42_273
; %bb.274:
	s_or_b64 exec, exec, s[2:3]
.LBB42_275:
	s_or_b64 exec, exec, s[8:9]
	v_mov_b32_e32 v92, 0
	ds_read_b64 v[92:93], v92 offset:112
	s_waitcnt lgkmcnt(0)
	v_mul_f64 v[90:91], v[90:91], v[92:93]
	scratch_store_dwordx2 off, v[90:91], off offset:112
.LBB42_276:
	s_or_b64 exec, exec, s[4:5]
	scratch_load_dwordx2 v[90:91], off, off offset:104
	v_cmp_lt_u32_e64 s[2:3], 13, v0
	s_waitcnt vmcnt(0)
	ds_write_b64 v1, v[90:91]
	s_waitcnt lgkmcnt(0)
	; wave barrier
	s_and_saveexec_b64 s[4:5], s[2:3]
	s_cbranch_execz .LBB42_286
; %bb.277:
	s_andn2_b64 vcc, exec, s[6:7]
	s_cbranch_vccnz .LBB42_279
; %bb.278:
	scratch_load_dwordx2 v[90:91], v13, off
	ds_read_b64 v[92:93], v1
	s_waitcnt vmcnt(0) lgkmcnt(0)
	v_mul_f64 v[90:91], v[90:91], v[92:93]
	s_cbranch_execz .LBB42_280
	s_branch .LBB42_281
.LBB42_279:
                                        ; implicit-def: $vgpr90_vgpr91
.LBB42_280:
	ds_read_b64 v[90:91], v1
.LBB42_281:
	s_and_saveexec_b64 s[8:9], s[0:1]
	s_cbranch_execz .LBB42_285
; %bb.282:
	v_add_u32_e32 v92, -14, v0
	s_movk_i32 s17, 0x1d0
	s_mov_b64 s[0:1], 0
.LBB42_283:                             ; =>This Inner Loop Header: Depth=1
	scratch_load_dwordx2 v[94:95], off, s16
	v_mov_b32_e32 v93, s17
	ds_read_b64 v[96:97], v93
	v_add_u32_e32 v92, -1, v92
	s_add_i32 s17, s17, 8
	s_add_i32 s16, s16, 8
	v_cmp_eq_u32_e32 vcc, 0, v92
	s_or_b64 s[0:1], vcc, s[0:1]
	s_waitcnt vmcnt(0) lgkmcnt(0)
	v_fmac_f64_e32 v[90:91], v[94:95], v[96:97]
	s_andn2_b64 exec, exec, s[0:1]
	s_cbranch_execnz .LBB42_283
; %bb.284:
	s_or_b64 exec, exec, s[0:1]
.LBB42_285:
	s_or_b64 exec, exec, s[8:9]
	v_mov_b32_e32 v92, 0
	ds_read_b64 v[92:93], v92 offset:104
	s_waitcnt lgkmcnt(0)
	v_mul_f64 v[90:91], v[90:91], v[92:93]
	scratch_store_dwordx2 off, v[90:91], off offset:104
.LBB42_286:
	s_or_b64 exec, exec, s[4:5]
	scratch_load_dwordx2 v[90:91], off, off offset:96
	v_cmp_lt_u32_e64 s[0:1], 12, v0
	s_waitcnt vmcnt(0)
	ds_write_b64 v1, v[90:91]
	s_waitcnt lgkmcnt(0)
	; wave barrier
	s_and_saveexec_b64 s[4:5], s[0:1]
	s_cbranch_execz .LBB42_296
; %bb.287:
	s_andn2_b64 vcc, exec, s[6:7]
	s_cbranch_vccnz .LBB42_289
; %bb.288:
	scratch_load_dwordx2 v[90:91], v13, off
	ds_read_b64 v[92:93], v1
	s_waitcnt vmcnt(0) lgkmcnt(0)
	v_mul_f64 v[90:91], v[90:91], v[92:93]
	s_cbranch_execz .LBB42_290
	s_branch .LBB42_291
.LBB42_289:
                                        ; implicit-def: $vgpr90_vgpr91
.LBB42_290:
	ds_read_b64 v[90:91], v1
.LBB42_291:
	s_and_saveexec_b64 s[8:9], s[2:3]
	s_cbranch_execz .LBB42_295
; %bb.292:
	s_movk_i32 s16, 0x68
	v_add_u32_e32 v92, -13, v0
	s_movk_i32 s17, 0x1c8
	s_mov_b64 s[2:3], 0
.LBB42_293:                             ; =>This Inner Loop Header: Depth=1
	scratch_load_dwordx2 v[94:95], off, s16
	v_mov_b32_e32 v93, s17
	ds_read_b64 v[96:97], v93
	v_add_u32_e32 v92, -1, v92
	s_add_i32 s17, s17, 8
	s_add_i32 s16, s16, 8
	v_cmp_eq_u32_e32 vcc, 0, v92
	s_or_b64 s[2:3], vcc, s[2:3]
	s_waitcnt vmcnt(0) lgkmcnt(0)
	v_fmac_f64_e32 v[90:91], v[94:95], v[96:97]
	s_andn2_b64 exec, exec, s[2:3]
	s_cbranch_execnz .LBB42_293
; %bb.294:
	s_or_b64 exec, exec, s[2:3]
.LBB42_295:
	s_or_b64 exec, exec, s[8:9]
	v_mov_b32_e32 v92, 0
	ds_read_b64 v[92:93], v92 offset:96
	s_waitcnt lgkmcnt(0)
	v_mul_f64 v[90:91], v[90:91], v[92:93]
	scratch_store_dwordx2 off, v[90:91], off offset:96
.LBB42_296:
	s_or_b64 exec, exec, s[4:5]
	scratch_load_dwordx2 v[90:91], off, off offset:88
	v_cmp_lt_u32_e64 s[2:3], 11, v0
	s_waitcnt vmcnt(0)
	ds_write_b64 v1, v[90:91]
	s_waitcnt lgkmcnt(0)
	; wave barrier
	s_and_saveexec_b64 s[4:5], s[2:3]
	s_cbranch_execz .LBB42_306
; %bb.297:
	s_andn2_b64 vcc, exec, s[6:7]
	s_cbranch_vccnz .LBB42_299
; %bb.298:
	scratch_load_dwordx2 v[90:91], v13, off
	ds_read_b64 v[92:93], v1
	s_waitcnt vmcnt(0) lgkmcnt(0)
	v_mul_f64 v[90:91], v[90:91], v[92:93]
	s_cbranch_execz .LBB42_300
	s_branch .LBB42_301
.LBB42_299:
                                        ; implicit-def: $vgpr90_vgpr91
.LBB42_300:
	ds_read_b64 v[90:91], v1
.LBB42_301:
	s_and_saveexec_b64 s[8:9], s[0:1]
	s_cbranch_execz .LBB42_305
; %bb.302:
	v_add_u32_e32 v92, -12, v0
	s_movk_i32 s16, 0x1c0
	s_mov_b64 s[0:1], 0
.LBB42_303:                             ; =>This Inner Loop Header: Depth=1
	scratch_load_dwordx2 v[94:95], off, s15
	v_mov_b32_e32 v93, s16
	ds_read_b64 v[96:97], v93
	v_add_u32_e32 v92, -1, v92
	s_add_i32 s16, s16, 8
	s_add_i32 s15, s15, 8
	v_cmp_eq_u32_e32 vcc, 0, v92
	s_or_b64 s[0:1], vcc, s[0:1]
	s_waitcnt vmcnt(0) lgkmcnt(0)
	v_fmac_f64_e32 v[90:91], v[94:95], v[96:97]
	s_andn2_b64 exec, exec, s[0:1]
	s_cbranch_execnz .LBB42_303
; %bb.304:
	s_or_b64 exec, exec, s[0:1]
.LBB42_305:
	s_or_b64 exec, exec, s[8:9]
	v_mov_b32_e32 v92, 0
	ds_read_b64 v[92:93], v92 offset:88
	s_waitcnt lgkmcnt(0)
	v_mul_f64 v[90:91], v[90:91], v[92:93]
	scratch_store_dwordx2 off, v[90:91], off offset:88
.LBB42_306:
	s_or_b64 exec, exec, s[4:5]
	scratch_load_dwordx2 v[90:91], off, off offset:80
	v_cmp_lt_u32_e64 s[0:1], 10, v0
	s_waitcnt vmcnt(0)
	ds_write_b64 v1, v[90:91]
	s_waitcnt lgkmcnt(0)
	; wave barrier
	s_and_saveexec_b64 s[4:5], s[0:1]
	s_cbranch_execz .LBB42_316
; %bb.307:
	s_andn2_b64 vcc, exec, s[6:7]
	s_cbranch_vccnz .LBB42_309
; %bb.308:
	scratch_load_dwordx2 v[90:91], v13, off
	ds_read_b64 v[92:93], v1
	s_waitcnt vmcnt(0) lgkmcnt(0)
	v_mul_f64 v[90:91], v[90:91], v[92:93]
	s_cbranch_execz .LBB42_310
	s_branch .LBB42_311
.LBB42_309:
                                        ; implicit-def: $vgpr90_vgpr91
.LBB42_310:
	ds_read_b64 v[90:91], v1
.LBB42_311:
	s_and_saveexec_b64 s[8:9], s[2:3]
	s_cbranch_execz .LBB42_315
; %bb.312:
	s_movk_i32 s15, 0x58
	v_add_u32_e32 v92, -11, v0
	s_movk_i32 s16, 0x1b8
	s_mov_b64 s[2:3], 0
.LBB42_313:                             ; =>This Inner Loop Header: Depth=1
	scratch_load_dwordx2 v[94:95], off, s15
	v_mov_b32_e32 v93, s16
	ds_read_b64 v[96:97], v93
	v_add_u32_e32 v92, -1, v92
	s_add_i32 s16, s16, 8
	s_add_i32 s15, s15, 8
	v_cmp_eq_u32_e32 vcc, 0, v92
	s_or_b64 s[2:3], vcc, s[2:3]
	s_waitcnt vmcnt(0) lgkmcnt(0)
	v_fmac_f64_e32 v[90:91], v[94:95], v[96:97]
	s_andn2_b64 exec, exec, s[2:3]
	s_cbranch_execnz .LBB42_313
; %bb.314:
	s_or_b64 exec, exec, s[2:3]
.LBB42_315:
	s_or_b64 exec, exec, s[8:9]
	v_mov_b32_e32 v92, 0
	ds_read_b64 v[92:93], v92 offset:80
	s_waitcnt lgkmcnt(0)
	v_mul_f64 v[90:91], v[90:91], v[92:93]
	scratch_store_dwordx2 off, v[90:91], off offset:80
.LBB42_316:
	s_or_b64 exec, exec, s[4:5]
	scratch_load_dwordx2 v[90:91], off, off offset:72
	v_cmp_lt_u32_e64 s[2:3], 9, v0
	s_waitcnt vmcnt(0)
	ds_write_b64 v1, v[90:91]
	s_waitcnt lgkmcnt(0)
	; wave barrier
	s_and_saveexec_b64 s[4:5], s[2:3]
	s_cbranch_execz .LBB42_326
; %bb.317:
	s_andn2_b64 vcc, exec, s[6:7]
	s_cbranch_vccnz .LBB42_319
; %bb.318:
	scratch_load_dwordx2 v[90:91], v13, off
	ds_read_b64 v[92:93], v1
	s_waitcnt vmcnt(0) lgkmcnt(0)
	v_mul_f64 v[90:91], v[90:91], v[92:93]
	s_cbranch_execz .LBB42_320
	s_branch .LBB42_321
.LBB42_319:
                                        ; implicit-def: $vgpr90_vgpr91
.LBB42_320:
	ds_read_b64 v[90:91], v1
.LBB42_321:
	s_and_saveexec_b64 s[8:9], s[0:1]
	s_cbranch_execz .LBB42_325
; %bb.322:
	v_add_u32_e32 v92, -10, v0
	s_movk_i32 s15, 0x1b0
	s_mov_b64 s[0:1], 0
.LBB42_323:                             ; =>This Inner Loop Header: Depth=1
	scratch_load_dwordx2 v[94:95], off, s14
	v_mov_b32_e32 v93, s15
	ds_read_b64 v[96:97], v93
	v_add_u32_e32 v92, -1, v92
	s_add_i32 s15, s15, 8
	s_add_i32 s14, s14, 8
	v_cmp_eq_u32_e32 vcc, 0, v92
	s_or_b64 s[0:1], vcc, s[0:1]
	s_waitcnt vmcnt(0) lgkmcnt(0)
	v_fmac_f64_e32 v[90:91], v[94:95], v[96:97]
	s_andn2_b64 exec, exec, s[0:1]
	s_cbranch_execnz .LBB42_323
; %bb.324:
	s_or_b64 exec, exec, s[0:1]
.LBB42_325:
	s_or_b64 exec, exec, s[8:9]
	v_mov_b32_e32 v92, 0
	ds_read_b64 v[92:93], v92 offset:72
	s_waitcnt lgkmcnt(0)
	v_mul_f64 v[90:91], v[90:91], v[92:93]
	scratch_store_dwordx2 off, v[90:91], off offset:72
.LBB42_326:
	s_or_b64 exec, exec, s[4:5]
	scratch_load_dwordx2 v[90:91], off, off offset:64
	v_cmp_lt_u32_e64 s[0:1], 8, v0
	s_waitcnt vmcnt(0)
	ds_write_b64 v1, v[90:91]
	s_waitcnt lgkmcnt(0)
	; wave barrier
	s_and_saveexec_b64 s[4:5], s[0:1]
	s_cbranch_execz .LBB42_336
; %bb.327:
	s_andn2_b64 vcc, exec, s[6:7]
	s_cbranch_vccnz .LBB42_329
; %bb.328:
	scratch_load_dwordx2 v[90:91], v13, off
	ds_read_b64 v[92:93], v1
	s_waitcnt vmcnt(0) lgkmcnt(0)
	v_mul_f64 v[90:91], v[90:91], v[92:93]
	s_cbranch_execz .LBB42_330
	s_branch .LBB42_331
.LBB42_329:
                                        ; implicit-def: $vgpr90_vgpr91
.LBB42_330:
	ds_read_b64 v[90:91], v1
.LBB42_331:
	s_and_saveexec_b64 s[8:9], s[2:3]
	s_cbranch_execz .LBB42_335
; %bb.332:
	s_movk_i32 s14, 0x48
	v_add_u32_e32 v92, -9, v0
	s_movk_i32 s15, 0x1a8
	s_mov_b64 s[2:3], 0
.LBB42_333:                             ; =>This Inner Loop Header: Depth=1
	scratch_load_dwordx2 v[94:95], off, s14
	v_mov_b32_e32 v93, s15
	ds_read_b64 v[96:97], v93
	v_add_u32_e32 v92, -1, v92
	s_add_i32 s15, s15, 8
	s_add_i32 s14, s14, 8
	v_cmp_eq_u32_e32 vcc, 0, v92
	s_or_b64 s[2:3], vcc, s[2:3]
	s_waitcnt vmcnt(0) lgkmcnt(0)
	v_fmac_f64_e32 v[90:91], v[94:95], v[96:97]
	s_andn2_b64 exec, exec, s[2:3]
	s_cbranch_execnz .LBB42_333
; %bb.334:
	s_or_b64 exec, exec, s[2:3]
.LBB42_335:
	s_or_b64 exec, exec, s[8:9]
	v_mov_b32_e32 v92, 0
	ds_read_b64 v[92:93], v92 offset:64
	s_waitcnt lgkmcnt(0)
	v_mul_f64 v[90:91], v[90:91], v[92:93]
	scratch_store_dwordx2 off, v[90:91], off offset:64
.LBB42_336:
	s_or_b64 exec, exec, s[4:5]
	scratch_load_dwordx2 v[90:91], off, off offset:56
	v_cmp_lt_u32_e64 s[2:3], 7, v0
	s_waitcnt vmcnt(0)
	ds_write_b64 v1, v[90:91]
	s_waitcnt lgkmcnt(0)
	; wave barrier
	s_and_saveexec_b64 s[4:5], s[2:3]
	s_cbranch_execz .LBB42_346
; %bb.337:
	s_andn2_b64 vcc, exec, s[6:7]
	s_cbranch_vccnz .LBB42_339
; %bb.338:
	scratch_load_dwordx2 v[90:91], v13, off
	ds_read_b64 v[92:93], v1
	s_waitcnt vmcnt(0) lgkmcnt(0)
	v_mul_f64 v[90:91], v[90:91], v[92:93]
	s_cbranch_execz .LBB42_340
	s_branch .LBB42_341
.LBB42_339:
                                        ; implicit-def: $vgpr90_vgpr91
.LBB42_340:
	ds_read_b64 v[90:91], v1
.LBB42_341:
	s_and_saveexec_b64 s[8:9], s[0:1]
	s_cbranch_execz .LBB42_345
; %bb.342:
	v_add_u32_e32 v92, -8, v0
	s_movk_i32 s14, 0x1a0
	s_mov_b64 s[0:1], 0
.LBB42_343:                             ; =>This Inner Loop Header: Depth=1
	scratch_load_dwordx2 v[94:95], off, s13
	v_mov_b32_e32 v93, s14
	ds_read_b64 v[96:97], v93
	v_add_u32_e32 v92, -1, v92
	s_add_i32 s14, s14, 8
	s_add_i32 s13, s13, 8
	v_cmp_eq_u32_e32 vcc, 0, v92
	s_or_b64 s[0:1], vcc, s[0:1]
	s_waitcnt vmcnt(0) lgkmcnt(0)
	v_fmac_f64_e32 v[90:91], v[94:95], v[96:97]
	s_andn2_b64 exec, exec, s[0:1]
	s_cbranch_execnz .LBB42_343
; %bb.344:
	s_or_b64 exec, exec, s[0:1]
.LBB42_345:
	s_or_b64 exec, exec, s[8:9]
	v_mov_b32_e32 v92, 0
	ds_read_b64 v[92:93], v92 offset:56
	s_waitcnt lgkmcnt(0)
	v_mul_f64 v[90:91], v[90:91], v[92:93]
	scratch_store_dwordx2 off, v[90:91], off offset:56
.LBB42_346:
	s_or_b64 exec, exec, s[4:5]
	scratch_load_dwordx2 v[90:91], off, off offset:48
	v_cmp_lt_u32_e64 s[0:1], 6, v0
	s_waitcnt vmcnt(0)
	ds_write_b64 v1, v[90:91]
	s_waitcnt lgkmcnt(0)
	; wave barrier
	s_and_saveexec_b64 s[4:5], s[0:1]
	s_cbranch_execz .LBB42_356
; %bb.347:
	s_andn2_b64 vcc, exec, s[6:7]
	s_cbranch_vccnz .LBB42_349
; %bb.348:
	scratch_load_dwordx2 v[90:91], v13, off
	ds_read_b64 v[92:93], v1
	s_waitcnt vmcnt(0) lgkmcnt(0)
	v_mul_f64 v[90:91], v[90:91], v[92:93]
	s_cbranch_execz .LBB42_350
	s_branch .LBB42_351
.LBB42_349:
                                        ; implicit-def: $vgpr90_vgpr91
.LBB42_350:
	ds_read_b64 v[90:91], v1
.LBB42_351:
	s_and_saveexec_b64 s[8:9], s[2:3]
	s_cbranch_execz .LBB42_355
; %bb.352:
	s_mov_b32 s13, 56
	v_add_u32_e32 v92, -7, v0
	s_movk_i32 s14, 0x198
	s_mov_b64 s[2:3], 0
.LBB42_353:                             ; =>This Inner Loop Header: Depth=1
	scratch_load_dwordx2 v[94:95], off, s13
	v_mov_b32_e32 v93, s14
	ds_read_b64 v[96:97], v93
	v_add_u32_e32 v92, -1, v92
	s_add_i32 s14, s14, 8
	s_add_i32 s13, s13, 8
	v_cmp_eq_u32_e32 vcc, 0, v92
	s_or_b64 s[2:3], vcc, s[2:3]
	s_waitcnt vmcnt(0) lgkmcnt(0)
	v_fmac_f64_e32 v[90:91], v[94:95], v[96:97]
	s_andn2_b64 exec, exec, s[2:3]
	s_cbranch_execnz .LBB42_353
; %bb.354:
	s_or_b64 exec, exec, s[2:3]
.LBB42_355:
	s_or_b64 exec, exec, s[8:9]
	v_mov_b32_e32 v92, 0
	ds_read_b64 v[92:93], v92 offset:48
	s_waitcnt lgkmcnt(0)
	v_mul_f64 v[90:91], v[90:91], v[92:93]
	scratch_store_dwordx2 off, v[90:91], off offset:48
.LBB42_356:
	s_or_b64 exec, exec, s[4:5]
	scratch_load_dwordx2 v[90:91], off, off offset:40
	v_cmp_lt_u32_e64 s[2:3], 5, v0
	s_waitcnt vmcnt(0)
	ds_write_b64 v1, v[90:91]
	s_waitcnt lgkmcnt(0)
	; wave barrier
	s_and_saveexec_b64 s[4:5], s[2:3]
	s_cbranch_execz .LBB42_366
; %bb.357:
	s_andn2_b64 vcc, exec, s[6:7]
	s_cbranch_vccnz .LBB42_359
; %bb.358:
	scratch_load_dwordx2 v[90:91], v13, off
	ds_read_b64 v[92:93], v1
	s_waitcnt vmcnt(0) lgkmcnt(0)
	v_mul_f64 v[90:91], v[90:91], v[92:93]
	s_cbranch_execz .LBB42_360
	s_branch .LBB42_361
.LBB42_359:
                                        ; implicit-def: $vgpr90_vgpr91
.LBB42_360:
	ds_read_b64 v[90:91], v1
.LBB42_361:
	s_and_saveexec_b64 s[8:9], s[0:1]
	s_cbranch_execz .LBB42_365
; %bb.362:
	v_add_u32_e32 v92, -6, v0
	s_movk_i32 s13, 0x190
	s_mov_b64 s[0:1], 0
.LBB42_363:                             ; =>This Inner Loop Header: Depth=1
	scratch_load_dwordx2 v[94:95], off, s12
	v_mov_b32_e32 v93, s13
	ds_read_b64 v[96:97], v93
	v_add_u32_e32 v92, -1, v92
	s_add_i32 s13, s13, 8
	s_add_i32 s12, s12, 8
	v_cmp_eq_u32_e32 vcc, 0, v92
	s_or_b64 s[0:1], vcc, s[0:1]
	s_waitcnt vmcnt(0) lgkmcnt(0)
	v_fmac_f64_e32 v[90:91], v[94:95], v[96:97]
	s_andn2_b64 exec, exec, s[0:1]
	s_cbranch_execnz .LBB42_363
; %bb.364:
	s_or_b64 exec, exec, s[0:1]
.LBB42_365:
	s_or_b64 exec, exec, s[8:9]
	v_mov_b32_e32 v92, 0
	ds_read_b64 v[92:93], v92 offset:40
	s_waitcnt lgkmcnt(0)
	v_mul_f64 v[90:91], v[90:91], v[92:93]
	scratch_store_dwordx2 off, v[90:91], off offset:40
.LBB42_366:
	s_or_b64 exec, exec, s[4:5]
	scratch_load_dwordx2 v[90:91], off, off offset:32
	v_cmp_lt_u32_e64 s[0:1], 4, v0
	s_waitcnt vmcnt(0)
	ds_write_b64 v1, v[90:91]
	s_waitcnt lgkmcnt(0)
	; wave barrier
	s_and_saveexec_b64 s[4:5], s[0:1]
	s_cbranch_execz .LBB42_376
; %bb.367:
	s_andn2_b64 vcc, exec, s[6:7]
	s_cbranch_vccnz .LBB42_369
; %bb.368:
	scratch_load_dwordx2 v[90:91], v13, off
	ds_read_b64 v[92:93], v1
	s_waitcnt vmcnt(0) lgkmcnt(0)
	v_mul_f64 v[90:91], v[90:91], v[92:93]
	s_cbranch_execz .LBB42_370
	s_branch .LBB42_371
.LBB42_369:
                                        ; implicit-def: $vgpr90_vgpr91
.LBB42_370:
	ds_read_b64 v[90:91], v1
.LBB42_371:
	s_and_saveexec_b64 s[8:9], s[2:3]
	s_cbranch_execz .LBB42_375
; %bb.372:
	s_mov_b32 s12, 40
	v_add_u32_e32 v92, -5, v0
	s_movk_i32 s13, 0x188
	s_mov_b64 s[2:3], 0
.LBB42_373:                             ; =>This Inner Loop Header: Depth=1
	scratch_load_dwordx2 v[94:95], off, s12
	v_mov_b32_e32 v93, s13
	ds_read_b64 v[96:97], v93
	v_add_u32_e32 v92, -1, v92
	s_add_i32 s13, s13, 8
	s_add_i32 s12, s12, 8
	v_cmp_eq_u32_e32 vcc, 0, v92
	s_or_b64 s[2:3], vcc, s[2:3]
	s_waitcnt vmcnt(0) lgkmcnt(0)
	v_fmac_f64_e32 v[90:91], v[94:95], v[96:97]
	s_andn2_b64 exec, exec, s[2:3]
	s_cbranch_execnz .LBB42_373
; %bb.374:
	s_or_b64 exec, exec, s[2:3]
.LBB42_375:
	s_or_b64 exec, exec, s[8:9]
	v_mov_b32_e32 v92, 0
	ds_read_b64 v[92:93], v92 offset:32
	s_waitcnt lgkmcnt(0)
	v_mul_f64 v[90:91], v[90:91], v[92:93]
	scratch_store_dwordx2 off, v[90:91], off offset:32
.LBB42_376:
	s_or_b64 exec, exec, s[4:5]
	scratch_load_dwordx2 v[90:91], off, off offset:24
	v_cmp_lt_u32_e64 s[2:3], 3, v0
	s_waitcnt vmcnt(0)
	ds_write_b64 v1, v[90:91]
	s_waitcnt lgkmcnt(0)
	; wave barrier
	s_and_saveexec_b64 s[4:5], s[2:3]
	s_cbranch_execz .LBB42_386
; %bb.377:
	s_andn2_b64 vcc, exec, s[6:7]
	s_cbranch_vccnz .LBB42_379
; %bb.378:
	scratch_load_dwordx2 v[90:91], v13, off
	ds_read_b64 v[92:93], v1
	s_waitcnt vmcnt(0) lgkmcnt(0)
	v_mul_f64 v[90:91], v[90:91], v[92:93]
	s_cbranch_execz .LBB42_380
	s_branch .LBB42_381
.LBB42_379:
                                        ; implicit-def: $vgpr90_vgpr91
.LBB42_380:
	ds_read_b64 v[90:91], v1
.LBB42_381:
	s_and_saveexec_b64 s[8:9], s[0:1]
	s_cbranch_execz .LBB42_385
; %bb.382:
	v_add_u32_e32 v92, -4, v0
	s_movk_i32 s12, 0x180
	s_mov_b64 s[0:1], 0
.LBB42_383:                             ; =>This Inner Loop Header: Depth=1
	scratch_load_dwordx2 v[94:95], off, s11
	v_mov_b32_e32 v93, s12
	ds_read_b64 v[96:97], v93
	v_add_u32_e32 v92, -1, v92
	s_add_i32 s12, s12, 8
	s_add_i32 s11, s11, 8
	v_cmp_eq_u32_e32 vcc, 0, v92
	s_or_b64 s[0:1], vcc, s[0:1]
	s_waitcnt vmcnt(0) lgkmcnt(0)
	v_fmac_f64_e32 v[90:91], v[94:95], v[96:97]
	s_andn2_b64 exec, exec, s[0:1]
	s_cbranch_execnz .LBB42_383
; %bb.384:
	s_or_b64 exec, exec, s[0:1]
.LBB42_385:
	s_or_b64 exec, exec, s[8:9]
	v_mov_b32_e32 v92, 0
	ds_read_b64 v[92:93], v92 offset:24
	s_waitcnt lgkmcnt(0)
	v_mul_f64 v[90:91], v[90:91], v[92:93]
	scratch_store_dwordx2 off, v[90:91], off offset:24
.LBB42_386:
	s_or_b64 exec, exec, s[4:5]
	scratch_load_dwordx2 v[90:91], off, off offset:16
	v_cmp_lt_u32_e64 s[0:1], 2, v0
	s_waitcnt vmcnt(0)
	ds_write_b64 v1, v[90:91]
	s_waitcnt lgkmcnt(0)
	; wave barrier
	s_and_saveexec_b64 s[4:5], s[0:1]
	s_cbranch_execz .LBB42_396
; %bb.387:
	s_andn2_b64 vcc, exec, s[6:7]
	s_cbranch_vccnz .LBB42_389
; %bb.388:
	scratch_load_dwordx2 v[90:91], v13, off
	ds_read_b64 v[92:93], v1
	s_waitcnt vmcnt(0) lgkmcnt(0)
	v_mul_f64 v[90:91], v[90:91], v[92:93]
	s_cbranch_execz .LBB42_390
	s_branch .LBB42_391
.LBB42_389:
                                        ; implicit-def: $vgpr90_vgpr91
.LBB42_390:
	ds_read_b64 v[90:91], v1
.LBB42_391:
	s_and_saveexec_b64 s[8:9], s[2:3]
	s_cbranch_execz .LBB42_395
; %bb.392:
	s_mov_b32 s11, 24
	v_add_u32_e32 v92, -3, v0
	s_movk_i32 s12, 0x178
	s_mov_b64 s[2:3], 0
.LBB42_393:                             ; =>This Inner Loop Header: Depth=1
	scratch_load_dwordx2 v[94:95], off, s11
	v_mov_b32_e32 v93, s12
	ds_read_b64 v[96:97], v93
	v_add_u32_e32 v92, -1, v92
	s_add_i32 s12, s12, 8
	s_add_i32 s11, s11, 8
	v_cmp_eq_u32_e32 vcc, 0, v92
	s_or_b64 s[2:3], vcc, s[2:3]
	s_waitcnt vmcnt(0) lgkmcnt(0)
	v_fmac_f64_e32 v[90:91], v[94:95], v[96:97]
	s_andn2_b64 exec, exec, s[2:3]
	s_cbranch_execnz .LBB42_393
; %bb.394:
	s_or_b64 exec, exec, s[2:3]
.LBB42_395:
	s_or_b64 exec, exec, s[8:9]
	v_mov_b32_e32 v92, 0
	ds_read_b64 v[92:93], v92 offset:16
	s_waitcnt lgkmcnt(0)
	v_mul_f64 v[90:91], v[90:91], v[92:93]
	scratch_store_dwordx2 off, v[90:91], off offset:16
.LBB42_396:
	s_or_b64 exec, exec, s[4:5]
	scratch_load_dwordx2 v[90:91], off, off offset:8
	v_cmp_lt_u32_e64 s[2:3], 1, v0
	s_waitcnt vmcnt(0)
	ds_write_b64 v1, v[90:91]
	s_waitcnt lgkmcnt(0)
	; wave barrier
	s_and_saveexec_b64 s[4:5], s[2:3]
	s_cbranch_execz .LBB42_406
; %bb.397:
	s_andn2_b64 vcc, exec, s[6:7]
	s_cbranch_vccnz .LBB42_399
; %bb.398:
	scratch_load_dwordx2 v[90:91], v13, off
	ds_read_b64 v[92:93], v1
	s_waitcnt vmcnt(0) lgkmcnt(0)
	v_mul_f64 v[90:91], v[90:91], v[92:93]
	s_cbranch_execz .LBB42_400
	s_branch .LBB42_401
.LBB42_399:
                                        ; implicit-def: $vgpr90_vgpr91
.LBB42_400:
	ds_read_b64 v[90:91], v1
.LBB42_401:
	s_and_saveexec_b64 s[8:9], s[0:1]
	s_cbranch_execz .LBB42_405
; %bb.402:
	v_add_u32_e32 v92, -2, v0
	s_movk_i32 s11, 0x170
	s_mov_b64 s[0:1], 0
.LBB42_403:                             ; =>This Inner Loop Header: Depth=1
	scratch_load_dwordx2 v[94:95], off, s10
	v_mov_b32_e32 v93, s11
	ds_read_b64 v[96:97], v93
	v_add_u32_e32 v92, -1, v92
	s_add_i32 s11, s11, 8
	s_add_i32 s10, s10, 8
	v_cmp_eq_u32_e32 vcc, 0, v92
	s_or_b64 s[0:1], vcc, s[0:1]
	s_waitcnt vmcnt(0) lgkmcnt(0)
	v_fmac_f64_e32 v[90:91], v[94:95], v[96:97]
	s_andn2_b64 exec, exec, s[0:1]
	s_cbranch_execnz .LBB42_403
; %bb.404:
	s_or_b64 exec, exec, s[0:1]
.LBB42_405:
	s_or_b64 exec, exec, s[8:9]
	v_mov_b32_e32 v92, 0
	ds_read_b64 v[92:93], v92 offset:8
	s_waitcnt lgkmcnt(0)
	v_mul_f64 v[90:91], v[90:91], v[92:93]
	scratch_store_dwordx2 off, v[90:91], off offset:8
.LBB42_406:
	s_or_b64 exec, exec, s[4:5]
	scratch_load_dwordx2 v[90:91], off, off
	v_cmp_ne_u32_e32 vcc, 0, v0
	s_waitcnt vmcnt(0)
	ds_write_b64 v1, v[90:91]
	s_waitcnt lgkmcnt(0)
	; wave barrier
	s_and_saveexec_b64 s[0:1], vcc
	s_cbranch_execz .LBB42_416
; %bb.407:
	s_andn2_b64 vcc, exec, s[6:7]
	s_cbranch_vccnz .LBB42_409
; %bb.408:
	scratch_load_dwordx2 v[90:91], v13, off
	ds_read_b64 v[92:93], v1
	s_waitcnt vmcnt(0) lgkmcnt(0)
	v_mul_f64 v[90:91], v[90:91], v[92:93]
	s_cbranch_execz .LBB42_410
	s_branch .LBB42_411
.LBB42_409:
                                        ; implicit-def: $vgpr90_vgpr91
.LBB42_410:
	ds_read_b64 v[90:91], v1
.LBB42_411:
	s_and_saveexec_b64 s[4:5], s[2:3]
	s_cbranch_execz .LBB42_415
; %bb.412:
	s_or_b32 s8, 0, 8
	v_add_u32_e32 v92, -1, v0
	s_movk_i32 s9, 0x168
	s_mov_b64 s[2:3], 0
.LBB42_413:                             ; =>This Inner Loop Header: Depth=1
	scratch_load_dwordx2 v[94:95], off, s8
	v_mov_b32_e32 v93, s9
	ds_read_b64 v[96:97], v93
	v_add_u32_e32 v92, -1, v92
	s_add_i32 s9, s9, 8
	s_add_i32 s8, s8, 8
	v_cmp_eq_u32_e32 vcc, 0, v92
	s_or_b64 s[2:3], vcc, s[2:3]
	s_waitcnt vmcnt(0) lgkmcnt(0)
	v_fmac_f64_e32 v[90:91], v[94:95], v[96:97]
	s_andn2_b64 exec, exec, s[2:3]
	s_cbranch_execnz .LBB42_413
; %bb.414:
	s_or_b64 exec, exec, s[2:3]
.LBB42_415:
	s_or_b64 exec, exec, s[4:5]
	v_mov_b32_e32 v92, 0
	ds_read_b64 v[92:93], v92
	s_waitcnt lgkmcnt(0)
	v_mul_f64 v[90:91], v[90:91], v[92:93]
	scratch_store_dwordx2 off, v[90:91], off
.LBB42_416:
	s_or_b64 exec, exec, s[0:1]
	s_mov_b64 s[0:1], 0
.LBB42_417:
	s_and_b64 vcc, exec, s[0:1]
	s_cbranch_vccz .LBB42_829
; %bb.418:
	scratch_load_dwordx2 v[90:91], off, off offset:8
	v_cmp_eq_u32_e64 s[2:3], 0, v0
	s_waitcnt vmcnt(0)
	ds_write_b64 v1, v[90:91]
	s_waitcnt lgkmcnt(0)
	; wave barrier
	s_and_saveexec_b64 s[0:1], s[2:3]
	s_cbranch_execz .LBB42_424
; %bb.419:
	s_and_b64 vcc, exec, s[6:7]
	s_cbranch_vccz .LBB42_421
; %bb.420:
	scratch_load_dwordx2 v[90:91], v13, off
	ds_read_b64 v[92:93], v1
	s_waitcnt vmcnt(0) lgkmcnt(0)
	v_mul_f64 v[90:91], v[90:91], v[92:93]
	s_cbranch_execz .LBB42_422
	s_branch .LBB42_423
.LBB42_421:
                                        ; implicit-def: $vgpr90_vgpr91
.LBB42_422:
	ds_read_b64 v[90:91], v1
.LBB42_423:
	v_mov_b32_e32 v92, 0
	ds_read_b64 v[92:93], v92 offset:8
	s_waitcnt lgkmcnt(0)
	v_mul_f64 v[90:91], v[90:91], v[92:93]
	scratch_store_dwordx2 off, v[90:91], off offset:8
.LBB42_424:
	s_or_b64 exec, exec, s[0:1]
	scratch_load_dwordx2 v[90:91], off, off offset:16
	v_cndmask_b32_e64 v92, 0, 1, s[6:7]
	v_cmp_gt_u32_e32 vcc, 2, v0
	v_cmp_ne_u32_e64 s[0:1], 1, v92
	s_waitcnt vmcnt(0)
	ds_write_b64 v1, v[90:91]
	s_waitcnt lgkmcnt(0)
	; wave barrier
	s_and_saveexec_b64 s[4:5], vcc
	s_cbranch_execz .LBB42_430
; %bb.425:
	s_and_b64 vcc, exec, s[0:1]
	s_cbranch_vccnz .LBB42_427
; %bb.426:
	scratch_load_dwordx2 v[90:91], v13, off
	ds_read_b64 v[92:93], v1
	s_waitcnt vmcnt(0) lgkmcnt(0)
	v_mul_f64 v[90:91], v[90:91], v[92:93]
	s_cbranch_execz .LBB42_428
	s_branch .LBB42_429
.LBB42_427:
                                        ; implicit-def: $vgpr90_vgpr91
.LBB42_428:
	ds_read_b64 v[90:91], v1
.LBB42_429:
	scratch_load_dwordx2 v[96:97], off, off offset:8
	v_mov_b32_e32 v92, 0
	ds_read2_b64 v[92:95], v92 offset0:2 offset1:45
	s_waitcnt vmcnt(0) lgkmcnt(0)
	v_fma_f64 v[94:95], v[96:97], v[94:95], v[90:91]
	v_cndmask_b32_e64 v91, v91, v95, s[2:3]
	v_cndmask_b32_e64 v90, v90, v94, s[2:3]
	v_mul_f64 v[90:91], v[90:91], v[92:93]
	scratch_store_dwordx2 off, v[90:91], off offset:16
.LBB42_430:
	s_or_b64 exec, exec, s[4:5]
	scratch_load_dwordx2 v[90:91], off, off offset:24
	v_cmp_gt_u32_e32 vcc, 3, v0
	s_waitcnt vmcnt(0)
	ds_write_b64 v1, v[90:91]
	s_waitcnt lgkmcnt(0)
	; wave barrier
	s_and_saveexec_b64 s[4:5], vcc
	s_cbranch_execz .LBB42_438
; %bb.431:
	s_and_b64 vcc, exec, s[0:1]
	s_cbranch_vccnz .LBB42_433
; %bb.432:
	scratch_load_dwordx2 v[90:91], v13, off
	ds_read_b64 v[92:93], v1
	s_waitcnt vmcnt(0) lgkmcnt(0)
	v_mul_f64 v[90:91], v[90:91], v[92:93]
	s_cbranch_execz .LBB42_434
	s_branch .LBB42_435
.LBB42_433:
                                        ; implicit-def: $vgpr90_vgpr91
.LBB42_434:
	ds_read_b64 v[90:91], v1
.LBB42_435:
	v_cmp_ne_u32_e32 vcc, 2, v0
	s_and_saveexec_b64 s[6:7], vcc
	s_cbranch_execz .LBB42_437
; %bb.436:
	scratch_load_dwordx2 v[92:93], v13, off offset:8
	scratch_load_dwordx2 v[94:95], off, off offset:16
	ds_read_b64 v[96:97], v1 offset:8
	v_mov_b32_e32 v98, 0
	ds_read_b64 v[98:99], v98 offset:368
	s_waitcnt vmcnt(1) lgkmcnt(1)
	v_fmac_f64_e32 v[90:91], v[92:93], v[96:97]
	s_waitcnt vmcnt(0) lgkmcnt(0)
	v_fma_f64 v[92:93], v[94:95], v[98:99], v[90:91]
	v_cndmask_b32_e64 v91, v91, v93, s[2:3]
	v_cndmask_b32_e64 v90, v90, v92, s[2:3]
.LBB42_437:
	s_or_b64 exec, exec, s[6:7]
	v_mov_b32_e32 v92, 0
	ds_read_b64 v[92:93], v92 offset:24
	s_waitcnt lgkmcnt(0)
	v_mul_f64 v[90:91], v[90:91], v[92:93]
	scratch_store_dwordx2 off, v[90:91], off offset:24
.LBB42_438:
	s_or_b64 exec, exec, s[4:5]
	scratch_load_dwordx2 v[90:91], off, off offset:32
	v_cmp_gt_u32_e32 vcc, 4, v0
	s_waitcnt vmcnt(0)
	ds_write_b64 v1, v[90:91]
	s_waitcnt lgkmcnt(0)
	; wave barrier
	s_and_saveexec_b64 s[2:3], vcc
	s_cbranch_execz .LBB42_448
; %bb.439:
	s_and_b64 vcc, exec, s[0:1]
	s_cbranch_vccnz .LBB42_441
; %bb.440:
	scratch_load_dwordx2 v[90:91], v13, off
	ds_read_b64 v[92:93], v1
	s_waitcnt vmcnt(0) lgkmcnt(0)
	v_mul_f64 v[90:91], v[90:91], v[92:93]
	s_cbranch_execz .LBB42_442
	s_branch .LBB42_443
.LBB42_441:
                                        ; implicit-def: $vgpr90_vgpr91
.LBB42_442:
	ds_read_b64 v[90:91], v1
.LBB42_443:
	v_cmp_ne_u32_e32 vcc, 3, v0
	s_and_saveexec_b64 s[4:5], vcc
	s_cbranch_execz .LBB42_447
; %bb.444:
	s_mov_b32 s6, 0
	v_add_u32_e32 v92, 0x168, v12
	v_add3_u32 v93, v12, s6, 8
	s_mov_b64 s[6:7], 0
	v_mov_b32_e32 v94, v0
.LBB42_445:                             ; =>This Inner Loop Header: Depth=1
	scratch_load_dwordx2 v[96:97], v93, off
	ds_read_b64 v[98:99], v92
	v_add_u32_e32 v94, 1, v94
	v_cmp_lt_u32_e32 vcc, 2, v94
	v_add_u32_e32 v92, 8, v92
	v_add_u32_e32 v93, 8, v93
	s_or_b64 s[6:7], vcc, s[6:7]
	s_waitcnt vmcnt(0) lgkmcnt(0)
	v_fmac_f64_e32 v[90:91], v[96:97], v[98:99]
	s_andn2_b64 exec, exec, s[6:7]
	s_cbranch_execnz .LBB42_445
; %bb.446:
	s_or_b64 exec, exec, s[6:7]
.LBB42_447:
	s_or_b64 exec, exec, s[4:5]
	v_mov_b32_e32 v92, 0
	ds_read_b64 v[92:93], v92 offset:32
	s_waitcnt lgkmcnt(0)
	v_mul_f64 v[90:91], v[90:91], v[92:93]
	scratch_store_dwordx2 off, v[90:91], off offset:32
.LBB42_448:
	s_or_b64 exec, exec, s[2:3]
	scratch_load_dwordx2 v[90:91], off, off offset:40
	v_cmp_gt_u32_e32 vcc, 5, v0
	s_waitcnt vmcnt(0)
	ds_write_b64 v1, v[90:91]
	s_waitcnt lgkmcnt(0)
	; wave barrier
	s_and_saveexec_b64 s[2:3], vcc
	s_cbranch_execz .LBB42_458
; %bb.449:
	s_and_b64 vcc, exec, s[0:1]
	s_cbranch_vccnz .LBB42_451
; %bb.450:
	scratch_load_dwordx2 v[90:91], v13, off
	ds_read_b64 v[92:93], v1
	s_waitcnt vmcnt(0) lgkmcnt(0)
	v_mul_f64 v[90:91], v[90:91], v[92:93]
	s_cbranch_execz .LBB42_452
	s_branch .LBB42_453
.LBB42_451:
                                        ; implicit-def: $vgpr90_vgpr91
.LBB42_452:
	ds_read_b64 v[90:91], v1
.LBB42_453:
	v_cmp_ne_u32_e32 vcc, 4, v0
	s_and_saveexec_b64 s[4:5], vcc
	s_cbranch_execz .LBB42_457
; %bb.454:
	s_mov_b32 s6, 0
	v_add_u32_e32 v92, 0x168, v12
	v_add3_u32 v93, v12, s6, 8
	s_mov_b64 s[6:7], 0
	v_mov_b32_e32 v94, v0
.LBB42_455:                             ; =>This Inner Loop Header: Depth=1
	scratch_load_dwordx2 v[96:97], v93, off
	ds_read_b64 v[98:99], v92
	v_add_u32_e32 v94, 1, v94
	v_cmp_lt_u32_e32 vcc, 3, v94
	v_add_u32_e32 v92, 8, v92
	v_add_u32_e32 v93, 8, v93
	s_or_b64 s[6:7], vcc, s[6:7]
	s_waitcnt vmcnt(0) lgkmcnt(0)
	v_fmac_f64_e32 v[90:91], v[96:97], v[98:99]
	s_andn2_b64 exec, exec, s[6:7]
	s_cbranch_execnz .LBB42_455
; %bb.456:
	s_or_b64 exec, exec, s[6:7]
.LBB42_457:
	s_or_b64 exec, exec, s[4:5]
	v_mov_b32_e32 v92, 0
	ds_read_b64 v[92:93], v92 offset:40
	s_waitcnt lgkmcnt(0)
	v_mul_f64 v[90:91], v[90:91], v[92:93]
	scratch_store_dwordx2 off, v[90:91], off offset:40
.LBB42_458:
	;; [unrolled: 55-line block ×37, first 2 shown]
	s_or_b64 exec, exec, s[2:3]
	scratch_load_dwordx2 v[90:91], off, off offset:328
	v_cmp_gt_u32_e64 s[2:3], 41, v0
	s_waitcnt vmcnt(0)
	ds_write_b64 v1, v[90:91]
	s_waitcnt lgkmcnt(0)
	; wave barrier
	s_and_saveexec_b64 s[4:5], s[2:3]
	s_cbranch_execz .LBB42_818
; %bb.809:
	s_and_b64 vcc, exec, s[0:1]
	s_cbranch_vccnz .LBB42_811
; %bb.810:
	scratch_load_dwordx2 v[90:91], v13, off
	ds_read_b64 v[92:93], v1
	s_waitcnt vmcnt(0) lgkmcnt(0)
	v_mul_f64 v[90:91], v[90:91], v[92:93]
	s_cbranch_execz .LBB42_812
	s_branch .LBB42_813
.LBB42_811:
                                        ; implicit-def: $vgpr90_vgpr91
.LBB42_812:
	ds_read_b64 v[90:91], v1
.LBB42_813:
	v_cmp_ne_u32_e32 vcc, 40, v0
	s_and_saveexec_b64 s[6:7], vcc
	s_cbranch_execz .LBB42_817
; %bb.814:
	s_mov_b32 s8, 0
	v_add_u32_e32 v92, 0x168, v12
	v_add3_u32 v93, v12, s8, 8
	s_mov_b64 s[8:9], 0
	v_mov_b32_e32 v94, v0
.LBB42_815:                             ; =>This Inner Loop Header: Depth=1
	scratch_load_dwordx2 v[96:97], v93, off
	ds_read_b64 v[98:99], v92
	v_add_u32_e32 v94, 1, v94
	v_cmp_lt_u32_e32 vcc, 39, v94
	v_add_u32_e32 v92, 8, v92
	v_add_u32_e32 v93, 8, v93
	s_or_b64 s[8:9], vcc, s[8:9]
	s_waitcnt vmcnt(0) lgkmcnt(0)
	v_fmac_f64_e32 v[90:91], v[96:97], v[98:99]
	s_andn2_b64 exec, exec, s[8:9]
	s_cbranch_execnz .LBB42_815
; %bb.816:
	s_or_b64 exec, exec, s[8:9]
.LBB42_817:
	s_or_b64 exec, exec, s[6:7]
	v_mov_b32_e32 v92, 0
	ds_read_b64 v[92:93], v92 offset:328
	s_waitcnt lgkmcnt(0)
	v_mul_f64 v[90:91], v[90:91], v[92:93]
	scratch_store_dwordx2 off, v[90:91], off offset:328
.LBB42_818:
	s_or_b64 exec, exec, s[4:5]
	scratch_load_dwordx2 v[90:91], off, off offset:336
	v_cmp_ne_u32_e32 vcc, 42, v0
	s_waitcnt vmcnt(0)
	ds_write_b64 v1, v[90:91]
	s_waitcnt lgkmcnt(0)
	; wave barrier
	s_and_saveexec_b64 s[4:5], vcc
	s_cbranch_execz .LBB42_828
; %bb.819:
	s_and_b64 vcc, exec, s[0:1]
	s_cbranch_vccnz .LBB42_821
; %bb.820:
	scratch_load_dwordx2 v[90:91], v13, off
	ds_read_b64 v[92:93], v1
	s_waitcnt vmcnt(0) lgkmcnt(0)
	v_mul_f64 v[90:91], v[90:91], v[92:93]
	s_cbranch_execz .LBB42_822
	s_branch .LBB42_823
.LBB42_821:
                                        ; implicit-def: $vgpr90_vgpr91
.LBB42_822:
	ds_read_b64 v[90:91], v1
.LBB42_823:
	s_and_saveexec_b64 s[0:1], s[2:3]
	s_cbranch_execz .LBB42_827
; %bb.824:
	s_mov_b32 s2, 0
	v_add_u32_e32 v1, 0x168, v12
	v_add3_u32 v12, v12, s2, 8
	s_mov_b64 s[2:3], 0
.LBB42_825:                             ; =>This Inner Loop Header: Depth=1
	scratch_load_dwordx2 v[92:93], v12, off
	ds_read_b64 v[94:95], v1
	v_add_u32_e32 v0, 1, v0
	v_cmp_lt_u32_e32 vcc, 40, v0
	v_add_u32_e32 v1, 8, v1
	v_add_u32_e32 v12, 8, v12
	s_or_b64 s[2:3], vcc, s[2:3]
	s_waitcnt vmcnt(0) lgkmcnt(0)
	v_fmac_f64_e32 v[90:91], v[92:93], v[94:95]
	s_andn2_b64 exec, exec, s[2:3]
	s_cbranch_execnz .LBB42_825
; %bb.826:
	s_or_b64 exec, exec, s[2:3]
.LBB42_827:
	s_or_b64 exec, exec, s[0:1]
	v_mov_b32_e32 v0, 0
	ds_read_b64 v[0:1], v0 offset:336
	s_waitcnt lgkmcnt(0)
	v_mul_f64 v[0:1], v[90:91], v[0:1]
	scratch_store_dwordx2 off, v[0:1], off offset:336
.LBB42_828:
	s_or_b64 exec, exec, s[4:5]
.LBB42_829:
	scratch_load_dwordx4 v[90:93], off, off
	s_waitcnt vmcnt(0)
	global_store_dwordx2 v[2:3], v[90:91], off
	global_store_dwordx2 v[4:5], v[92:93], off
	scratch_load_dwordx4 v[0:3], off, off offset:16
	s_waitcnt vmcnt(0)
	global_store_dwordx2 v[6:7], v[0:1], off
	global_store_dwordx2 v[8:9], v[2:3], off
	scratch_load_dwordx4 v[0:3], off, off offset:32
	;; [unrolled: 4-line block ×20, first 2 shown]
	s_waitcnt vmcnt(0)
	global_store_dwordx2 v[86:87], v[0:1], off
	global_store_dwordx2 v[88:89], v[2:3], off
	scratch_load_dwordx2 v[0:1], off, off offset:336
	s_waitcnt vmcnt(0)
	global_store_dwordx2 v[80:81], v[0:1], off
.LBB42_830:
	s_endpgm
	.section	.rodata,"a",@progbits
	.p2align	6, 0x0
	.amdhsa_kernel _ZN9rocsolver6v33100L18trti2_kernel_smallILi43EdPdEEv13rocblas_fill_17rocblas_diagonal_T1_iil
		.amdhsa_group_segment_fixed_size 696
		.amdhsa_private_segment_fixed_size 352
		.amdhsa_kernarg_size 32
		.amdhsa_user_sgpr_count 2
		.amdhsa_user_sgpr_dispatch_ptr 0
		.amdhsa_user_sgpr_queue_ptr 0
		.amdhsa_user_sgpr_kernarg_segment_ptr 1
		.amdhsa_user_sgpr_dispatch_id 0
		.amdhsa_user_sgpr_kernarg_preload_length 0
		.amdhsa_user_sgpr_kernarg_preload_offset 0
		.amdhsa_user_sgpr_private_segment_size 0
		.amdhsa_uses_dynamic_stack 0
		.amdhsa_enable_private_segment 1
		.amdhsa_system_sgpr_workgroup_id_x 1
		.amdhsa_system_sgpr_workgroup_id_y 0
		.amdhsa_system_sgpr_workgroup_id_z 0
		.amdhsa_system_sgpr_workgroup_info 0
		.amdhsa_system_vgpr_workitem_id 0
		.amdhsa_next_free_vgpr 100
		.amdhsa_next_free_sgpr 31
		.amdhsa_accum_offset 100
		.amdhsa_reserve_vcc 1
		.amdhsa_float_round_mode_32 0
		.amdhsa_float_round_mode_16_64 0
		.amdhsa_float_denorm_mode_32 3
		.amdhsa_float_denorm_mode_16_64 3
		.amdhsa_dx10_clamp 1
		.amdhsa_ieee_mode 1
		.amdhsa_fp16_overflow 0
		.amdhsa_tg_split 0
		.amdhsa_exception_fp_ieee_invalid_op 0
		.amdhsa_exception_fp_denorm_src 0
		.amdhsa_exception_fp_ieee_div_zero 0
		.amdhsa_exception_fp_ieee_overflow 0
		.amdhsa_exception_fp_ieee_underflow 0
		.amdhsa_exception_fp_ieee_inexact 0
		.amdhsa_exception_int_div_zero 0
	.end_amdhsa_kernel
	.section	.text._ZN9rocsolver6v33100L18trti2_kernel_smallILi43EdPdEEv13rocblas_fill_17rocblas_diagonal_T1_iil,"axG",@progbits,_ZN9rocsolver6v33100L18trti2_kernel_smallILi43EdPdEEv13rocblas_fill_17rocblas_diagonal_T1_iil,comdat
.Lfunc_end42:
	.size	_ZN9rocsolver6v33100L18trti2_kernel_smallILi43EdPdEEv13rocblas_fill_17rocblas_diagonal_T1_iil, .Lfunc_end42-_ZN9rocsolver6v33100L18trti2_kernel_smallILi43EdPdEEv13rocblas_fill_17rocblas_diagonal_T1_iil
                                        ; -- End function
	.set _ZN9rocsolver6v33100L18trti2_kernel_smallILi43EdPdEEv13rocblas_fill_17rocblas_diagonal_T1_iil.num_vgpr, 100
	.set _ZN9rocsolver6v33100L18trti2_kernel_smallILi43EdPdEEv13rocblas_fill_17rocblas_diagonal_T1_iil.num_agpr, 0
	.set _ZN9rocsolver6v33100L18trti2_kernel_smallILi43EdPdEEv13rocblas_fill_17rocblas_diagonal_T1_iil.numbered_sgpr, 31
	.set _ZN9rocsolver6v33100L18trti2_kernel_smallILi43EdPdEEv13rocblas_fill_17rocblas_diagonal_T1_iil.num_named_barrier, 0
	.set _ZN9rocsolver6v33100L18trti2_kernel_smallILi43EdPdEEv13rocblas_fill_17rocblas_diagonal_T1_iil.private_seg_size, 352
	.set _ZN9rocsolver6v33100L18trti2_kernel_smallILi43EdPdEEv13rocblas_fill_17rocblas_diagonal_T1_iil.uses_vcc, 1
	.set _ZN9rocsolver6v33100L18trti2_kernel_smallILi43EdPdEEv13rocblas_fill_17rocblas_diagonal_T1_iil.uses_flat_scratch, 0
	.set _ZN9rocsolver6v33100L18trti2_kernel_smallILi43EdPdEEv13rocblas_fill_17rocblas_diagonal_T1_iil.has_dyn_sized_stack, 0
	.set _ZN9rocsolver6v33100L18trti2_kernel_smallILi43EdPdEEv13rocblas_fill_17rocblas_diagonal_T1_iil.has_recursion, 0
	.set _ZN9rocsolver6v33100L18trti2_kernel_smallILi43EdPdEEv13rocblas_fill_17rocblas_diagonal_T1_iil.has_indirect_call, 0
	.section	.AMDGPU.csdata,"",@progbits
; Kernel info:
; codeLenInByte = 20420
; TotalNumSgprs: 37
; NumVgprs: 100
; NumAgprs: 0
; TotalNumVgprs: 100
; ScratchSize: 352
; MemoryBound: 0
; FloatMode: 240
; IeeeMode: 1
; LDSByteSize: 696 bytes/workgroup (compile time only)
; SGPRBlocks: 4
; VGPRBlocks: 12
; NumSGPRsForWavesPerEU: 37
; NumVGPRsForWavesPerEU: 100
; AccumOffset: 100
; Occupancy: 4
; WaveLimiterHint : 0
; COMPUTE_PGM_RSRC2:SCRATCH_EN: 1
; COMPUTE_PGM_RSRC2:USER_SGPR: 2
; COMPUTE_PGM_RSRC2:TRAP_HANDLER: 0
; COMPUTE_PGM_RSRC2:TGID_X_EN: 1
; COMPUTE_PGM_RSRC2:TGID_Y_EN: 0
; COMPUTE_PGM_RSRC2:TGID_Z_EN: 0
; COMPUTE_PGM_RSRC2:TIDIG_COMP_CNT: 0
; COMPUTE_PGM_RSRC3_GFX90A:ACCUM_OFFSET: 24
; COMPUTE_PGM_RSRC3_GFX90A:TG_SPLIT: 0
	.section	.text._ZN9rocsolver6v33100L18trti2_kernel_smallILi44EdPdEEv13rocblas_fill_17rocblas_diagonal_T1_iil,"axG",@progbits,_ZN9rocsolver6v33100L18trti2_kernel_smallILi44EdPdEEv13rocblas_fill_17rocblas_diagonal_T1_iil,comdat
	.globl	_ZN9rocsolver6v33100L18trti2_kernel_smallILi44EdPdEEv13rocblas_fill_17rocblas_diagonal_T1_iil ; -- Begin function _ZN9rocsolver6v33100L18trti2_kernel_smallILi44EdPdEEv13rocblas_fill_17rocblas_diagonal_T1_iil
	.p2align	8
	.type	_ZN9rocsolver6v33100L18trti2_kernel_smallILi44EdPdEEv13rocblas_fill_17rocblas_diagonal_T1_iil,@function
_ZN9rocsolver6v33100L18trti2_kernel_smallILi44EdPdEEv13rocblas_fill_17rocblas_diagonal_T1_iil: ; @_ZN9rocsolver6v33100L18trti2_kernel_smallILi44EdPdEEv13rocblas_fill_17rocblas_diagonal_T1_iil
; %bb.0:
	v_cmp_gt_u32_e32 vcc, 44, v0
	s_and_saveexec_b64 s[4:5], vcc
	s_cbranch_execz .LBB43_850
; %bb.1:
	s_load_dwordx8 s[4:11], s[0:1], 0x0
	s_ashr_i32 s3, s2, 31
	v_lshlrev_b32_e32 v16, 3, v0
	v_mov_b32_e32 v17, 0
	s_waitcnt lgkmcnt(0)
	s_ashr_i32 s1, s8, 31
	s_mov_b32 s0, s8
	s_mul_hi_u32 s8, s10, s2
	s_mul_i32 s3, s10, s3
	s_add_i32 s3, s8, s3
	s_mul_i32 s8, s11, s2
	s_add_i32 s3, s3, s8
	s_mul_i32 s2, s10, s2
	s_lshl_b64 s[2:3], s[2:3], 3
	s_add_u32 s2, s6, s2
	s_addc_u32 s3, s7, s3
	s_lshl_b64 s[0:1], s[0:1], 3
	s_add_u32 s0, s2, s0
	s_addc_u32 s1, s3, s1
	v_lshl_add_u64 v[2:3], s[0:1], 0, v[16:17]
	s_ashr_i32 s3, s9, 31
	s_mov_b32 s2, s9
	v_lshl_add_u64 v[4:5], s[2:3], 3, v[2:3]
	global_load_dwordx2 v[6:7], v16, s[0:1]
	global_load_dwordx2 v[8:9], v[4:5], off
	s_add_i32 s2, s9, s9
	s_cmpk_lg_i32 s5, 0x84
	s_cselect_b64 s[6:7], -1, 0
	s_cmpk_eq_i32 s5, 0x84
	s_waitcnt vmcnt(0)
	scratch_store_dwordx4 off, v[6:9], off
	s_nop 1
	v_add_u32_e32 v8, s2, v0
	v_add_u32_e32 v10, s9, v8
	v_ashrrev_i32_e32 v9, 31, v8
	v_ashrrev_i32_e32 v11, 31, v10
	v_lshl_add_u64 v[6:7], v[8:9], 3, s[0:1]
	v_lshl_add_u64 v[8:9], v[10:11], 3, s[0:1]
	global_load_dwordx2 v[12:13], v[6:7], off
	global_load_dwordx2 v[14:15], v[8:9], off
	s_waitcnt vmcnt(0)
	scratch_store_dwordx4 off, v[12:15], off offset:16
	s_nop 1
	v_add_u32_e32 v12, s9, v10
	v_add_u32_e32 v14, s9, v12
	v_ashrrev_i32_e32 v13, 31, v12
	v_ashrrev_i32_e32 v15, 31, v14
	v_lshl_add_u64 v[10:11], v[12:13], 3, s[0:1]
	v_lshl_add_u64 v[12:13], v[14:15], 3, s[0:1]
	global_load_dwordx2 v[18:19], v[10:11], off
	global_load_dwordx2 v[20:21], v[12:13], off
	s_waitcnt vmcnt(0)
	scratch_store_dwordx4 off, v[18:21], off offset:32
	;; [unrolled: 11-line block ×16, first 2 shown]
	s_nop 1
	v_add_u32_e32 v74, s9, v72
	v_add_u32_e32 v76, s9, v74
	v_ashrrev_i32_e32 v75, 31, v74
	v_ashrrev_i32_e32 v77, 31, v76
	v_lshl_add_u64 v[72:73], v[74:75], 3, s[0:1]
	v_lshl_add_u64 v[74:75], v[76:77], 3, s[0:1]
	global_load_dwordx2 v[78:79], v[72:73], off
	global_load_dwordx2 v[80:81], v[74:75], off
	v_add_u32_e32 v76, s9, v76
	v_ashrrev_i32_e32 v77, 31, v76
	s_waitcnt vmcnt(0)
	scratch_store_dwordx4 off, v[78:81], off offset:272
	s_nop 1
	v_lshl_add_u64 v[78:79], v[76:77], 3, s[0:1]
	v_add_u32_e32 v76, s9, v76
	v_ashrrev_i32_e32 v77, 31, v76
	v_lshl_add_u64 v[82:83], v[76:77], 3, s[0:1]
	global_load_dwordx2 v[84:85], v[78:79], off
	global_load_dwordx2 v[86:87], v[82:83], off
	v_add_u32_e32 v76, s9, v76
	v_ashrrev_i32_e32 v77, 31, v76
	s_waitcnt vmcnt(0)
	scratch_store_dwordx4 off, v[84:87], off offset:288
	s_nop 1
	v_lshl_add_u64 v[84:85], v[76:77], 3, s[0:1]
	v_add_u32_e32 v76, s9, v76
	v_ashrrev_i32_e32 v77, 31, v76
	;; [unrolled: 11-line block ×3, first 2 shown]
	v_lshl_add_u64 v[90:91], v[76:77], 3, s[0:1]
	global_load_dwordx2 v[92:93], v[88:89], off
	global_load_dwordx2 v[94:95], v[90:91], off
	v_add_u32_e32 v80, s9, v76
	v_ashrrev_i32_e32 v81, 31, v80
	v_lshl_add_u64 v[76:77], v[80:81], 3, s[0:1]
	v_add_u32_e32 v80, s9, v80
	v_ashrrev_i32_e32 v81, 31, v80
	v_lshl_add_u64 v[80:81], v[80:81], 3, s[0:1]
	s_waitcnt vmcnt(0)
	scratch_store_dwordx4 off, v[92:95], off offset:320
	global_load_dwordx2 v[92:93], v[76:77], off
	s_nop 0
	global_load_dwordx2 v[94:95], v[80:81], off
	s_waitcnt vmcnt(0)
	scratch_store_dwordx4 off, v[92:95], off offset:336
	s_nop 1
	v_mov_b64_e32 v[92:93], -1.0
	s_cbranch_scc1 .LBB43_3
; %bb.2:
	scratch_load_dwordx2 v[92:93], v16, off
	s_waitcnt vmcnt(0)
	v_div_scale_f64 v[94:95], s[0:1], v[92:93], v[92:93], 1.0
	v_rcp_f64_e32 v[96:97], v[94:95]
	v_div_scale_f64 v[98:99], vcc, 1.0, v[92:93], 1.0
	v_fma_f64 v[100:101], -v[94:95], v[96:97], 1.0
	v_fmac_f64_e32 v[96:97], v[96:97], v[100:101]
	v_fma_f64 v[100:101], -v[94:95], v[96:97], 1.0
	v_fmac_f64_e32 v[96:97], v[96:97], v[100:101]
	v_mul_f64 v[100:101], v[98:99], v[96:97]
	v_fma_f64 v[94:95], -v[94:95], v[100:101], v[98:99]
	v_div_fmas_f64 v[94:95], v[94:95], v[96:97], v[100:101]
	v_div_fixup_f64 v[92:93], v[94:95], v[92:93], 1.0
	scratch_store_dwordx2 v16, v[92:93], off
	v_xor_b32_e32 v93, 0x80000000, v93
.LBB43_3:
	s_cmpk_eq_i32 s4, 0x79
	v_add_u32_e32 v1, 0x160, v16
	v_mov_b32_e32 v17, v16
	s_mov_b64 s[0:1], -1
	ds_write_b64 v16, v[92:93]
	s_cbranch_scc1 .LBB43_427
; %bb.4:
	scratch_load_dwordx2 v[92:93], off, off offset:336
	s_movk_i32 s8, 0x50
	s_movk_i32 s9, 0x60
	;; [unrolled: 1-line block ×16, first 2 shown]
	v_cmp_eq_u32_e64 s[0:1], 43, v0
	s_waitcnt vmcnt(0)
	ds_write_b64 v1, v[92:93]
	s_waitcnt lgkmcnt(0)
	; wave barrier
	s_and_saveexec_b64 s[2:3], s[0:1]
	s_cbranch_execz .LBB43_10
; %bb.5:
	s_and_b64 vcc, exec, s[6:7]
	s_cbranch_vccz .LBB43_7
; %bb.6:
	scratch_load_dwordx2 v[92:93], v17, off
	ds_read_b64 v[94:95], v1
	s_waitcnt vmcnt(0) lgkmcnt(0)
	v_mul_f64 v[92:93], v[92:93], v[94:95]
	s_cbranch_execz .LBB43_8
	s_branch .LBB43_9
.LBB43_7:
                                        ; implicit-def: $vgpr92_vgpr93
.LBB43_8:
	ds_read_b64 v[92:93], v1
.LBB43_9:
	v_mov_b32_e32 v94, 0
	ds_read_b64 v[94:95], v94 offset:336
	s_waitcnt lgkmcnt(0)
	v_mul_f64 v[92:93], v[92:93], v[94:95]
	scratch_store_dwordx2 off, v[92:93], off offset:336
.LBB43_10:
	s_or_b64 exec, exec, s[2:3]
	scratch_load_dwordx2 v[92:93], off, off offset:328
	s_mov_b32 s10, 16
	s_mov_b32 s11, 32
	;; [unrolled: 1-line block ×6, first 2 shown]
	v_cmp_lt_u32_e64 s[2:3], 41, v0
	s_waitcnt vmcnt(0)
	ds_write_b64 v1, v[92:93]
	s_waitcnt lgkmcnt(0)
	; wave barrier
	s_and_saveexec_b64 s[4:5], s[2:3]
	s_cbranch_execz .LBB43_16
; %bb.11:
	s_andn2_b64 vcc, exec, s[6:7]
	s_cbranch_vccnz .LBB43_13
; %bb.12:
	scratch_load_dwordx2 v[92:93], v17, off
	ds_read_b64 v[94:95], v1
	s_waitcnt vmcnt(0) lgkmcnt(0)
	v_mul_f64 v[92:93], v[92:93], v[94:95]
	s_cbranch_execz .LBB43_14
	s_branch .LBB43_15
.LBB43_13:
                                        ; implicit-def: $vgpr92_vgpr93
.LBB43_14:
	ds_read_b64 v[92:93], v1
.LBB43_15:
	scratch_load_dwordx2 v[98:99], off, off offset:336
	v_mov_b32_e32 v94, 0
	ds_read2_b64 v[94:97], v94 offset0:41 offset1:86
	s_waitcnt vmcnt(0) lgkmcnt(0)
	v_fma_f64 v[96:97], v[98:99], v[96:97], v[92:93]
	v_cndmask_b32_e64 v93, v93, v97, s[0:1]
	v_cndmask_b32_e64 v92, v92, v96, s[0:1]
	v_mul_f64 v[92:93], v[92:93], v[94:95]
	scratch_store_dwordx2 off, v[92:93], off offset:328
.LBB43_16:
	s_or_b64 exec, exec, s[4:5]
	scratch_load_dwordx2 v[92:93], off, off offset:320
	v_cmp_lt_u32_e64 s[0:1], 40, v0
	s_waitcnt vmcnt(0)
	ds_write_b64 v1, v[92:93]
	s_waitcnt lgkmcnt(0)
	; wave barrier
	s_and_saveexec_b64 s[4:5], s[0:1]
	s_cbranch_execz .LBB43_26
; %bb.17:
	s_andn2_b64 vcc, exec, s[6:7]
	s_cbranch_vccnz .LBB43_19
; %bb.18:
	scratch_load_dwordx2 v[92:93], v17, off
	ds_read_b64 v[94:95], v1
	s_waitcnt vmcnt(0) lgkmcnt(0)
	v_mul_f64 v[92:93], v[92:93], v[94:95]
	s_cbranch_execz .LBB43_20
	s_branch .LBB43_21
.LBB43_19:
                                        ; implicit-def: $vgpr92_vgpr93
.LBB43_20:
	ds_read_b64 v[92:93], v1
.LBB43_21:
	s_and_saveexec_b64 s[8:9], s[2:3]
	s_cbranch_execz .LBB43_25
; %bb.22:
	s_movk_i32 s30, 0x148
	v_subrev_u32_e32 v94, 41, v0
	s_movk_i32 s31, 0x2a8
	s_mov_b64 s[2:3], 0
.LBB43_23:                              ; =>This Inner Loop Header: Depth=1
	scratch_load_dwordx2 v[96:97], off, s30
	v_mov_b32_e32 v95, s31
	ds_read_b64 v[98:99], v95
	v_add_u32_e32 v94, -1, v94
	s_add_i32 s31, s31, 8
	s_add_i32 s30, s30, 8
	v_cmp_eq_u32_e32 vcc, 0, v94
	s_or_b64 s[2:3], vcc, s[2:3]
	s_waitcnt vmcnt(0) lgkmcnt(0)
	v_fmac_f64_e32 v[92:93], v[96:97], v[98:99]
	s_andn2_b64 exec, exec, s[2:3]
	s_cbranch_execnz .LBB43_23
; %bb.24:
	s_or_b64 exec, exec, s[2:3]
.LBB43_25:
	s_or_b64 exec, exec, s[8:9]
	v_mov_b32_e32 v94, 0
	ds_read_b64 v[94:95], v94 offset:320
	s_waitcnt lgkmcnt(0)
	v_mul_f64 v[92:93], v[92:93], v[94:95]
	scratch_store_dwordx2 off, v[92:93], off offset:320
.LBB43_26:
	s_or_b64 exec, exec, s[4:5]
	scratch_load_dwordx2 v[92:93], off, off offset:312
	v_cmp_lt_u32_e64 s[2:3], 39, v0
	s_waitcnt vmcnt(0)
	ds_write_b64 v1, v[92:93]
	s_waitcnt lgkmcnt(0)
	; wave barrier
	s_and_saveexec_b64 s[4:5], s[2:3]
	s_cbranch_execz .LBB43_36
; %bb.27:
	s_andn2_b64 vcc, exec, s[6:7]
	s_cbranch_vccnz .LBB43_29
; %bb.28:
	scratch_load_dwordx2 v[92:93], v17, off
	ds_read_b64 v[94:95], v1
	s_waitcnt vmcnt(0) lgkmcnt(0)
	v_mul_f64 v[92:93], v[92:93], v[94:95]
	s_cbranch_execz .LBB43_30
	s_branch .LBB43_31
.LBB43_29:
                                        ; implicit-def: $vgpr92_vgpr93
.LBB43_30:
	ds_read_b64 v[92:93], v1
.LBB43_31:
	s_and_saveexec_b64 s[8:9], s[0:1]
	s_cbranch_execz .LBB43_35
; %bb.32:
	v_subrev_u32_e32 v94, 40, v0
	s_movk_i32 s30, 0x2a0
	s_mov_b64 s[0:1], 0
.LBB43_33:                              ; =>This Inner Loop Header: Depth=1
	scratch_load_dwordx2 v[96:97], off, s29
	v_mov_b32_e32 v95, s30
	ds_read_b64 v[98:99], v95
	v_add_u32_e32 v94, -1, v94
	s_add_i32 s30, s30, 8
	s_add_i32 s29, s29, 8
	v_cmp_eq_u32_e32 vcc, 0, v94
	s_or_b64 s[0:1], vcc, s[0:1]
	s_waitcnt vmcnt(0) lgkmcnt(0)
	v_fmac_f64_e32 v[92:93], v[96:97], v[98:99]
	s_andn2_b64 exec, exec, s[0:1]
	s_cbranch_execnz .LBB43_33
; %bb.34:
	s_or_b64 exec, exec, s[0:1]
.LBB43_35:
	s_or_b64 exec, exec, s[8:9]
	v_mov_b32_e32 v94, 0
	ds_read_b64 v[94:95], v94 offset:312
	s_waitcnt lgkmcnt(0)
	v_mul_f64 v[92:93], v[92:93], v[94:95]
	scratch_store_dwordx2 off, v[92:93], off offset:312
.LBB43_36:
	s_or_b64 exec, exec, s[4:5]
	scratch_load_dwordx2 v[92:93], off, off offset:304
	v_cmp_lt_u32_e64 s[0:1], 38, v0
	s_waitcnt vmcnt(0)
	ds_write_b64 v1, v[92:93]
	s_waitcnt lgkmcnt(0)
	; wave barrier
	s_and_saveexec_b64 s[4:5], s[0:1]
	s_cbranch_execz .LBB43_46
; %bb.37:
	s_andn2_b64 vcc, exec, s[6:7]
	s_cbranch_vccnz .LBB43_39
; %bb.38:
	scratch_load_dwordx2 v[92:93], v17, off
	ds_read_b64 v[94:95], v1
	s_waitcnt vmcnt(0) lgkmcnt(0)
	v_mul_f64 v[92:93], v[92:93], v[94:95]
	s_cbranch_execz .LBB43_40
	s_branch .LBB43_41
.LBB43_39:
                                        ; implicit-def: $vgpr92_vgpr93
.LBB43_40:
	ds_read_b64 v[92:93], v1
.LBB43_41:
	s_and_saveexec_b64 s[8:9], s[2:3]
	s_cbranch_execz .LBB43_45
; %bb.42:
	s_movk_i32 s29, 0x138
	v_subrev_u32_e32 v94, 39, v0
	s_movk_i32 s30, 0x298
	s_mov_b64 s[2:3], 0
.LBB43_43:                              ; =>This Inner Loop Header: Depth=1
	scratch_load_dwordx2 v[96:97], off, s29
	v_mov_b32_e32 v95, s30
	ds_read_b64 v[98:99], v95
	v_add_u32_e32 v94, -1, v94
	s_add_i32 s30, s30, 8
	s_add_i32 s29, s29, 8
	v_cmp_eq_u32_e32 vcc, 0, v94
	s_or_b64 s[2:3], vcc, s[2:3]
	s_waitcnt vmcnt(0) lgkmcnt(0)
	v_fmac_f64_e32 v[92:93], v[96:97], v[98:99]
	s_andn2_b64 exec, exec, s[2:3]
	s_cbranch_execnz .LBB43_43
; %bb.44:
	s_or_b64 exec, exec, s[2:3]
.LBB43_45:
	s_or_b64 exec, exec, s[8:9]
	v_mov_b32_e32 v94, 0
	ds_read_b64 v[94:95], v94 offset:304
	s_waitcnt lgkmcnt(0)
	v_mul_f64 v[92:93], v[92:93], v[94:95]
	scratch_store_dwordx2 off, v[92:93], off offset:304
.LBB43_46:
	s_or_b64 exec, exec, s[4:5]
	scratch_load_dwordx2 v[92:93], off, off offset:296
	v_cmp_lt_u32_e64 s[2:3], 37, v0
	s_waitcnt vmcnt(0)
	ds_write_b64 v1, v[92:93]
	s_waitcnt lgkmcnt(0)
	; wave barrier
	s_and_saveexec_b64 s[4:5], s[2:3]
	s_cbranch_execz .LBB43_56
; %bb.47:
	s_andn2_b64 vcc, exec, s[6:7]
	s_cbranch_vccnz .LBB43_49
; %bb.48:
	scratch_load_dwordx2 v[92:93], v17, off
	ds_read_b64 v[94:95], v1
	s_waitcnt vmcnt(0) lgkmcnt(0)
	v_mul_f64 v[92:93], v[92:93], v[94:95]
	s_cbranch_execz .LBB43_50
	s_branch .LBB43_51
.LBB43_49:
                                        ; implicit-def: $vgpr92_vgpr93
.LBB43_50:
	ds_read_b64 v[92:93], v1
.LBB43_51:
	s_and_saveexec_b64 s[8:9], s[0:1]
	s_cbranch_execz .LBB43_55
; %bb.52:
	v_subrev_u32_e32 v94, 38, v0
	s_movk_i32 s29, 0x290
	s_mov_b64 s[0:1], 0
.LBB43_53:                              ; =>This Inner Loop Header: Depth=1
	scratch_load_dwordx2 v[96:97], off, s28
	v_mov_b32_e32 v95, s29
	ds_read_b64 v[98:99], v95
	v_add_u32_e32 v94, -1, v94
	s_add_i32 s29, s29, 8
	s_add_i32 s28, s28, 8
	v_cmp_eq_u32_e32 vcc, 0, v94
	s_or_b64 s[0:1], vcc, s[0:1]
	s_waitcnt vmcnt(0) lgkmcnt(0)
	v_fmac_f64_e32 v[92:93], v[96:97], v[98:99]
	s_andn2_b64 exec, exec, s[0:1]
	s_cbranch_execnz .LBB43_53
; %bb.54:
	s_or_b64 exec, exec, s[0:1]
.LBB43_55:
	s_or_b64 exec, exec, s[8:9]
	v_mov_b32_e32 v94, 0
	ds_read_b64 v[94:95], v94 offset:296
	s_waitcnt lgkmcnt(0)
	v_mul_f64 v[92:93], v[92:93], v[94:95]
	scratch_store_dwordx2 off, v[92:93], off offset:296
.LBB43_56:
	s_or_b64 exec, exec, s[4:5]
	scratch_load_dwordx2 v[92:93], off, off offset:288
	v_cmp_lt_u32_e64 s[0:1], 36, v0
	s_waitcnt vmcnt(0)
	ds_write_b64 v1, v[92:93]
	s_waitcnt lgkmcnt(0)
	; wave barrier
	s_and_saveexec_b64 s[4:5], s[0:1]
	s_cbranch_execz .LBB43_66
; %bb.57:
	s_andn2_b64 vcc, exec, s[6:7]
	s_cbranch_vccnz .LBB43_59
; %bb.58:
	scratch_load_dwordx2 v[92:93], v17, off
	ds_read_b64 v[94:95], v1
	s_waitcnt vmcnt(0) lgkmcnt(0)
	v_mul_f64 v[92:93], v[92:93], v[94:95]
	s_cbranch_execz .LBB43_60
	s_branch .LBB43_61
.LBB43_59:
                                        ; implicit-def: $vgpr92_vgpr93
.LBB43_60:
	ds_read_b64 v[92:93], v1
.LBB43_61:
	s_and_saveexec_b64 s[8:9], s[2:3]
	s_cbranch_execz .LBB43_65
; %bb.62:
	s_movk_i32 s28, 0x128
	v_subrev_u32_e32 v94, 37, v0
	s_movk_i32 s29, 0x288
	s_mov_b64 s[2:3], 0
.LBB43_63:                              ; =>This Inner Loop Header: Depth=1
	scratch_load_dwordx2 v[96:97], off, s28
	v_mov_b32_e32 v95, s29
	ds_read_b64 v[98:99], v95
	v_add_u32_e32 v94, -1, v94
	s_add_i32 s29, s29, 8
	s_add_i32 s28, s28, 8
	v_cmp_eq_u32_e32 vcc, 0, v94
	s_or_b64 s[2:3], vcc, s[2:3]
	s_waitcnt vmcnt(0) lgkmcnt(0)
	v_fmac_f64_e32 v[92:93], v[96:97], v[98:99]
	s_andn2_b64 exec, exec, s[2:3]
	s_cbranch_execnz .LBB43_63
; %bb.64:
	s_or_b64 exec, exec, s[2:3]
.LBB43_65:
	s_or_b64 exec, exec, s[8:9]
	v_mov_b32_e32 v94, 0
	ds_read_b64 v[94:95], v94 offset:288
	s_waitcnt lgkmcnt(0)
	v_mul_f64 v[92:93], v[92:93], v[94:95]
	scratch_store_dwordx2 off, v[92:93], off offset:288
.LBB43_66:
	s_or_b64 exec, exec, s[4:5]
	scratch_load_dwordx2 v[92:93], off, off offset:280
	v_cmp_lt_u32_e64 s[2:3], 35, v0
	s_waitcnt vmcnt(0)
	ds_write_b64 v1, v[92:93]
	s_waitcnt lgkmcnt(0)
	; wave barrier
	s_and_saveexec_b64 s[4:5], s[2:3]
	s_cbranch_execz .LBB43_76
; %bb.67:
	s_andn2_b64 vcc, exec, s[6:7]
	s_cbranch_vccnz .LBB43_69
; %bb.68:
	scratch_load_dwordx2 v[92:93], v17, off
	ds_read_b64 v[94:95], v1
	s_waitcnt vmcnt(0) lgkmcnt(0)
	v_mul_f64 v[92:93], v[92:93], v[94:95]
	s_cbranch_execz .LBB43_70
	s_branch .LBB43_71
.LBB43_69:
                                        ; implicit-def: $vgpr92_vgpr93
.LBB43_70:
	ds_read_b64 v[92:93], v1
.LBB43_71:
	s_and_saveexec_b64 s[8:9], s[0:1]
	s_cbranch_execz .LBB43_75
; %bb.72:
	v_subrev_u32_e32 v94, 36, v0
	s_movk_i32 s28, 0x280
	s_mov_b64 s[0:1], 0
.LBB43_73:                              ; =>This Inner Loop Header: Depth=1
	scratch_load_dwordx2 v[96:97], off, s27
	v_mov_b32_e32 v95, s28
	ds_read_b64 v[98:99], v95
	v_add_u32_e32 v94, -1, v94
	s_add_i32 s28, s28, 8
	s_add_i32 s27, s27, 8
	v_cmp_eq_u32_e32 vcc, 0, v94
	s_or_b64 s[0:1], vcc, s[0:1]
	s_waitcnt vmcnt(0) lgkmcnt(0)
	v_fmac_f64_e32 v[92:93], v[96:97], v[98:99]
	s_andn2_b64 exec, exec, s[0:1]
	s_cbranch_execnz .LBB43_73
; %bb.74:
	s_or_b64 exec, exec, s[0:1]
.LBB43_75:
	s_or_b64 exec, exec, s[8:9]
	v_mov_b32_e32 v94, 0
	ds_read_b64 v[94:95], v94 offset:280
	s_waitcnt lgkmcnt(0)
	v_mul_f64 v[92:93], v[92:93], v[94:95]
	scratch_store_dwordx2 off, v[92:93], off offset:280
.LBB43_76:
	s_or_b64 exec, exec, s[4:5]
	scratch_load_dwordx2 v[92:93], off, off offset:272
	v_cmp_lt_u32_e64 s[0:1], 34, v0
	s_waitcnt vmcnt(0)
	ds_write_b64 v1, v[92:93]
	s_waitcnt lgkmcnt(0)
	; wave barrier
	s_and_saveexec_b64 s[4:5], s[0:1]
	s_cbranch_execz .LBB43_86
; %bb.77:
	s_andn2_b64 vcc, exec, s[6:7]
	s_cbranch_vccnz .LBB43_79
; %bb.78:
	scratch_load_dwordx2 v[92:93], v17, off
	ds_read_b64 v[94:95], v1
	s_waitcnt vmcnt(0) lgkmcnt(0)
	v_mul_f64 v[92:93], v[92:93], v[94:95]
	s_cbranch_execz .LBB43_80
	s_branch .LBB43_81
.LBB43_79:
                                        ; implicit-def: $vgpr92_vgpr93
.LBB43_80:
	ds_read_b64 v[92:93], v1
.LBB43_81:
	s_and_saveexec_b64 s[8:9], s[2:3]
	s_cbranch_execz .LBB43_85
; %bb.82:
	s_movk_i32 s27, 0x118
	v_subrev_u32_e32 v94, 35, v0
	s_movk_i32 s28, 0x278
	s_mov_b64 s[2:3], 0
.LBB43_83:                              ; =>This Inner Loop Header: Depth=1
	scratch_load_dwordx2 v[96:97], off, s27
	v_mov_b32_e32 v95, s28
	ds_read_b64 v[98:99], v95
	v_add_u32_e32 v94, -1, v94
	s_add_i32 s28, s28, 8
	s_add_i32 s27, s27, 8
	v_cmp_eq_u32_e32 vcc, 0, v94
	s_or_b64 s[2:3], vcc, s[2:3]
	s_waitcnt vmcnt(0) lgkmcnt(0)
	v_fmac_f64_e32 v[92:93], v[96:97], v[98:99]
	s_andn2_b64 exec, exec, s[2:3]
	s_cbranch_execnz .LBB43_83
; %bb.84:
	s_or_b64 exec, exec, s[2:3]
.LBB43_85:
	s_or_b64 exec, exec, s[8:9]
	v_mov_b32_e32 v94, 0
	ds_read_b64 v[94:95], v94 offset:272
	s_waitcnt lgkmcnt(0)
	v_mul_f64 v[92:93], v[92:93], v[94:95]
	scratch_store_dwordx2 off, v[92:93], off offset:272
.LBB43_86:
	s_or_b64 exec, exec, s[4:5]
	scratch_load_dwordx2 v[92:93], off, off offset:264
	v_cmp_lt_u32_e64 s[2:3], 33, v0
	s_waitcnt vmcnt(0)
	ds_write_b64 v1, v[92:93]
	s_waitcnt lgkmcnt(0)
	; wave barrier
	s_and_saveexec_b64 s[4:5], s[2:3]
	s_cbranch_execz .LBB43_96
; %bb.87:
	s_andn2_b64 vcc, exec, s[6:7]
	s_cbranch_vccnz .LBB43_89
; %bb.88:
	scratch_load_dwordx2 v[92:93], v17, off
	ds_read_b64 v[94:95], v1
	s_waitcnt vmcnt(0) lgkmcnt(0)
	v_mul_f64 v[92:93], v[92:93], v[94:95]
	s_cbranch_execz .LBB43_90
	s_branch .LBB43_91
.LBB43_89:
                                        ; implicit-def: $vgpr92_vgpr93
.LBB43_90:
	ds_read_b64 v[92:93], v1
.LBB43_91:
	s_and_saveexec_b64 s[8:9], s[0:1]
	s_cbranch_execz .LBB43_95
; %bb.92:
	v_subrev_u32_e32 v94, 34, v0
	s_movk_i32 s27, 0x270
	s_mov_b64 s[0:1], 0
.LBB43_93:                              ; =>This Inner Loop Header: Depth=1
	scratch_load_dwordx2 v[96:97], off, s26
	v_mov_b32_e32 v95, s27
	ds_read_b64 v[98:99], v95
	v_add_u32_e32 v94, -1, v94
	s_add_i32 s27, s27, 8
	s_add_i32 s26, s26, 8
	v_cmp_eq_u32_e32 vcc, 0, v94
	s_or_b64 s[0:1], vcc, s[0:1]
	s_waitcnt vmcnt(0) lgkmcnt(0)
	v_fmac_f64_e32 v[92:93], v[96:97], v[98:99]
	s_andn2_b64 exec, exec, s[0:1]
	s_cbranch_execnz .LBB43_93
; %bb.94:
	s_or_b64 exec, exec, s[0:1]
.LBB43_95:
	s_or_b64 exec, exec, s[8:9]
	v_mov_b32_e32 v94, 0
	ds_read_b64 v[94:95], v94 offset:264
	s_waitcnt lgkmcnt(0)
	v_mul_f64 v[92:93], v[92:93], v[94:95]
	scratch_store_dwordx2 off, v[92:93], off offset:264
.LBB43_96:
	s_or_b64 exec, exec, s[4:5]
	scratch_load_dwordx2 v[92:93], off, off offset:256
	v_cmp_lt_u32_e64 s[0:1], 32, v0
	s_waitcnt vmcnt(0)
	ds_write_b64 v1, v[92:93]
	s_waitcnt lgkmcnt(0)
	; wave barrier
	s_and_saveexec_b64 s[4:5], s[0:1]
	s_cbranch_execz .LBB43_106
; %bb.97:
	s_andn2_b64 vcc, exec, s[6:7]
	s_cbranch_vccnz .LBB43_99
; %bb.98:
	scratch_load_dwordx2 v[92:93], v17, off
	ds_read_b64 v[94:95], v1
	s_waitcnt vmcnt(0) lgkmcnt(0)
	v_mul_f64 v[92:93], v[92:93], v[94:95]
	s_cbranch_execz .LBB43_100
	s_branch .LBB43_101
.LBB43_99:
                                        ; implicit-def: $vgpr92_vgpr93
.LBB43_100:
	ds_read_b64 v[92:93], v1
.LBB43_101:
	s_and_saveexec_b64 s[8:9], s[2:3]
	s_cbranch_execz .LBB43_105
; %bb.102:
	s_movk_i32 s26, 0x108
	v_subrev_u32_e32 v94, 33, v0
	s_movk_i32 s27, 0x268
	s_mov_b64 s[2:3], 0
.LBB43_103:                             ; =>This Inner Loop Header: Depth=1
	scratch_load_dwordx2 v[96:97], off, s26
	v_mov_b32_e32 v95, s27
	ds_read_b64 v[98:99], v95
	v_add_u32_e32 v94, -1, v94
	s_add_i32 s27, s27, 8
	s_add_i32 s26, s26, 8
	v_cmp_eq_u32_e32 vcc, 0, v94
	s_or_b64 s[2:3], vcc, s[2:3]
	s_waitcnt vmcnt(0) lgkmcnt(0)
	v_fmac_f64_e32 v[92:93], v[96:97], v[98:99]
	s_andn2_b64 exec, exec, s[2:3]
	s_cbranch_execnz .LBB43_103
; %bb.104:
	s_or_b64 exec, exec, s[2:3]
.LBB43_105:
	s_or_b64 exec, exec, s[8:9]
	v_mov_b32_e32 v94, 0
	ds_read_b64 v[94:95], v94 offset:256
	s_waitcnt lgkmcnt(0)
	v_mul_f64 v[92:93], v[92:93], v[94:95]
	scratch_store_dwordx2 off, v[92:93], off offset:256
.LBB43_106:
	s_or_b64 exec, exec, s[4:5]
	scratch_load_dwordx2 v[92:93], off, off offset:248
	v_cmp_lt_u32_e64 s[2:3], 31, v0
	s_waitcnt vmcnt(0)
	ds_write_b64 v1, v[92:93]
	s_waitcnt lgkmcnt(0)
	; wave barrier
	s_and_saveexec_b64 s[4:5], s[2:3]
	s_cbranch_execz .LBB43_116
; %bb.107:
	s_andn2_b64 vcc, exec, s[6:7]
	s_cbranch_vccnz .LBB43_109
; %bb.108:
	scratch_load_dwordx2 v[92:93], v17, off
	ds_read_b64 v[94:95], v1
	s_waitcnt vmcnt(0) lgkmcnt(0)
	v_mul_f64 v[92:93], v[92:93], v[94:95]
	s_cbranch_execz .LBB43_110
	s_branch .LBB43_111
.LBB43_109:
                                        ; implicit-def: $vgpr92_vgpr93
.LBB43_110:
	ds_read_b64 v[92:93], v1
.LBB43_111:
	s_and_saveexec_b64 s[8:9], s[0:1]
	s_cbranch_execz .LBB43_115
; %bb.112:
	v_subrev_u32_e32 v94, 32, v0
	s_movk_i32 s26, 0x260
	s_mov_b64 s[0:1], 0
.LBB43_113:                             ; =>This Inner Loop Header: Depth=1
	scratch_load_dwordx2 v[96:97], off, s25
	v_mov_b32_e32 v95, s26
	ds_read_b64 v[98:99], v95
	v_add_u32_e32 v94, -1, v94
	s_add_i32 s26, s26, 8
	s_add_i32 s25, s25, 8
	v_cmp_eq_u32_e32 vcc, 0, v94
	s_or_b64 s[0:1], vcc, s[0:1]
	s_waitcnt vmcnt(0) lgkmcnt(0)
	v_fmac_f64_e32 v[92:93], v[96:97], v[98:99]
	s_andn2_b64 exec, exec, s[0:1]
	s_cbranch_execnz .LBB43_113
; %bb.114:
	s_or_b64 exec, exec, s[0:1]
.LBB43_115:
	s_or_b64 exec, exec, s[8:9]
	v_mov_b32_e32 v94, 0
	ds_read_b64 v[94:95], v94 offset:248
	s_waitcnt lgkmcnt(0)
	v_mul_f64 v[92:93], v[92:93], v[94:95]
	scratch_store_dwordx2 off, v[92:93], off offset:248
.LBB43_116:
	s_or_b64 exec, exec, s[4:5]
	scratch_load_dwordx2 v[92:93], off, off offset:240
	v_cmp_lt_u32_e64 s[0:1], 30, v0
	s_waitcnt vmcnt(0)
	ds_write_b64 v1, v[92:93]
	s_waitcnt lgkmcnt(0)
	; wave barrier
	s_and_saveexec_b64 s[4:5], s[0:1]
	s_cbranch_execz .LBB43_126
; %bb.117:
	s_andn2_b64 vcc, exec, s[6:7]
	s_cbranch_vccnz .LBB43_119
; %bb.118:
	scratch_load_dwordx2 v[92:93], v17, off
	ds_read_b64 v[94:95], v1
	s_waitcnt vmcnt(0) lgkmcnt(0)
	v_mul_f64 v[92:93], v[92:93], v[94:95]
	s_cbranch_execz .LBB43_120
	s_branch .LBB43_121
.LBB43_119:
                                        ; implicit-def: $vgpr92_vgpr93
.LBB43_120:
	ds_read_b64 v[92:93], v1
.LBB43_121:
	s_and_saveexec_b64 s[8:9], s[2:3]
	s_cbranch_execz .LBB43_125
; %bb.122:
	s_movk_i32 s25, 0xf8
	v_subrev_u32_e32 v94, 31, v0
	s_movk_i32 s26, 0x258
	s_mov_b64 s[2:3], 0
.LBB43_123:                             ; =>This Inner Loop Header: Depth=1
	scratch_load_dwordx2 v[96:97], off, s25
	v_mov_b32_e32 v95, s26
	ds_read_b64 v[98:99], v95
	v_add_u32_e32 v94, -1, v94
	s_add_i32 s26, s26, 8
	s_add_i32 s25, s25, 8
	v_cmp_eq_u32_e32 vcc, 0, v94
	s_or_b64 s[2:3], vcc, s[2:3]
	s_waitcnt vmcnt(0) lgkmcnt(0)
	v_fmac_f64_e32 v[92:93], v[96:97], v[98:99]
	s_andn2_b64 exec, exec, s[2:3]
	s_cbranch_execnz .LBB43_123
; %bb.124:
	s_or_b64 exec, exec, s[2:3]
.LBB43_125:
	s_or_b64 exec, exec, s[8:9]
	v_mov_b32_e32 v94, 0
	ds_read_b64 v[94:95], v94 offset:240
	s_waitcnt lgkmcnt(0)
	v_mul_f64 v[92:93], v[92:93], v[94:95]
	scratch_store_dwordx2 off, v[92:93], off offset:240
.LBB43_126:
	s_or_b64 exec, exec, s[4:5]
	scratch_load_dwordx2 v[92:93], off, off offset:232
	v_cmp_lt_u32_e64 s[2:3], 29, v0
	s_waitcnt vmcnt(0)
	ds_write_b64 v1, v[92:93]
	s_waitcnt lgkmcnt(0)
	; wave barrier
	s_and_saveexec_b64 s[4:5], s[2:3]
	s_cbranch_execz .LBB43_136
; %bb.127:
	s_andn2_b64 vcc, exec, s[6:7]
	s_cbranch_vccnz .LBB43_129
; %bb.128:
	scratch_load_dwordx2 v[92:93], v17, off
	ds_read_b64 v[94:95], v1
	s_waitcnt vmcnt(0) lgkmcnt(0)
	v_mul_f64 v[92:93], v[92:93], v[94:95]
	s_cbranch_execz .LBB43_130
	s_branch .LBB43_131
.LBB43_129:
                                        ; implicit-def: $vgpr92_vgpr93
.LBB43_130:
	ds_read_b64 v[92:93], v1
.LBB43_131:
	s_and_saveexec_b64 s[8:9], s[0:1]
	s_cbranch_execz .LBB43_135
; %bb.132:
	v_subrev_u32_e32 v94, 30, v0
	s_movk_i32 s25, 0x250
	s_mov_b64 s[0:1], 0
.LBB43_133:                             ; =>This Inner Loop Header: Depth=1
	scratch_load_dwordx2 v[96:97], off, s24
	v_mov_b32_e32 v95, s25
	ds_read_b64 v[98:99], v95
	v_add_u32_e32 v94, -1, v94
	s_add_i32 s25, s25, 8
	s_add_i32 s24, s24, 8
	v_cmp_eq_u32_e32 vcc, 0, v94
	s_or_b64 s[0:1], vcc, s[0:1]
	s_waitcnt vmcnt(0) lgkmcnt(0)
	v_fmac_f64_e32 v[92:93], v[96:97], v[98:99]
	s_andn2_b64 exec, exec, s[0:1]
	s_cbranch_execnz .LBB43_133
; %bb.134:
	s_or_b64 exec, exec, s[0:1]
.LBB43_135:
	s_or_b64 exec, exec, s[8:9]
	v_mov_b32_e32 v94, 0
	ds_read_b64 v[94:95], v94 offset:232
	s_waitcnt lgkmcnt(0)
	v_mul_f64 v[92:93], v[92:93], v[94:95]
	scratch_store_dwordx2 off, v[92:93], off offset:232
.LBB43_136:
	s_or_b64 exec, exec, s[4:5]
	scratch_load_dwordx2 v[92:93], off, off offset:224
	v_cmp_lt_u32_e64 s[0:1], 28, v0
	s_waitcnt vmcnt(0)
	ds_write_b64 v1, v[92:93]
	s_waitcnt lgkmcnt(0)
	; wave barrier
	s_and_saveexec_b64 s[4:5], s[0:1]
	s_cbranch_execz .LBB43_146
; %bb.137:
	s_andn2_b64 vcc, exec, s[6:7]
	s_cbranch_vccnz .LBB43_139
; %bb.138:
	scratch_load_dwordx2 v[92:93], v17, off
	ds_read_b64 v[94:95], v1
	s_waitcnt vmcnt(0) lgkmcnt(0)
	v_mul_f64 v[92:93], v[92:93], v[94:95]
	s_cbranch_execz .LBB43_140
	s_branch .LBB43_141
.LBB43_139:
                                        ; implicit-def: $vgpr92_vgpr93
.LBB43_140:
	ds_read_b64 v[92:93], v1
.LBB43_141:
	s_and_saveexec_b64 s[8:9], s[2:3]
	s_cbranch_execz .LBB43_145
; %bb.142:
	s_movk_i32 s24, 0xe8
	v_subrev_u32_e32 v94, 29, v0
	s_movk_i32 s25, 0x248
	s_mov_b64 s[2:3], 0
.LBB43_143:                             ; =>This Inner Loop Header: Depth=1
	scratch_load_dwordx2 v[96:97], off, s24
	v_mov_b32_e32 v95, s25
	ds_read_b64 v[98:99], v95
	v_add_u32_e32 v94, -1, v94
	s_add_i32 s25, s25, 8
	s_add_i32 s24, s24, 8
	v_cmp_eq_u32_e32 vcc, 0, v94
	s_or_b64 s[2:3], vcc, s[2:3]
	s_waitcnt vmcnt(0) lgkmcnt(0)
	v_fmac_f64_e32 v[92:93], v[96:97], v[98:99]
	s_andn2_b64 exec, exec, s[2:3]
	s_cbranch_execnz .LBB43_143
; %bb.144:
	s_or_b64 exec, exec, s[2:3]
.LBB43_145:
	s_or_b64 exec, exec, s[8:9]
	v_mov_b32_e32 v94, 0
	ds_read_b64 v[94:95], v94 offset:224
	s_waitcnt lgkmcnt(0)
	v_mul_f64 v[92:93], v[92:93], v[94:95]
	scratch_store_dwordx2 off, v[92:93], off offset:224
.LBB43_146:
	s_or_b64 exec, exec, s[4:5]
	scratch_load_dwordx2 v[92:93], off, off offset:216
	v_cmp_lt_u32_e64 s[2:3], 27, v0
	s_waitcnt vmcnt(0)
	ds_write_b64 v1, v[92:93]
	s_waitcnt lgkmcnt(0)
	; wave barrier
	s_and_saveexec_b64 s[4:5], s[2:3]
	s_cbranch_execz .LBB43_156
; %bb.147:
	s_andn2_b64 vcc, exec, s[6:7]
	s_cbranch_vccnz .LBB43_149
; %bb.148:
	scratch_load_dwordx2 v[92:93], v17, off
	ds_read_b64 v[94:95], v1
	s_waitcnt vmcnt(0) lgkmcnt(0)
	v_mul_f64 v[92:93], v[92:93], v[94:95]
	s_cbranch_execz .LBB43_150
	s_branch .LBB43_151
.LBB43_149:
                                        ; implicit-def: $vgpr92_vgpr93
.LBB43_150:
	ds_read_b64 v[92:93], v1
.LBB43_151:
	s_and_saveexec_b64 s[8:9], s[0:1]
	s_cbranch_execz .LBB43_155
; %bb.152:
	v_subrev_u32_e32 v94, 28, v0
	s_movk_i32 s24, 0x240
	s_mov_b64 s[0:1], 0
.LBB43_153:                             ; =>This Inner Loop Header: Depth=1
	scratch_load_dwordx2 v[96:97], off, s23
	v_mov_b32_e32 v95, s24
	ds_read_b64 v[98:99], v95
	v_add_u32_e32 v94, -1, v94
	s_add_i32 s24, s24, 8
	s_add_i32 s23, s23, 8
	v_cmp_eq_u32_e32 vcc, 0, v94
	s_or_b64 s[0:1], vcc, s[0:1]
	s_waitcnt vmcnt(0) lgkmcnt(0)
	v_fmac_f64_e32 v[92:93], v[96:97], v[98:99]
	s_andn2_b64 exec, exec, s[0:1]
	s_cbranch_execnz .LBB43_153
; %bb.154:
	s_or_b64 exec, exec, s[0:1]
.LBB43_155:
	s_or_b64 exec, exec, s[8:9]
	v_mov_b32_e32 v94, 0
	ds_read_b64 v[94:95], v94 offset:216
	s_waitcnt lgkmcnt(0)
	v_mul_f64 v[92:93], v[92:93], v[94:95]
	scratch_store_dwordx2 off, v[92:93], off offset:216
.LBB43_156:
	s_or_b64 exec, exec, s[4:5]
	scratch_load_dwordx2 v[92:93], off, off offset:208
	v_cmp_lt_u32_e64 s[0:1], 26, v0
	s_waitcnt vmcnt(0)
	ds_write_b64 v1, v[92:93]
	s_waitcnt lgkmcnt(0)
	; wave barrier
	s_and_saveexec_b64 s[4:5], s[0:1]
	s_cbranch_execz .LBB43_166
; %bb.157:
	s_andn2_b64 vcc, exec, s[6:7]
	s_cbranch_vccnz .LBB43_159
; %bb.158:
	scratch_load_dwordx2 v[92:93], v17, off
	ds_read_b64 v[94:95], v1
	s_waitcnt vmcnt(0) lgkmcnt(0)
	v_mul_f64 v[92:93], v[92:93], v[94:95]
	s_cbranch_execz .LBB43_160
	s_branch .LBB43_161
.LBB43_159:
                                        ; implicit-def: $vgpr92_vgpr93
.LBB43_160:
	ds_read_b64 v[92:93], v1
.LBB43_161:
	s_and_saveexec_b64 s[8:9], s[2:3]
	s_cbranch_execz .LBB43_165
; %bb.162:
	s_movk_i32 s23, 0xd8
	v_subrev_u32_e32 v94, 27, v0
	s_movk_i32 s24, 0x238
	s_mov_b64 s[2:3], 0
.LBB43_163:                             ; =>This Inner Loop Header: Depth=1
	scratch_load_dwordx2 v[96:97], off, s23
	v_mov_b32_e32 v95, s24
	ds_read_b64 v[98:99], v95
	v_add_u32_e32 v94, -1, v94
	s_add_i32 s24, s24, 8
	s_add_i32 s23, s23, 8
	v_cmp_eq_u32_e32 vcc, 0, v94
	s_or_b64 s[2:3], vcc, s[2:3]
	s_waitcnt vmcnt(0) lgkmcnt(0)
	v_fmac_f64_e32 v[92:93], v[96:97], v[98:99]
	s_andn2_b64 exec, exec, s[2:3]
	s_cbranch_execnz .LBB43_163
; %bb.164:
	s_or_b64 exec, exec, s[2:3]
.LBB43_165:
	s_or_b64 exec, exec, s[8:9]
	v_mov_b32_e32 v94, 0
	ds_read_b64 v[94:95], v94 offset:208
	s_waitcnt lgkmcnt(0)
	v_mul_f64 v[92:93], v[92:93], v[94:95]
	scratch_store_dwordx2 off, v[92:93], off offset:208
.LBB43_166:
	s_or_b64 exec, exec, s[4:5]
	scratch_load_dwordx2 v[92:93], off, off offset:200
	v_cmp_lt_u32_e64 s[2:3], 25, v0
	s_waitcnt vmcnt(0)
	ds_write_b64 v1, v[92:93]
	s_waitcnt lgkmcnt(0)
	; wave barrier
	s_and_saveexec_b64 s[4:5], s[2:3]
	s_cbranch_execz .LBB43_176
; %bb.167:
	s_andn2_b64 vcc, exec, s[6:7]
	s_cbranch_vccnz .LBB43_169
; %bb.168:
	scratch_load_dwordx2 v[92:93], v17, off
	ds_read_b64 v[94:95], v1
	s_waitcnt vmcnt(0) lgkmcnt(0)
	v_mul_f64 v[92:93], v[92:93], v[94:95]
	s_cbranch_execz .LBB43_170
	s_branch .LBB43_171
.LBB43_169:
                                        ; implicit-def: $vgpr92_vgpr93
.LBB43_170:
	ds_read_b64 v[92:93], v1
.LBB43_171:
	s_and_saveexec_b64 s[8:9], s[0:1]
	s_cbranch_execz .LBB43_175
; %bb.172:
	v_subrev_u32_e32 v94, 26, v0
	s_movk_i32 s23, 0x230
	s_mov_b64 s[0:1], 0
.LBB43_173:                             ; =>This Inner Loop Header: Depth=1
	scratch_load_dwordx2 v[96:97], off, s22
	v_mov_b32_e32 v95, s23
	ds_read_b64 v[98:99], v95
	v_add_u32_e32 v94, -1, v94
	s_add_i32 s23, s23, 8
	s_add_i32 s22, s22, 8
	v_cmp_eq_u32_e32 vcc, 0, v94
	s_or_b64 s[0:1], vcc, s[0:1]
	s_waitcnt vmcnt(0) lgkmcnt(0)
	v_fmac_f64_e32 v[92:93], v[96:97], v[98:99]
	s_andn2_b64 exec, exec, s[0:1]
	s_cbranch_execnz .LBB43_173
; %bb.174:
	s_or_b64 exec, exec, s[0:1]
.LBB43_175:
	s_or_b64 exec, exec, s[8:9]
	v_mov_b32_e32 v94, 0
	ds_read_b64 v[94:95], v94 offset:200
	s_waitcnt lgkmcnt(0)
	v_mul_f64 v[92:93], v[92:93], v[94:95]
	scratch_store_dwordx2 off, v[92:93], off offset:200
.LBB43_176:
	s_or_b64 exec, exec, s[4:5]
	scratch_load_dwordx2 v[92:93], off, off offset:192
	v_cmp_lt_u32_e64 s[0:1], 24, v0
	s_waitcnt vmcnt(0)
	ds_write_b64 v1, v[92:93]
	s_waitcnt lgkmcnt(0)
	; wave barrier
	s_and_saveexec_b64 s[4:5], s[0:1]
	s_cbranch_execz .LBB43_186
; %bb.177:
	s_andn2_b64 vcc, exec, s[6:7]
	s_cbranch_vccnz .LBB43_179
; %bb.178:
	scratch_load_dwordx2 v[92:93], v17, off
	ds_read_b64 v[94:95], v1
	s_waitcnt vmcnt(0) lgkmcnt(0)
	v_mul_f64 v[92:93], v[92:93], v[94:95]
	s_cbranch_execz .LBB43_180
	s_branch .LBB43_181
.LBB43_179:
                                        ; implicit-def: $vgpr92_vgpr93
.LBB43_180:
	ds_read_b64 v[92:93], v1
.LBB43_181:
	s_and_saveexec_b64 s[8:9], s[2:3]
	s_cbranch_execz .LBB43_185
; %bb.182:
	s_movk_i32 s22, 0xc8
	v_subrev_u32_e32 v94, 25, v0
	s_movk_i32 s23, 0x228
	s_mov_b64 s[2:3], 0
.LBB43_183:                             ; =>This Inner Loop Header: Depth=1
	scratch_load_dwordx2 v[96:97], off, s22
	v_mov_b32_e32 v95, s23
	ds_read_b64 v[98:99], v95
	v_add_u32_e32 v94, -1, v94
	s_add_i32 s23, s23, 8
	s_add_i32 s22, s22, 8
	v_cmp_eq_u32_e32 vcc, 0, v94
	s_or_b64 s[2:3], vcc, s[2:3]
	s_waitcnt vmcnt(0) lgkmcnt(0)
	v_fmac_f64_e32 v[92:93], v[96:97], v[98:99]
	s_andn2_b64 exec, exec, s[2:3]
	s_cbranch_execnz .LBB43_183
; %bb.184:
	s_or_b64 exec, exec, s[2:3]
.LBB43_185:
	s_or_b64 exec, exec, s[8:9]
	v_mov_b32_e32 v94, 0
	ds_read_b64 v[94:95], v94 offset:192
	s_waitcnt lgkmcnt(0)
	v_mul_f64 v[92:93], v[92:93], v[94:95]
	scratch_store_dwordx2 off, v[92:93], off offset:192
.LBB43_186:
	s_or_b64 exec, exec, s[4:5]
	scratch_load_dwordx2 v[92:93], off, off offset:184
	v_cmp_lt_u32_e64 s[2:3], 23, v0
	s_waitcnt vmcnt(0)
	ds_write_b64 v1, v[92:93]
	s_waitcnt lgkmcnt(0)
	; wave barrier
	s_and_saveexec_b64 s[4:5], s[2:3]
	s_cbranch_execz .LBB43_196
; %bb.187:
	s_andn2_b64 vcc, exec, s[6:7]
	s_cbranch_vccnz .LBB43_189
; %bb.188:
	scratch_load_dwordx2 v[92:93], v17, off
	ds_read_b64 v[94:95], v1
	s_waitcnt vmcnt(0) lgkmcnt(0)
	v_mul_f64 v[92:93], v[92:93], v[94:95]
	s_cbranch_execz .LBB43_190
	s_branch .LBB43_191
.LBB43_189:
                                        ; implicit-def: $vgpr92_vgpr93
.LBB43_190:
	ds_read_b64 v[92:93], v1
.LBB43_191:
	s_and_saveexec_b64 s[8:9], s[0:1]
	s_cbranch_execz .LBB43_195
; %bb.192:
	v_subrev_u32_e32 v94, 24, v0
	s_movk_i32 s22, 0x220
	s_mov_b64 s[0:1], 0
.LBB43_193:                             ; =>This Inner Loop Header: Depth=1
	scratch_load_dwordx2 v[96:97], off, s21
	v_mov_b32_e32 v95, s22
	ds_read_b64 v[98:99], v95
	v_add_u32_e32 v94, -1, v94
	s_add_i32 s22, s22, 8
	s_add_i32 s21, s21, 8
	v_cmp_eq_u32_e32 vcc, 0, v94
	s_or_b64 s[0:1], vcc, s[0:1]
	s_waitcnt vmcnt(0) lgkmcnt(0)
	v_fmac_f64_e32 v[92:93], v[96:97], v[98:99]
	s_andn2_b64 exec, exec, s[0:1]
	s_cbranch_execnz .LBB43_193
; %bb.194:
	s_or_b64 exec, exec, s[0:1]
.LBB43_195:
	s_or_b64 exec, exec, s[8:9]
	v_mov_b32_e32 v94, 0
	ds_read_b64 v[94:95], v94 offset:184
	s_waitcnt lgkmcnt(0)
	v_mul_f64 v[92:93], v[92:93], v[94:95]
	scratch_store_dwordx2 off, v[92:93], off offset:184
.LBB43_196:
	s_or_b64 exec, exec, s[4:5]
	scratch_load_dwordx2 v[92:93], off, off offset:176
	v_cmp_lt_u32_e64 s[0:1], 22, v0
	s_waitcnt vmcnt(0)
	ds_write_b64 v1, v[92:93]
	s_waitcnt lgkmcnt(0)
	; wave barrier
	s_and_saveexec_b64 s[4:5], s[0:1]
	s_cbranch_execz .LBB43_206
; %bb.197:
	s_andn2_b64 vcc, exec, s[6:7]
	s_cbranch_vccnz .LBB43_199
; %bb.198:
	scratch_load_dwordx2 v[92:93], v17, off
	ds_read_b64 v[94:95], v1
	s_waitcnt vmcnt(0) lgkmcnt(0)
	v_mul_f64 v[92:93], v[92:93], v[94:95]
	s_cbranch_execz .LBB43_200
	s_branch .LBB43_201
.LBB43_199:
                                        ; implicit-def: $vgpr92_vgpr93
.LBB43_200:
	ds_read_b64 v[92:93], v1
.LBB43_201:
	s_and_saveexec_b64 s[8:9], s[2:3]
	s_cbranch_execz .LBB43_205
; %bb.202:
	s_movk_i32 s21, 0xb8
	v_subrev_u32_e32 v94, 23, v0
	s_movk_i32 s22, 0x218
	s_mov_b64 s[2:3], 0
.LBB43_203:                             ; =>This Inner Loop Header: Depth=1
	scratch_load_dwordx2 v[96:97], off, s21
	v_mov_b32_e32 v95, s22
	ds_read_b64 v[98:99], v95
	v_add_u32_e32 v94, -1, v94
	s_add_i32 s22, s22, 8
	s_add_i32 s21, s21, 8
	v_cmp_eq_u32_e32 vcc, 0, v94
	s_or_b64 s[2:3], vcc, s[2:3]
	s_waitcnt vmcnt(0) lgkmcnt(0)
	v_fmac_f64_e32 v[92:93], v[96:97], v[98:99]
	s_andn2_b64 exec, exec, s[2:3]
	s_cbranch_execnz .LBB43_203
; %bb.204:
	s_or_b64 exec, exec, s[2:3]
.LBB43_205:
	s_or_b64 exec, exec, s[8:9]
	v_mov_b32_e32 v94, 0
	ds_read_b64 v[94:95], v94 offset:176
	s_waitcnt lgkmcnt(0)
	v_mul_f64 v[92:93], v[92:93], v[94:95]
	scratch_store_dwordx2 off, v[92:93], off offset:176
.LBB43_206:
	s_or_b64 exec, exec, s[4:5]
	scratch_load_dwordx2 v[92:93], off, off offset:168
	v_cmp_lt_u32_e64 s[2:3], 21, v0
	s_waitcnt vmcnt(0)
	ds_write_b64 v1, v[92:93]
	s_waitcnt lgkmcnt(0)
	; wave barrier
	s_and_saveexec_b64 s[4:5], s[2:3]
	s_cbranch_execz .LBB43_216
; %bb.207:
	s_andn2_b64 vcc, exec, s[6:7]
	s_cbranch_vccnz .LBB43_209
; %bb.208:
	scratch_load_dwordx2 v[92:93], v17, off
	ds_read_b64 v[94:95], v1
	s_waitcnt vmcnt(0) lgkmcnt(0)
	v_mul_f64 v[92:93], v[92:93], v[94:95]
	s_cbranch_execz .LBB43_210
	s_branch .LBB43_211
.LBB43_209:
                                        ; implicit-def: $vgpr92_vgpr93
.LBB43_210:
	ds_read_b64 v[92:93], v1
.LBB43_211:
	s_and_saveexec_b64 s[8:9], s[0:1]
	s_cbranch_execz .LBB43_215
; %bb.212:
	v_subrev_u32_e32 v94, 22, v0
	s_movk_i32 s21, 0x210
	s_mov_b64 s[0:1], 0
.LBB43_213:                             ; =>This Inner Loop Header: Depth=1
	scratch_load_dwordx2 v[96:97], off, s20
	v_mov_b32_e32 v95, s21
	ds_read_b64 v[98:99], v95
	v_add_u32_e32 v94, -1, v94
	s_add_i32 s21, s21, 8
	s_add_i32 s20, s20, 8
	v_cmp_eq_u32_e32 vcc, 0, v94
	s_or_b64 s[0:1], vcc, s[0:1]
	s_waitcnt vmcnt(0) lgkmcnt(0)
	v_fmac_f64_e32 v[92:93], v[96:97], v[98:99]
	s_andn2_b64 exec, exec, s[0:1]
	s_cbranch_execnz .LBB43_213
; %bb.214:
	s_or_b64 exec, exec, s[0:1]
.LBB43_215:
	s_or_b64 exec, exec, s[8:9]
	v_mov_b32_e32 v94, 0
	ds_read_b64 v[94:95], v94 offset:168
	s_waitcnt lgkmcnt(0)
	v_mul_f64 v[92:93], v[92:93], v[94:95]
	scratch_store_dwordx2 off, v[92:93], off offset:168
.LBB43_216:
	s_or_b64 exec, exec, s[4:5]
	scratch_load_dwordx2 v[92:93], off, off offset:160
	v_cmp_lt_u32_e64 s[0:1], 20, v0
	s_waitcnt vmcnt(0)
	ds_write_b64 v1, v[92:93]
	s_waitcnt lgkmcnt(0)
	; wave barrier
	s_and_saveexec_b64 s[4:5], s[0:1]
	s_cbranch_execz .LBB43_226
; %bb.217:
	s_andn2_b64 vcc, exec, s[6:7]
	s_cbranch_vccnz .LBB43_219
; %bb.218:
	scratch_load_dwordx2 v[92:93], v17, off
	ds_read_b64 v[94:95], v1
	s_waitcnt vmcnt(0) lgkmcnt(0)
	v_mul_f64 v[92:93], v[92:93], v[94:95]
	s_cbranch_execz .LBB43_220
	s_branch .LBB43_221
.LBB43_219:
                                        ; implicit-def: $vgpr92_vgpr93
.LBB43_220:
	ds_read_b64 v[92:93], v1
.LBB43_221:
	s_and_saveexec_b64 s[8:9], s[2:3]
	s_cbranch_execz .LBB43_225
; %bb.222:
	s_movk_i32 s20, 0xa8
	v_subrev_u32_e32 v94, 21, v0
	s_movk_i32 s21, 0x208
	s_mov_b64 s[2:3], 0
.LBB43_223:                             ; =>This Inner Loop Header: Depth=1
	scratch_load_dwordx2 v[96:97], off, s20
	v_mov_b32_e32 v95, s21
	ds_read_b64 v[98:99], v95
	v_add_u32_e32 v94, -1, v94
	s_add_i32 s21, s21, 8
	s_add_i32 s20, s20, 8
	v_cmp_eq_u32_e32 vcc, 0, v94
	s_or_b64 s[2:3], vcc, s[2:3]
	s_waitcnt vmcnt(0) lgkmcnt(0)
	v_fmac_f64_e32 v[92:93], v[96:97], v[98:99]
	s_andn2_b64 exec, exec, s[2:3]
	s_cbranch_execnz .LBB43_223
; %bb.224:
	s_or_b64 exec, exec, s[2:3]
.LBB43_225:
	s_or_b64 exec, exec, s[8:9]
	v_mov_b32_e32 v94, 0
	ds_read_b64 v[94:95], v94 offset:160
	s_waitcnt lgkmcnt(0)
	v_mul_f64 v[92:93], v[92:93], v[94:95]
	scratch_store_dwordx2 off, v[92:93], off offset:160
.LBB43_226:
	s_or_b64 exec, exec, s[4:5]
	scratch_load_dwordx2 v[92:93], off, off offset:152
	v_cmp_lt_u32_e64 s[2:3], 19, v0
	s_waitcnt vmcnt(0)
	ds_write_b64 v1, v[92:93]
	s_waitcnt lgkmcnt(0)
	; wave barrier
	s_and_saveexec_b64 s[4:5], s[2:3]
	s_cbranch_execz .LBB43_236
; %bb.227:
	s_andn2_b64 vcc, exec, s[6:7]
	s_cbranch_vccnz .LBB43_229
; %bb.228:
	scratch_load_dwordx2 v[92:93], v17, off
	ds_read_b64 v[94:95], v1
	s_waitcnt vmcnt(0) lgkmcnt(0)
	v_mul_f64 v[92:93], v[92:93], v[94:95]
	s_cbranch_execz .LBB43_230
	s_branch .LBB43_231
.LBB43_229:
                                        ; implicit-def: $vgpr92_vgpr93
.LBB43_230:
	ds_read_b64 v[92:93], v1
.LBB43_231:
	s_and_saveexec_b64 s[8:9], s[0:1]
	s_cbranch_execz .LBB43_235
; %bb.232:
	v_subrev_u32_e32 v94, 20, v0
	s_movk_i32 s20, 0x200
	s_mov_b64 s[0:1], 0
.LBB43_233:                             ; =>This Inner Loop Header: Depth=1
	scratch_load_dwordx2 v[96:97], off, s19
	v_mov_b32_e32 v95, s20
	ds_read_b64 v[98:99], v95
	v_add_u32_e32 v94, -1, v94
	s_add_i32 s20, s20, 8
	s_add_i32 s19, s19, 8
	v_cmp_eq_u32_e32 vcc, 0, v94
	s_or_b64 s[0:1], vcc, s[0:1]
	s_waitcnt vmcnt(0) lgkmcnt(0)
	v_fmac_f64_e32 v[92:93], v[96:97], v[98:99]
	s_andn2_b64 exec, exec, s[0:1]
	s_cbranch_execnz .LBB43_233
; %bb.234:
	s_or_b64 exec, exec, s[0:1]
.LBB43_235:
	s_or_b64 exec, exec, s[8:9]
	v_mov_b32_e32 v94, 0
	ds_read_b64 v[94:95], v94 offset:152
	s_waitcnt lgkmcnt(0)
	v_mul_f64 v[92:93], v[92:93], v[94:95]
	scratch_store_dwordx2 off, v[92:93], off offset:152
.LBB43_236:
	s_or_b64 exec, exec, s[4:5]
	scratch_load_dwordx2 v[92:93], off, off offset:144
	v_cmp_lt_u32_e64 s[0:1], 18, v0
	s_waitcnt vmcnt(0)
	ds_write_b64 v1, v[92:93]
	s_waitcnt lgkmcnt(0)
	; wave barrier
	s_and_saveexec_b64 s[4:5], s[0:1]
	s_cbranch_execz .LBB43_246
; %bb.237:
	s_andn2_b64 vcc, exec, s[6:7]
	s_cbranch_vccnz .LBB43_239
; %bb.238:
	scratch_load_dwordx2 v[92:93], v17, off
	ds_read_b64 v[94:95], v1
	s_waitcnt vmcnt(0) lgkmcnt(0)
	v_mul_f64 v[92:93], v[92:93], v[94:95]
	s_cbranch_execz .LBB43_240
	s_branch .LBB43_241
.LBB43_239:
                                        ; implicit-def: $vgpr92_vgpr93
.LBB43_240:
	ds_read_b64 v[92:93], v1
.LBB43_241:
	s_and_saveexec_b64 s[8:9], s[2:3]
	s_cbranch_execz .LBB43_245
; %bb.242:
	s_movk_i32 s19, 0x98
	v_subrev_u32_e32 v94, 19, v0
	s_movk_i32 s20, 0x1f8
	s_mov_b64 s[2:3], 0
.LBB43_243:                             ; =>This Inner Loop Header: Depth=1
	scratch_load_dwordx2 v[96:97], off, s19
	v_mov_b32_e32 v95, s20
	ds_read_b64 v[98:99], v95
	v_add_u32_e32 v94, -1, v94
	s_add_i32 s20, s20, 8
	s_add_i32 s19, s19, 8
	v_cmp_eq_u32_e32 vcc, 0, v94
	s_or_b64 s[2:3], vcc, s[2:3]
	s_waitcnt vmcnt(0) lgkmcnt(0)
	v_fmac_f64_e32 v[92:93], v[96:97], v[98:99]
	s_andn2_b64 exec, exec, s[2:3]
	s_cbranch_execnz .LBB43_243
; %bb.244:
	s_or_b64 exec, exec, s[2:3]
.LBB43_245:
	s_or_b64 exec, exec, s[8:9]
	v_mov_b32_e32 v94, 0
	ds_read_b64 v[94:95], v94 offset:144
	s_waitcnt lgkmcnt(0)
	v_mul_f64 v[92:93], v[92:93], v[94:95]
	scratch_store_dwordx2 off, v[92:93], off offset:144
.LBB43_246:
	s_or_b64 exec, exec, s[4:5]
	scratch_load_dwordx2 v[92:93], off, off offset:136
	v_cmp_lt_u32_e64 s[2:3], 17, v0
	s_waitcnt vmcnt(0)
	ds_write_b64 v1, v[92:93]
	s_waitcnt lgkmcnt(0)
	; wave barrier
	s_and_saveexec_b64 s[4:5], s[2:3]
	s_cbranch_execz .LBB43_256
; %bb.247:
	s_andn2_b64 vcc, exec, s[6:7]
	s_cbranch_vccnz .LBB43_249
; %bb.248:
	scratch_load_dwordx2 v[92:93], v17, off
	ds_read_b64 v[94:95], v1
	s_waitcnt vmcnt(0) lgkmcnt(0)
	v_mul_f64 v[92:93], v[92:93], v[94:95]
	s_cbranch_execz .LBB43_250
	s_branch .LBB43_251
.LBB43_249:
                                        ; implicit-def: $vgpr92_vgpr93
.LBB43_250:
	ds_read_b64 v[92:93], v1
.LBB43_251:
	s_and_saveexec_b64 s[8:9], s[0:1]
	s_cbranch_execz .LBB43_255
; %bb.252:
	v_subrev_u32_e32 v94, 18, v0
	s_movk_i32 s19, 0x1f0
	s_mov_b64 s[0:1], 0
.LBB43_253:                             ; =>This Inner Loop Header: Depth=1
	scratch_load_dwordx2 v[96:97], off, s18
	v_mov_b32_e32 v95, s19
	ds_read_b64 v[98:99], v95
	v_add_u32_e32 v94, -1, v94
	s_add_i32 s19, s19, 8
	s_add_i32 s18, s18, 8
	v_cmp_eq_u32_e32 vcc, 0, v94
	s_or_b64 s[0:1], vcc, s[0:1]
	s_waitcnt vmcnt(0) lgkmcnt(0)
	v_fmac_f64_e32 v[92:93], v[96:97], v[98:99]
	s_andn2_b64 exec, exec, s[0:1]
	s_cbranch_execnz .LBB43_253
; %bb.254:
	s_or_b64 exec, exec, s[0:1]
.LBB43_255:
	s_or_b64 exec, exec, s[8:9]
	v_mov_b32_e32 v94, 0
	ds_read_b64 v[94:95], v94 offset:136
	s_waitcnt lgkmcnt(0)
	v_mul_f64 v[92:93], v[92:93], v[94:95]
	scratch_store_dwordx2 off, v[92:93], off offset:136
.LBB43_256:
	s_or_b64 exec, exec, s[4:5]
	scratch_load_dwordx2 v[92:93], off, off offset:128
	v_cmp_lt_u32_e64 s[0:1], 16, v0
	s_waitcnt vmcnt(0)
	ds_write_b64 v1, v[92:93]
	s_waitcnt lgkmcnt(0)
	; wave barrier
	s_and_saveexec_b64 s[4:5], s[0:1]
	s_cbranch_execz .LBB43_266
; %bb.257:
	s_andn2_b64 vcc, exec, s[6:7]
	s_cbranch_vccnz .LBB43_259
; %bb.258:
	scratch_load_dwordx2 v[92:93], v17, off
	ds_read_b64 v[94:95], v1
	s_waitcnt vmcnt(0) lgkmcnt(0)
	v_mul_f64 v[92:93], v[92:93], v[94:95]
	s_cbranch_execz .LBB43_260
	s_branch .LBB43_261
.LBB43_259:
                                        ; implicit-def: $vgpr92_vgpr93
.LBB43_260:
	ds_read_b64 v[92:93], v1
.LBB43_261:
	s_and_saveexec_b64 s[8:9], s[2:3]
	s_cbranch_execz .LBB43_265
; %bb.262:
	s_movk_i32 s18, 0x88
	v_subrev_u32_e32 v94, 17, v0
	s_movk_i32 s19, 0x1e8
	s_mov_b64 s[2:3], 0
.LBB43_263:                             ; =>This Inner Loop Header: Depth=1
	scratch_load_dwordx2 v[96:97], off, s18
	v_mov_b32_e32 v95, s19
	ds_read_b64 v[98:99], v95
	v_add_u32_e32 v94, -1, v94
	s_add_i32 s19, s19, 8
	s_add_i32 s18, s18, 8
	v_cmp_eq_u32_e32 vcc, 0, v94
	s_or_b64 s[2:3], vcc, s[2:3]
	s_waitcnt vmcnt(0) lgkmcnt(0)
	v_fmac_f64_e32 v[92:93], v[96:97], v[98:99]
	s_andn2_b64 exec, exec, s[2:3]
	s_cbranch_execnz .LBB43_263
; %bb.264:
	s_or_b64 exec, exec, s[2:3]
.LBB43_265:
	s_or_b64 exec, exec, s[8:9]
	v_mov_b32_e32 v94, 0
	ds_read_b64 v[94:95], v94 offset:128
	s_waitcnt lgkmcnt(0)
	v_mul_f64 v[92:93], v[92:93], v[94:95]
	scratch_store_dwordx2 off, v[92:93], off offset:128
.LBB43_266:
	s_or_b64 exec, exec, s[4:5]
	scratch_load_dwordx2 v[92:93], off, off offset:120
	v_cmp_lt_u32_e64 s[2:3], 15, v0
	s_waitcnt vmcnt(0)
	ds_write_b64 v1, v[92:93]
	s_waitcnt lgkmcnt(0)
	; wave barrier
	s_and_saveexec_b64 s[4:5], s[2:3]
	s_cbranch_execz .LBB43_276
; %bb.267:
	s_andn2_b64 vcc, exec, s[6:7]
	s_cbranch_vccnz .LBB43_269
; %bb.268:
	scratch_load_dwordx2 v[92:93], v17, off
	ds_read_b64 v[94:95], v1
	s_waitcnt vmcnt(0) lgkmcnt(0)
	v_mul_f64 v[92:93], v[92:93], v[94:95]
	s_cbranch_execz .LBB43_270
	s_branch .LBB43_271
.LBB43_269:
                                        ; implicit-def: $vgpr92_vgpr93
.LBB43_270:
	ds_read_b64 v[92:93], v1
.LBB43_271:
	s_and_saveexec_b64 s[8:9], s[0:1]
	s_cbranch_execz .LBB43_275
; %bb.272:
	v_add_u32_e32 v94, -16, v0
	s_movk_i32 s18, 0x1e0
	s_mov_b64 s[0:1], 0
.LBB43_273:                             ; =>This Inner Loop Header: Depth=1
	scratch_load_dwordx2 v[96:97], off, s17
	v_mov_b32_e32 v95, s18
	ds_read_b64 v[98:99], v95
	v_add_u32_e32 v94, -1, v94
	s_add_i32 s18, s18, 8
	s_add_i32 s17, s17, 8
	v_cmp_eq_u32_e32 vcc, 0, v94
	s_or_b64 s[0:1], vcc, s[0:1]
	s_waitcnt vmcnt(0) lgkmcnt(0)
	v_fmac_f64_e32 v[92:93], v[96:97], v[98:99]
	s_andn2_b64 exec, exec, s[0:1]
	s_cbranch_execnz .LBB43_273
; %bb.274:
	s_or_b64 exec, exec, s[0:1]
.LBB43_275:
	s_or_b64 exec, exec, s[8:9]
	v_mov_b32_e32 v94, 0
	ds_read_b64 v[94:95], v94 offset:120
	s_waitcnt lgkmcnt(0)
	v_mul_f64 v[92:93], v[92:93], v[94:95]
	scratch_store_dwordx2 off, v[92:93], off offset:120
.LBB43_276:
	s_or_b64 exec, exec, s[4:5]
	scratch_load_dwordx2 v[92:93], off, off offset:112
	v_cmp_lt_u32_e64 s[0:1], 14, v0
	s_waitcnt vmcnt(0)
	ds_write_b64 v1, v[92:93]
	s_waitcnt lgkmcnt(0)
	; wave barrier
	s_and_saveexec_b64 s[4:5], s[0:1]
	s_cbranch_execz .LBB43_286
; %bb.277:
	s_andn2_b64 vcc, exec, s[6:7]
	s_cbranch_vccnz .LBB43_279
; %bb.278:
	scratch_load_dwordx2 v[92:93], v17, off
	ds_read_b64 v[94:95], v1
	s_waitcnt vmcnt(0) lgkmcnt(0)
	v_mul_f64 v[92:93], v[92:93], v[94:95]
	s_cbranch_execz .LBB43_280
	s_branch .LBB43_281
.LBB43_279:
                                        ; implicit-def: $vgpr92_vgpr93
.LBB43_280:
	ds_read_b64 v[92:93], v1
.LBB43_281:
	s_and_saveexec_b64 s[8:9], s[2:3]
	s_cbranch_execz .LBB43_285
; %bb.282:
	s_movk_i32 s17, 0x78
	v_add_u32_e32 v94, -15, v0
	s_movk_i32 s18, 0x1d8
	s_mov_b64 s[2:3], 0
.LBB43_283:                             ; =>This Inner Loop Header: Depth=1
	scratch_load_dwordx2 v[96:97], off, s17
	v_mov_b32_e32 v95, s18
	ds_read_b64 v[98:99], v95
	v_add_u32_e32 v94, -1, v94
	s_add_i32 s18, s18, 8
	s_add_i32 s17, s17, 8
	v_cmp_eq_u32_e32 vcc, 0, v94
	s_or_b64 s[2:3], vcc, s[2:3]
	s_waitcnt vmcnt(0) lgkmcnt(0)
	v_fmac_f64_e32 v[92:93], v[96:97], v[98:99]
	s_andn2_b64 exec, exec, s[2:3]
	s_cbranch_execnz .LBB43_283
; %bb.284:
	s_or_b64 exec, exec, s[2:3]
.LBB43_285:
	s_or_b64 exec, exec, s[8:9]
	v_mov_b32_e32 v94, 0
	ds_read_b64 v[94:95], v94 offset:112
	s_waitcnt lgkmcnt(0)
	v_mul_f64 v[92:93], v[92:93], v[94:95]
	scratch_store_dwordx2 off, v[92:93], off offset:112
.LBB43_286:
	s_or_b64 exec, exec, s[4:5]
	scratch_load_dwordx2 v[92:93], off, off offset:104
	v_cmp_lt_u32_e64 s[2:3], 13, v0
	s_waitcnt vmcnt(0)
	ds_write_b64 v1, v[92:93]
	s_waitcnt lgkmcnt(0)
	; wave barrier
	s_and_saveexec_b64 s[4:5], s[2:3]
	s_cbranch_execz .LBB43_296
; %bb.287:
	s_andn2_b64 vcc, exec, s[6:7]
	s_cbranch_vccnz .LBB43_289
; %bb.288:
	scratch_load_dwordx2 v[92:93], v17, off
	ds_read_b64 v[94:95], v1
	s_waitcnt vmcnt(0) lgkmcnt(0)
	v_mul_f64 v[92:93], v[92:93], v[94:95]
	s_cbranch_execz .LBB43_290
	s_branch .LBB43_291
.LBB43_289:
                                        ; implicit-def: $vgpr92_vgpr93
.LBB43_290:
	ds_read_b64 v[92:93], v1
.LBB43_291:
	s_and_saveexec_b64 s[8:9], s[0:1]
	s_cbranch_execz .LBB43_295
; %bb.292:
	v_add_u32_e32 v94, -14, v0
	s_movk_i32 s17, 0x1d0
	s_mov_b64 s[0:1], 0
.LBB43_293:                             ; =>This Inner Loop Header: Depth=1
	scratch_load_dwordx2 v[96:97], off, s16
	v_mov_b32_e32 v95, s17
	ds_read_b64 v[98:99], v95
	v_add_u32_e32 v94, -1, v94
	s_add_i32 s17, s17, 8
	s_add_i32 s16, s16, 8
	v_cmp_eq_u32_e32 vcc, 0, v94
	s_or_b64 s[0:1], vcc, s[0:1]
	s_waitcnt vmcnt(0) lgkmcnt(0)
	v_fmac_f64_e32 v[92:93], v[96:97], v[98:99]
	s_andn2_b64 exec, exec, s[0:1]
	s_cbranch_execnz .LBB43_293
; %bb.294:
	s_or_b64 exec, exec, s[0:1]
.LBB43_295:
	s_or_b64 exec, exec, s[8:9]
	v_mov_b32_e32 v94, 0
	ds_read_b64 v[94:95], v94 offset:104
	s_waitcnt lgkmcnt(0)
	v_mul_f64 v[92:93], v[92:93], v[94:95]
	scratch_store_dwordx2 off, v[92:93], off offset:104
.LBB43_296:
	s_or_b64 exec, exec, s[4:5]
	scratch_load_dwordx2 v[92:93], off, off offset:96
	v_cmp_lt_u32_e64 s[0:1], 12, v0
	s_waitcnt vmcnt(0)
	ds_write_b64 v1, v[92:93]
	s_waitcnt lgkmcnt(0)
	; wave barrier
	s_and_saveexec_b64 s[4:5], s[0:1]
	s_cbranch_execz .LBB43_306
; %bb.297:
	s_andn2_b64 vcc, exec, s[6:7]
	s_cbranch_vccnz .LBB43_299
; %bb.298:
	scratch_load_dwordx2 v[92:93], v17, off
	ds_read_b64 v[94:95], v1
	s_waitcnt vmcnt(0) lgkmcnt(0)
	v_mul_f64 v[92:93], v[92:93], v[94:95]
	s_cbranch_execz .LBB43_300
	s_branch .LBB43_301
.LBB43_299:
                                        ; implicit-def: $vgpr92_vgpr93
.LBB43_300:
	ds_read_b64 v[92:93], v1
.LBB43_301:
	s_and_saveexec_b64 s[8:9], s[2:3]
	s_cbranch_execz .LBB43_305
; %bb.302:
	s_movk_i32 s16, 0x68
	v_add_u32_e32 v94, -13, v0
	s_movk_i32 s17, 0x1c8
	s_mov_b64 s[2:3], 0
.LBB43_303:                             ; =>This Inner Loop Header: Depth=1
	scratch_load_dwordx2 v[96:97], off, s16
	v_mov_b32_e32 v95, s17
	ds_read_b64 v[98:99], v95
	v_add_u32_e32 v94, -1, v94
	s_add_i32 s17, s17, 8
	s_add_i32 s16, s16, 8
	v_cmp_eq_u32_e32 vcc, 0, v94
	s_or_b64 s[2:3], vcc, s[2:3]
	s_waitcnt vmcnt(0) lgkmcnt(0)
	v_fmac_f64_e32 v[92:93], v[96:97], v[98:99]
	s_andn2_b64 exec, exec, s[2:3]
	s_cbranch_execnz .LBB43_303
; %bb.304:
	s_or_b64 exec, exec, s[2:3]
.LBB43_305:
	s_or_b64 exec, exec, s[8:9]
	v_mov_b32_e32 v94, 0
	ds_read_b64 v[94:95], v94 offset:96
	s_waitcnt lgkmcnt(0)
	v_mul_f64 v[92:93], v[92:93], v[94:95]
	scratch_store_dwordx2 off, v[92:93], off offset:96
.LBB43_306:
	s_or_b64 exec, exec, s[4:5]
	scratch_load_dwordx2 v[92:93], off, off offset:88
	v_cmp_lt_u32_e64 s[2:3], 11, v0
	s_waitcnt vmcnt(0)
	ds_write_b64 v1, v[92:93]
	s_waitcnt lgkmcnt(0)
	; wave barrier
	s_and_saveexec_b64 s[4:5], s[2:3]
	s_cbranch_execz .LBB43_316
; %bb.307:
	s_andn2_b64 vcc, exec, s[6:7]
	s_cbranch_vccnz .LBB43_309
; %bb.308:
	scratch_load_dwordx2 v[92:93], v17, off
	ds_read_b64 v[94:95], v1
	s_waitcnt vmcnt(0) lgkmcnt(0)
	v_mul_f64 v[92:93], v[92:93], v[94:95]
	s_cbranch_execz .LBB43_310
	s_branch .LBB43_311
.LBB43_309:
                                        ; implicit-def: $vgpr92_vgpr93
.LBB43_310:
	ds_read_b64 v[92:93], v1
.LBB43_311:
	s_and_saveexec_b64 s[8:9], s[0:1]
	s_cbranch_execz .LBB43_315
; %bb.312:
	v_add_u32_e32 v94, -12, v0
	s_movk_i32 s16, 0x1c0
	s_mov_b64 s[0:1], 0
.LBB43_313:                             ; =>This Inner Loop Header: Depth=1
	scratch_load_dwordx2 v[96:97], off, s15
	v_mov_b32_e32 v95, s16
	ds_read_b64 v[98:99], v95
	v_add_u32_e32 v94, -1, v94
	s_add_i32 s16, s16, 8
	s_add_i32 s15, s15, 8
	v_cmp_eq_u32_e32 vcc, 0, v94
	s_or_b64 s[0:1], vcc, s[0:1]
	s_waitcnt vmcnt(0) lgkmcnt(0)
	v_fmac_f64_e32 v[92:93], v[96:97], v[98:99]
	s_andn2_b64 exec, exec, s[0:1]
	s_cbranch_execnz .LBB43_313
; %bb.314:
	s_or_b64 exec, exec, s[0:1]
.LBB43_315:
	s_or_b64 exec, exec, s[8:9]
	v_mov_b32_e32 v94, 0
	ds_read_b64 v[94:95], v94 offset:88
	s_waitcnt lgkmcnt(0)
	v_mul_f64 v[92:93], v[92:93], v[94:95]
	scratch_store_dwordx2 off, v[92:93], off offset:88
.LBB43_316:
	s_or_b64 exec, exec, s[4:5]
	scratch_load_dwordx2 v[92:93], off, off offset:80
	v_cmp_lt_u32_e64 s[0:1], 10, v0
	s_waitcnt vmcnt(0)
	ds_write_b64 v1, v[92:93]
	s_waitcnt lgkmcnt(0)
	; wave barrier
	s_and_saveexec_b64 s[4:5], s[0:1]
	s_cbranch_execz .LBB43_326
; %bb.317:
	s_andn2_b64 vcc, exec, s[6:7]
	s_cbranch_vccnz .LBB43_319
; %bb.318:
	scratch_load_dwordx2 v[92:93], v17, off
	ds_read_b64 v[94:95], v1
	s_waitcnt vmcnt(0) lgkmcnt(0)
	v_mul_f64 v[92:93], v[92:93], v[94:95]
	s_cbranch_execz .LBB43_320
	s_branch .LBB43_321
.LBB43_319:
                                        ; implicit-def: $vgpr92_vgpr93
.LBB43_320:
	ds_read_b64 v[92:93], v1
.LBB43_321:
	s_and_saveexec_b64 s[8:9], s[2:3]
	s_cbranch_execz .LBB43_325
; %bb.322:
	s_movk_i32 s15, 0x58
	v_add_u32_e32 v94, -11, v0
	s_movk_i32 s16, 0x1b8
	s_mov_b64 s[2:3], 0
.LBB43_323:                             ; =>This Inner Loop Header: Depth=1
	scratch_load_dwordx2 v[96:97], off, s15
	v_mov_b32_e32 v95, s16
	ds_read_b64 v[98:99], v95
	v_add_u32_e32 v94, -1, v94
	s_add_i32 s16, s16, 8
	s_add_i32 s15, s15, 8
	v_cmp_eq_u32_e32 vcc, 0, v94
	s_or_b64 s[2:3], vcc, s[2:3]
	s_waitcnt vmcnt(0) lgkmcnt(0)
	v_fmac_f64_e32 v[92:93], v[96:97], v[98:99]
	s_andn2_b64 exec, exec, s[2:3]
	s_cbranch_execnz .LBB43_323
; %bb.324:
	s_or_b64 exec, exec, s[2:3]
.LBB43_325:
	s_or_b64 exec, exec, s[8:9]
	v_mov_b32_e32 v94, 0
	ds_read_b64 v[94:95], v94 offset:80
	s_waitcnt lgkmcnt(0)
	v_mul_f64 v[92:93], v[92:93], v[94:95]
	scratch_store_dwordx2 off, v[92:93], off offset:80
.LBB43_326:
	s_or_b64 exec, exec, s[4:5]
	scratch_load_dwordx2 v[92:93], off, off offset:72
	v_cmp_lt_u32_e64 s[2:3], 9, v0
	s_waitcnt vmcnt(0)
	ds_write_b64 v1, v[92:93]
	s_waitcnt lgkmcnt(0)
	; wave barrier
	s_and_saveexec_b64 s[4:5], s[2:3]
	s_cbranch_execz .LBB43_336
; %bb.327:
	s_andn2_b64 vcc, exec, s[6:7]
	s_cbranch_vccnz .LBB43_329
; %bb.328:
	scratch_load_dwordx2 v[92:93], v17, off
	ds_read_b64 v[94:95], v1
	s_waitcnt vmcnt(0) lgkmcnt(0)
	v_mul_f64 v[92:93], v[92:93], v[94:95]
	s_cbranch_execz .LBB43_330
	s_branch .LBB43_331
.LBB43_329:
                                        ; implicit-def: $vgpr92_vgpr93
.LBB43_330:
	ds_read_b64 v[92:93], v1
.LBB43_331:
	s_and_saveexec_b64 s[8:9], s[0:1]
	s_cbranch_execz .LBB43_335
; %bb.332:
	v_add_u32_e32 v94, -10, v0
	s_movk_i32 s15, 0x1b0
	s_mov_b64 s[0:1], 0
.LBB43_333:                             ; =>This Inner Loop Header: Depth=1
	scratch_load_dwordx2 v[96:97], off, s14
	v_mov_b32_e32 v95, s15
	ds_read_b64 v[98:99], v95
	v_add_u32_e32 v94, -1, v94
	s_add_i32 s15, s15, 8
	s_add_i32 s14, s14, 8
	v_cmp_eq_u32_e32 vcc, 0, v94
	s_or_b64 s[0:1], vcc, s[0:1]
	s_waitcnt vmcnt(0) lgkmcnt(0)
	v_fmac_f64_e32 v[92:93], v[96:97], v[98:99]
	s_andn2_b64 exec, exec, s[0:1]
	s_cbranch_execnz .LBB43_333
; %bb.334:
	s_or_b64 exec, exec, s[0:1]
.LBB43_335:
	s_or_b64 exec, exec, s[8:9]
	v_mov_b32_e32 v94, 0
	ds_read_b64 v[94:95], v94 offset:72
	s_waitcnt lgkmcnt(0)
	v_mul_f64 v[92:93], v[92:93], v[94:95]
	scratch_store_dwordx2 off, v[92:93], off offset:72
.LBB43_336:
	s_or_b64 exec, exec, s[4:5]
	scratch_load_dwordx2 v[92:93], off, off offset:64
	v_cmp_lt_u32_e64 s[0:1], 8, v0
	s_waitcnt vmcnt(0)
	ds_write_b64 v1, v[92:93]
	s_waitcnt lgkmcnt(0)
	; wave barrier
	s_and_saveexec_b64 s[4:5], s[0:1]
	s_cbranch_execz .LBB43_346
; %bb.337:
	s_andn2_b64 vcc, exec, s[6:7]
	s_cbranch_vccnz .LBB43_339
; %bb.338:
	scratch_load_dwordx2 v[92:93], v17, off
	ds_read_b64 v[94:95], v1
	s_waitcnt vmcnt(0) lgkmcnt(0)
	v_mul_f64 v[92:93], v[92:93], v[94:95]
	s_cbranch_execz .LBB43_340
	s_branch .LBB43_341
.LBB43_339:
                                        ; implicit-def: $vgpr92_vgpr93
.LBB43_340:
	ds_read_b64 v[92:93], v1
.LBB43_341:
	s_and_saveexec_b64 s[8:9], s[2:3]
	s_cbranch_execz .LBB43_345
; %bb.342:
	s_movk_i32 s14, 0x48
	v_add_u32_e32 v94, -9, v0
	s_movk_i32 s15, 0x1a8
	s_mov_b64 s[2:3], 0
.LBB43_343:                             ; =>This Inner Loop Header: Depth=1
	scratch_load_dwordx2 v[96:97], off, s14
	v_mov_b32_e32 v95, s15
	ds_read_b64 v[98:99], v95
	v_add_u32_e32 v94, -1, v94
	s_add_i32 s15, s15, 8
	s_add_i32 s14, s14, 8
	v_cmp_eq_u32_e32 vcc, 0, v94
	s_or_b64 s[2:3], vcc, s[2:3]
	s_waitcnt vmcnt(0) lgkmcnt(0)
	v_fmac_f64_e32 v[92:93], v[96:97], v[98:99]
	s_andn2_b64 exec, exec, s[2:3]
	s_cbranch_execnz .LBB43_343
; %bb.344:
	s_or_b64 exec, exec, s[2:3]
.LBB43_345:
	s_or_b64 exec, exec, s[8:9]
	v_mov_b32_e32 v94, 0
	ds_read_b64 v[94:95], v94 offset:64
	s_waitcnt lgkmcnt(0)
	v_mul_f64 v[92:93], v[92:93], v[94:95]
	scratch_store_dwordx2 off, v[92:93], off offset:64
.LBB43_346:
	s_or_b64 exec, exec, s[4:5]
	scratch_load_dwordx2 v[92:93], off, off offset:56
	v_cmp_lt_u32_e64 s[2:3], 7, v0
	s_waitcnt vmcnt(0)
	ds_write_b64 v1, v[92:93]
	s_waitcnt lgkmcnt(0)
	; wave barrier
	s_and_saveexec_b64 s[4:5], s[2:3]
	s_cbranch_execz .LBB43_356
; %bb.347:
	s_andn2_b64 vcc, exec, s[6:7]
	s_cbranch_vccnz .LBB43_349
; %bb.348:
	scratch_load_dwordx2 v[92:93], v17, off
	ds_read_b64 v[94:95], v1
	s_waitcnt vmcnt(0) lgkmcnt(0)
	v_mul_f64 v[92:93], v[92:93], v[94:95]
	s_cbranch_execz .LBB43_350
	s_branch .LBB43_351
.LBB43_349:
                                        ; implicit-def: $vgpr92_vgpr93
.LBB43_350:
	ds_read_b64 v[92:93], v1
.LBB43_351:
	s_and_saveexec_b64 s[8:9], s[0:1]
	s_cbranch_execz .LBB43_355
; %bb.352:
	v_add_u32_e32 v94, -8, v0
	s_movk_i32 s14, 0x1a0
	s_mov_b64 s[0:1], 0
.LBB43_353:                             ; =>This Inner Loop Header: Depth=1
	scratch_load_dwordx2 v[96:97], off, s13
	v_mov_b32_e32 v95, s14
	ds_read_b64 v[98:99], v95
	v_add_u32_e32 v94, -1, v94
	s_add_i32 s14, s14, 8
	s_add_i32 s13, s13, 8
	v_cmp_eq_u32_e32 vcc, 0, v94
	s_or_b64 s[0:1], vcc, s[0:1]
	s_waitcnt vmcnt(0) lgkmcnt(0)
	v_fmac_f64_e32 v[92:93], v[96:97], v[98:99]
	s_andn2_b64 exec, exec, s[0:1]
	s_cbranch_execnz .LBB43_353
; %bb.354:
	s_or_b64 exec, exec, s[0:1]
.LBB43_355:
	s_or_b64 exec, exec, s[8:9]
	v_mov_b32_e32 v94, 0
	ds_read_b64 v[94:95], v94 offset:56
	s_waitcnt lgkmcnt(0)
	v_mul_f64 v[92:93], v[92:93], v[94:95]
	scratch_store_dwordx2 off, v[92:93], off offset:56
.LBB43_356:
	s_or_b64 exec, exec, s[4:5]
	scratch_load_dwordx2 v[92:93], off, off offset:48
	v_cmp_lt_u32_e64 s[0:1], 6, v0
	s_waitcnt vmcnt(0)
	ds_write_b64 v1, v[92:93]
	s_waitcnt lgkmcnt(0)
	; wave barrier
	s_and_saveexec_b64 s[4:5], s[0:1]
	s_cbranch_execz .LBB43_366
; %bb.357:
	s_andn2_b64 vcc, exec, s[6:7]
	s_cbranch_vccnz .LBB43_359
; %bb.358:
	scratch_load_dwordx2 v[92:93], v17, off
	ds_read_b64 v[94:95], v1
	s_waitcnt vmcnt(0) lgkmcnt(0)
	v_mul_f64 v[92:93], v[92:93], v[94:95]
	s_cbranch_execz .LBB43_360
	s_branch .LBB43_361
.LBB43_359:
                                        ; implicit-def: $vgpr92_vgpr93
.LBB43_360:
	ds_read_b64 v[92:93], v1
.LBB43_361:
	s_and_saveexec_b64 s[8:9], s[2:3]
	s_cbranch_execz .LBB43_365
; %bb.362:
	s_mov_b32 s13, 56
	v_add_u32_e32 v94, -7, v0
	s_movk_i32 s14, 0x198
	s_mov_b64 s[2:3], 0
.LBB43_363:                             ; =>This Inner Loop Header: Depth=1
	scratch_load_dwordx2 v[96:97], off, s13
	v_mov_b32_e32 v95, s14
	ds_read_b64 v[98:99], v95
	v_add_u32_e32 v94, -1, v94
	s_add_i32 s14, s14, 8
	s_add_i32 s13, s13, 8
	v_cmp_eq_u32_e32 vcc, 0, v94
	s_or_b64 s[2:3], vcc, s[2:3]
	s_waitcnt vmcnt(0) lgkmcnt(0)
	v_fmac_f64_e32 v[92:93], v[96:97], v[98:99]
	s_andn2_b64 exec, exec, s[2:3]
	s_cbranch_execnz .LBB43_363
; %bb.364:
	s_or_b64 exec, exec, s[2:3]
.LBB43_365:
	s_or_b64 exec, exec, s[8:9]
	v_mov_b32_e32 v94, 0
	ds_read_b64 v[94:95], v94 offset:48
	s_waitcnt lgkmcnt(0)
	v_mul_f64 v[92:93], v[92:93], v[94:95]
	scratch_store_dwordx2 off, v[92:93], off offset:48
.LBB43_366:
	s_or_b64 exec, exec, s[4:5]
	scratch_load_dwordx2 v[92:93], off, off offset:40
	v_cmp_lt_u32_e64 s[2:3], 5, v0
	s_waitcnt vmcnt(0)
	ds_write_b64 v1, v[92:93]
	s_waitcnt lgkmcnt(0)
	; wave barrier
	s_and_saveexec_b64 s[4:5], s[2:3]
	s_cbranch_execz .LBB43_376
; %bb.367:
	s_andn2_b64 vcc, exec, s[6:7]
	s_cbranch_vccnz .LBB43_369
; %bb.368:
	scratch_load_dwordx2 v[92:93], v17, off
	ds_read_b64 v[94:95], v1
	s_waitcnt vmcnt(0) lgkmcnt(0)
	v_mul_f64 v[92:93], v[92:93], v[94:95]
	s_cbranch_execz .LBB43_370
	s_branch .LBB43_371
.LBB43_369:
                                        ; implicit-def: $vgpr92_vgpr93
.LBB43_370:
	ds_read_b64 v[92:93], v1
.LBB43_371:
	s_and_saveexec_b64 s[8:9], s[0:1]
	s_cbranch_execz .LBB43_375
; %bb.372:
	v_add_u32_e32 v94, -6, v0
	s_movk_i32 s13, 0x190
	s_mov_b64 s[0:1], 0
.LBB43_373:                             ; =>This Inner Loop Header: Depth=1
	scratch_load_dwordx2 v[96:97], off, s12
	v_mov_b32_e32 v95, s13
	ds_read_b64 v[98:99], v95
	v_add_u32_e32 v94, -1, v94
	s_add_i32 s13, s13, 8
	s_add_i32 s12, s12, 8
	v_cmp_eq_u32_e32 vcc, 0, v94
	s_or_b64 s[0:1], vcc, s[0:1]
	s_waitcnt vmcnt(0) lgkmcnt(0)
	v_fmac_f64_e32 v[92:93], v[96:97], v[98:99]
	s_andn2_b64 exec, exec, s[0:1]
	s_cbranch_execnz .LBB43_373
; %bb.374:
	s_or_b64 exec, exec, s[0:1]
.LBB43_375:
	s_or_b64 exec, exec, s[8:9]
	v_mov_b32_e32 v94, 0
	ds_read_b64 v[94:95], v94 offset:40
	s_waitcnt lgkmcnt(0)
	v_mul_f64 v[92:93], v[92:93], v[94:95]
	scratch_store_dwordx2 off, v[92:93], off offset:40
.LBB43_376:
	s_or_b64 exec, exec, s[4:5]
	scratch_load_dwordx2 v[92:93], off, off offset:32
	v_cmp_lt_u32_e64 s[0:1], 4, v0
	s_waitcnt vmcnt(0)
	ds_write_b64 v1, v[92:93]
	s_waitcnt lgkmcnt(0)
	; wave barrier
	s_and_saveexec_b64 s[4:5], s[0:1]
	s_cbranch_execz .LBB43_386
; %bb.377:
	s_andn2_b64 vcc, exec, s[6:7]
	s_cbranch_vccnz .LBB43_379
; %bb.378:
	scratch_load_dwordx2 v[92:93], v17, off
	ds_read_b64 v[94:95], v1
	s_waitcnt vmcnt(0) lgkmcnt(0)
	v_mul_f64 v[92:93], v[92:93], v[94:95]
	s_cbranch_execz .LBB43_380
	s_branch .LBB43_381
.LBB43_379:
                                        ; implicit-def: $vgpr92_vgpr93
.LBB43_380:
	ds_read_b64 v[92:93], v1
.LBB43_381:
	s_and_saveexec_b64 s[8:9], s[2:3]
	s_cbranch_execz .LBB43_385
; %bb.382:
	s_mov_b32 s12, 40
	v_add_u32_e32 v94, -5, v0
	s_movk_i32 s13, 0x188
	s_mov_b64 s[2:3], 0
.LBB43_383:                             ; =>This Inner Loop Header: Depth=1
	scratch_load_dwordx2 v[96:97], off, s12
	v_mov_b32_e32 v95, s13
	ds_read_b64 v[98:99], v95
	v_add_u32_e32 v94, -1, v94
	s_add_i32 s13, s13, 8
	s_add_i32 s12, s12, 8
	v_cmp_eq_u32_e32 vcc, 0, v94
	s_or_b64 s[2:3], vcc, s[2:3]
	s_waitcnt vmcnt(0) lgkmcnt(0)
	v_fmac_f64_e32 v[92:93], v[96:97], v[98:99]
	s_andn2_b64 exec, exec, s[2:3]
	s_cbranch_execnz .LBB43_383
; %bb.384:
	s_or_b64 exec, exec, s[2:3]
.LBB43_385:
	s_or_b64 exec, exec, s[8:9]
	v_mov_b32_e32 v94, 0
	ds_read_b64 v[94:95], v94 offset:32
	s_waitcnt lgkmcnt(0)
	v_mul_f64 v[92:93], v[92:93], v[94:95]
	scratch_store_dwordx2 off, v[92:93], off offset:32
.LBB43_386:
	s_or_b64 exec, exec, s[4:5]
	scratch_load_dwordx2 v[92:93], off, off offset:24
	v_cmp_lt_u32_e64 s[2:3], 3, v0
	s_waitcnt vmcnt(0)
	ds_write_b64 v1, v[92:93]
	s_waitcnt lgkmcnt(0)
	; wave barrier
	s_and_saveexec_b64 s[4:5], s[2:3]
	s_cbranch_execz .LBB43_396
; %bb.387:
	s_andn2_b64 vcc, exec, s[6:7]
	s_cbranch_vccnz .LBB43_389
; %bb.388:
	scratch_load_dwordx2 v[92:93], v17, off
	ds_read_b64 v[94:95], v1
	s_waitcnt vmcnt(0) lgkmcnt(0)
	v_mul_f64 v[92:93], v[92:93], v[94:95]
	s_cbranch_execz .LBB43_390
	s_branch .LBB43_391
.LBB43_389:
                                        ; implicit-def: $vgpr92_vgpr93
.LBB43_390:
	ds_read_b64 v[92:93], v1
.LBB43_391:
	s_and_saveexec_b64 s[8:9], s[0:1]
	s_cbranch_execz .LBB43_395
; %bb.392:
	v_add_u32_e32 v94, -4, v0
	s_movk_i32 s12, 0x180
	s_mov_b64 s[0:1], 0
.LBB43_393:                             ; =>This Inner Loop Header: Depth=1
	scratch_load_dwordx2 v[96:97], off, s11
	v_mov_b32_e32 v95, s12
	ds_read_b64 v[98:99], v95
	v_add_u32_e32 v94, -1, v94
	s_add_i32 s12, s12, 8
	s_add_i32 s11, s11, 8
	v_cmp_eq_u32_e32 vcc, 0, v94
	s_or_b64 s[0:1], vcc, s[0:1]
	s_waitcnt vmcnt(0) lgkmcnt(0)
	v_fmac_f64_e32 v[92:93], v[96:97], v[98:99]
	s_andn2_b64 exec, exec, s[0:1]
	s_cbranch_execnz .LBB43_393
; %bb.394:
	s_or_b64 exec, exec, s[0:1]
.LBB43_395:
	s_or_b64 exec, exec, s[8:9]
	v_mov_b32_e32 v94, 0
	ds_read_b64 v[94:95], v94 offset:24
	s_waitcnt lgkmcnt(0)
	v_mul_f64 v[92:93], v[92:93], v[94:95]
	scratch_store_dwordx2 off, v[92:93], off offset:24
.LBB43_396:
	s_or_b64 exec, exec, s[4:5]
	scratch_load_dwordx2 v[92:93], off, off offset:16
	v_cmp_lt_u32_e64 s[0:1], 2, v0
	s_waitcnt vmcnt(0)
	ds_write_b64 v1, v[92:93]
	s_waitcnt lgkmcnt(0)
	; wave barrier
	s_and_saveexec_b64 s[4:5], s[0:1]
	s_cbranch_execz .LBB43_406
; %bb.397:
	s_andn2_b64 vcc, exec, s[6:7]
	s_cbranch_vccnz .LBB43_399
; %bb.398:
	scratch_load_dwordx2 v[92:93], v17, off
	ds_read_b64 v[94:95], v1
	s_waitcnt vmcnt(0) lgkmcnt(0)
	v_mul_f64 v[92:93], v[92:93], v[94:95]
	s_cbranch_execz .LBB43_400
	s_branch .LBB43_401
.LBB43_399:
                                        ; implicit-def: $vgpr92_vgpr93
.LBB43_400:
	ds_read_b64 v[92:93], v1
.LBB43_401:
	s_and_saveexec_b64 s[8:9], s[2:3]
	s_cbranch_execz .LBB43_405
; %bb.402:
	s_mov_b32 s11, 24
	v_add_u32_e32 v94, -3, v0
	s_movk_i32 s12, 0x178
	s_mov_b64 s[2:3], 0
.LBB43_403:                             ; =>This Inner Loop Header: Depth=1
	scratch_load_dwordx2 v[96:97], off, s11
	v_mov_b32_e32 v95, s12
	ds_read_b64 v[98:99], v95
	v_add_u32_e32 v94, -1, v94
	s_add_i32 s12, s12, 8
	s_add_i32 s11, s11, 8
	v_cmp_eq_u32_e32 vcc, 0, v94
	s_or_b64 s[2:3], vcc, s[2:3]
	s_waitcnt vmcnt(0) lgkmcnt(0)
	v_fmac_f64_e32 v[92:93], v[96:97], v[98:99]
	s_andn2_b64 exec, exec, s[2:3]
	s_cbranch_execnz .LBB43_403
; %bb.404:
	s_or_b64 exec, exec, s[2:3]
.LBB43_405:
	s_or_b64 exec, exec, s[8:9]
	v_mov_b32_e32 v94, 0
	ds_read_b64 v[94:95], v94 offset:16
	s_waitcnt lgkmcnt(0)
	v_mul_f64 v[92:93], v[92:93], v[94:95]
	scratch_store_dwordx2 off, v[92:93], off offset:16
.LBB43_406:
	s_or_b64 exec, exec, s[4:5]
	scratch_load_dwordx2 v[92:93], off, off offset:8
	v_cmp_lt_u32_e64 s[2:3], 1, v0
	s_waitcnt vmcnt(0)
	ds_write_b64 v1, v[92:93]
	s_waitcnt lgkmcnt(0)
	; wave barrier
	s_and_saveexec_b64 s[4:5], s[2:3]
	s_cbranch_execz .LBB43_416
; %bb.407:
	s_andn2_b64 vcc, exec, s[6:7]
	s_cbranch_vccnz .LBB43_409
; %bb.408:
	scratch_load_dwordx2 v[92:93], v17, off
	ds_read_b64 v[94:95], v1
	s_waitcnt vmcnt(0) lgkmcnt(0)
	v_mul_f64 v[92:93], v[92:93], v[94:95]
	s_cbranch_execz .LBB43_410
	s_branch .LBB43_411
.LBB43_409:
                                        ; implicit-def: $vgpr92_vgpr93
.LBB43_410:
	ds_read_b64 v[92:93], v1
.LBB43_411:
	s_and_saveexec_b64 s[8:9], s[0:1]
	s_cbranch_execz .LBB43_415
; %bb.412:
	v_add_u32_e32 v94, -2, v0
	s_movk_i32 s11, 0x170
	s_mov_b64 s[0:1], 0
.LBB43_413:                             ; =>This Inner Loop Header: Depth=1
	scratch_load_dwordx2 v[96:97], off, s10
	v_mov_b32_e32 v95, s11
	ds_read_b64 v[98:99], v95
	v_add_u32_e32 v94, -1, v94
	s_add_i32 s11, s11, 8
	s_add_i32 s10, s10, 8
	v_cmp_eq_u32_e32 vcc, 0, v94
	s_or_b64 s[0:1], vcc, s[0:1]
	s_waitcnt vmcnt(0) lgkmcnt(0)
	v_fmac_f64_e32 v[92:93], v[96:97], v[98:99]
	s_andn2_b64 exec, exec, s[0:1]
	s_cbranch_execnz .LBB43_413
; %bb.414:
	s_or_b64 exec, exec, s[0:1]
.LBB43_415:
	s_or_b64 exec, exec, s[8:9]
	v_mov_b32_e32 v94, 0
	ds_read_b64 v[94:95], v94 offset:8
	s_waitcnt lgkmcnt(0)
	v_mul_f64 v[92:93], v[92:93], v[94:95]
	scratch_store_dwordx2 off, v[92:93], off offset:8
.LBB43_416:
	s_or_b64 exec, exec, s[4:5]
	scratch_load_dwordx2 v[92:93], off, off
	v_cmp_ne_u32_e32 vcc, 0, v0
	s_waitcnt vmcnt(0)
	ds_write_b64 v1, v[92:93]
	s_waitcnt lgkmcnt(0)
	; wave barrier
	s_and_saveexec_b64 s[0:1], vcc
	s_cbranch_execz .LBB43_426
; %bb.417:
	s_andn2_b64 vcc, exec, s[6:7]
	s_cbranch_vccnz .LBB43_419
; %bb.418:
	scratch_load_dwordx2 v[92:93], v17, off
	ds_read_b64 v[94:95], v1
	s_waitcnt vmcnt(0) lgkmcnt(0)
	v_mul_f64 v[92:93], v[92:93], v[94:95]
	s_cbranch_execz .LBB43_420
	s_branch .LBB43_421
.LBB43_419:
                                        ; implicit-def: $vgpr92_vgpr93
.LBB43_420:
	ds_read_b64 v[92:93], v1
.LBB43_421:
	s_and_saveexec_b64 s[4:5], s[2:3]
	s_cbranch_execz .LBB43_425
; %bb.422:
	s_or_b32 s8, 0, 8
	v_add_u32_e32 v94, -1, v0
	s_movk_i32 s9, 0x168
	s_mov_b64 s[2:3], 0
.LBB43_423:                             ; =>This Inner Loop Header: Depth=1
	scratch_load_dwordx2 v[96:97], off, s8
	v_mov_b32_e32 v95, s9
	ds_read_b64 v[98:99], v95
	v_add_u32_e32 v94, -1, v94
	s_add_i32 s9, s9, 8
	s_add_i32 s8, s8, 8
	v_cmp_eq_u32_e32 vcc, 0, v94
	s_or_b64 s[2:3], vcc, s[2:3]
	s_waitcnt vmcnt(0) lgkmcnt(0)
	v_fmac_f64_e32 v[92:93], v[96:97], v[98:99]
	s_andn2_b64 exec, exec, s[2:3]
	s_cbranch_execnz .LBB43_423
; %bb.424:
	s_or_b64 exec, exec, s[2:3]
.LBB43_425:
	s_or_b64 exec, exec, s[4:5]
	v_mov_b32_e32 v94, 0
	ds_read_b64 v[94:95], v94
	s_waitcnt lgkmcnt(0)
	v_mul_f64 v[92:93], v[92:93], v[94:95]
	scratch_store_dwordx2 off, v[92:93], off
.LBB43_426:
	s_or_b64 exec, exec, s[0:1]
	s_mov_b64 s[0:1], 0
.LBB43_427:
	s_and_b64 vcc, exec, s[0:1]
	s_cbranch_vccz .LBB43_849
; %bb.428:
	scratch_load_dwordx2 v[92:93], off, off offset:8
	v_cmp_eq_u32_e64 s[2:3], 0, v0
	s_waitcnt vmcnt(0)
	ds_write_b64 v1, v[92:93]
	s_waitcnt lgkmcnt(0)
	; wave barrier
	s_and_saveexec_b64 s[0:1], s[2:3]
	s_cbranch_execz .LBB43_434
; %bb.429:
	s_and_b64 vcc, exec, s[6:7]
	s_cbranch_vccz .LBB43_431
; %bb.430:
	scratch_load_dwordx2 v[92:93], v17, off
	ds_read_b64 v[94:95], v1
	s_waitcnt vmcnt(0) lgkmcnt(0)
	v_mul_f64 v[92:93], v[92:93], v[94:95]
	s_cbranch_execz .LBB43_432
	s_branch .LBB43_433
.LBB43_431:
                                        ; implicit-def: $vgpr92_vgpr93
.LBB43_432:
	ds_read_b64 v[92:93], v1
.LBB43_433:
	v_mov_b32_e32 v94, 0
	ds_read_b64 v[94:95], v94 offset:8
	s_waitcnt lgkmcnt(0)
	v_mul_f64 v[92:93], v[92:93], v[94:95]
	scratch_store_dwordx2 off, v[92:93], off offset:8
.LBB43_434:
	s_or_b64 exec, exec, s[0:1]
	scratch_load_dwordx2 v[92:93], off, off offset:16
	v_cndmask_b32_e64 v94, 0, 1, s[6:7]
	v_cmp_gt_u32_e32 vcc, 2, v0
	v_cmp_ne_u32_e64 s[0:1], 1, v94
	s_waitcnt vmcnt(0)
	ds_write_b64 v1, v[92:93]
	s_waitcnt lgkmcnt(0)
	; wave barrier
	s_and_saveexec_b64 s[4:5], vcc
	s_cbranch_execz .LBB43_440
; %bb.435:
	s_and_b64 vcc, exec, s[0:1]
	s_cbranch_vccnz .LBB43_437
; %bb.436:
	scratch_load_dwordx2 v[92:93], v17, off
	ds_read_b64 v[94:95], v1
	s_waitcnt vmcnt(0) lgkmcnt(0)
	v_mul_f64 v[92:93], v[92:93], v[94:95]
	s_cbranch_execz .LBB43_438
	s_branch .LBB43_439
.LBB43_437:
                                        ; implicit-def: $vgpr92_vgpr93
.LBB43_438:
	ds_read_b64 v[92:93], v1
.LBB43_439:
	scratch_load_dwordx2 v[98:99], off, off offset:8
	v_mov_b32_e32 v94, 0
	ds_read2_b64 v[94:97], v94 offset0:2 offset1:45
	s_waitcnt vmcnt(0) lgkmcnt(0)
	v_fma_f64 v[96:97], v[98:99], v[96:97], v[92:93]
	v_cndmask_b32_e64 v93, v93, v97, s[2:3]
	v_cndmask_b32_e64 v92, v92, v96, s[2:3]
	v_mul_f64 v[92:93], v[92:93], v[94:95]
	scratch_store_dwordx2 off, v[92:93], off offset:16
.LBB43_440:
	s_or_b64 exec, exec, s[4:5]
	scratch_load_dwordx2 v[92:93], off, off offset:24
	v_cmp_gt_u32_e32 vcc, 3, v0
	s_waitcnt vmcnt(0)
	ds_write_b64 v1, v[92:93]
	s_waitcnt lgkmcnt(0)
	; wave barrier
	s_and_saveexec_b64 s[4:5], vcc
	s_cbranch_execz .LBB43_448
; %bb.441:
	s_and_b64 vcc, exec, s[0:1]
	s_cbranch_vccnz .LBB43_443
; %bb.442:
	scratch_load_dwordx2 v[92:93], v17, off
	ds_read_b64 v[94:95], v1
	s_waitcnt vmcnt(0) lgkmcnt(0)
	v_mul_f64 v[92:93], v[92:93], v[94:95]
	s_cbranch_execz .LBB43_444
	s_branch .LBB43_445
.LBB43_443:
                                        ; implicit-def: $vgpr92_vgpr93
.LBB43_444:
	ds_read_b64 v[92:93], v1
.LBB43_445:
	v_cmp_ne_u32_e32 vcc, 2, v0
	s_and_saveexec_b64 s[6:7], vcc
	s_cbranch_execz .LBB43_447
; %bb.446:
	scratch_load_dwordx2 v[94:95], v17, off offset:8
	scratch_load_dwordx2 v[96:97], off, off offset:16
	ds_read_b64 v[98:99], v1 offset:8
	v_mov_b32_e32 v100, 0
	ds_read_b64 v[100:101], v100 offset:368
	s_waitcnt vmcnt(1) lgkmcnt(1)
	v_fmac_f64_e32 v[92:93], v[94:95], v[98:99]
	s_waitcnt vmcnt(0) lgkmcnt(0)
	v_fma_f64 v[94:95], v[96:97], v[100:101], v[92:93]
	v_cndmask_b32_e64 v93, v93, v95, s[2:3]
	v_cndmask_b32_e64 v92, v92, v94, s[2:3]
.LBB43_447:
	s_or_b64 exec, exec, s[6:7]
	v_mov_b32_e32 v94, 0
	ds_read_b64 v[94:95], v94 offset:24
	s_waitcnt lgkmcnt(0)
	v_mul_f64 v[92:93], v[92:93], v[94:95]
	scratch_store_dwordx2 off, v[92:93], off offset:24
.LBB43_448:
	s_or_b64 exec, exec, s[4:5]
	scratch_load_dwordx2 v[92:93], off, off offset:32
	v_cmp_gt_u32_e32 vcc, 4, v0
	s_waitcnt vmcnt(0)
	ds_write_b64 v1, v[92:93]
	s_waitcnt lgkmcnt(0)
	; wave barrier
	s_and_saveexec_b64 s[2:3], vcc
	s_cbranch_execz .LBB43_458
; %bb.449:
	s_and_b64 vcc, exec, s[0:1]
	s_cbranch_vccnz .LBB43_451
; %bb.450:
	scratch_load_dwordx2 v[92:93], v17, off
	ds_read_b64 v[94:95], v1
	s_waitcnt vmcnt(0) lgkmcnt(0)
	v_mul_f64 v[92:93], v[92:93], v[94:95]
	s_cbranch_execz .LBB43_452
	s_branch .LBB43_453
.LBB43_451:
                                        ; implicit-def: $vgpr92_vgpr93
.LBB43_452:
	ds_read_b64 v[92:93], v1
.LBB43_453:
	v_cmp_ne_u32_e32 vcc, 3, v0
	s_and_saveexec_b64 s[4:5], vcc
	s_cbranch_execz .LBB43_457
; %bb.454:
	s_mov_b32 s6, 0
	v_add_u32_e32 v94, 0x168, v16
	v_add3_u32 v95, v16, s6, 8
	s_mov_b64 s[6:7], 0
	v_mov_b32_e32 v96, v0
.LBB43_455:                             ; =>This Inner Loop Header: Depth=1
	scratch_load_dwordx2 v[98:99], v95, off
	ds_read_b64 v[100:101], v94
	v_add_u32_e32 v96, 1, v96
	v_cmp_lt_u32_e32 vcc, 2, v96
	v_add_u32_e32 v94, 8, v94
	v_add_u32_e32 v95, 8, v95
	s_or_b64 s[6:7], vcc, s[6:7]
	s_waitcnt vmcnt(0) lgkmcnt(0)
	v_fmac_f64_e32 v[92:93], v[98:99], v[100:101]
	s_andn2_b64 exec, exec, s[6:7]
	s_cbranch_execnz .LBB43_455
; %bb.456:
	s_or_b64 exec, exec, s[6:7]
.LBB43_457:
	s_or_b64 exec, exec, s[4:5]
	v_mov_b32_e32 v94, 0
	ds_read_b64 v[94:95], v94 offset:32
	s_waitcnt lgkmcnt(0)
	v_mul_f64 v[92:93], v[92:93], v[94:95]
	scratch_store_dwordx2 off, v[92:93], off offset:32
.LBB43_458:
	s_or_b64 exec, exec, s[2:3]
	scratch_load_dwordx2 v[92:93], off, off offset:40
	v_cmp_gt_u32_e32 vcc, 5, v0
	s_waitcnt vmcnt(0)
	ds_write_b64 v1, v[92:93]
	s_waitcnt lgkmcnt(0)
	; wave barrier
	s_and_saveexec_b64 s[2:3], vcc
	s_cbranch_execz .LBB43_468
; %bb.459:
	s_and_b64 vcc, exec, s[0:1]
	s_cbranch_vccnz .LBB43_461
; %bb.460:
	scratch_load_dwordx2 v[92:93], v17, off
	ds_read_b64 v[94:95], v1
	s_waitcnt vmcnt(0) lgkmcnt(0)
	v_mul_f64 v[92:93], v[92:93], v[94:95]
	s_cbranch_execz .LBB43_462
	s_branch .LBB43_463
.LBB43_461:
                                        ; implicit-def: $vgpr92_vgpr93
.LBB43_462:
	ds_read_b64 v[92:93], v1
.LBB43_463:
	v_cmp_ne_u32_e32 vcc, 4, v0
	s_and_saveexec_b64 s[4:5], vcc
	s_cbranch_execz .LBB43_467
; %bb.464:
	s_mov_b32 s6, 0
	v_add_u32_e32 v94, 0x168, v16
	v_add3_u32 v95, v16, s6, 8
	s_mov_b64 s[6:7], 0
	v_mov_b32_e32 v96, v0
.LBB43_465:                             ; =>This Inner Loop Header: Depth=1
	scratch_load_dwordx2 v[98:99], v95, off
	ds_read_b64 v[100:101], v94
	v_add_u32_e32 v96, 1, v96
	v_cmp_lt_u32_e32 vcc, 3, v96
	v_add_u32_e32 v94, 8, v94
	v_add_u32_e32 v95, 8, v95
	s_or_b64 s[6:7], vcc, s[6:7]
	s_waitcnt vmcnt(0) lgkmcnt(0)
	v_fmac_f64_e32 v[92:93], v[98:99], v[100:101]
	s_andn2_b64 exec, exec, s[6:7]
	s_cbranch_execnz .LBB43_465
; %bb.466:
	s_or_b64 exec, exec, s[6:7]
.LBB43_467:
	s_or_b64 exec, exec, s[4:5]
	v_mov_b32_e32 v94, 0
	ds_read_b64 v[94:95], v94 offset:40
	s_waitcnt lgkmcnt(0)
	v_mul_f64 v[92:93], v[92:93], v[94:95]
	scratch_store_dwordx2 off, v[92:93], off offset:40
.LBB43_468:
	;; [unrolled: 55-line block ×38, first 2 shown]
	s_or_b64 exec, exec, s[2:3]
	scratch_load_dwordx2 v[92:93], off, off offset:336
	v_cmp_gt_u32_e64 s[2:3], 42, v0
	s_waitcnt vmcnt(0)
	ds_write_b64 v1, v[92:93]
	s_waitcnt lgkmcnt(0)
	; wave barrier
	s_and_saveexec_b64 s[4:5], s[2:3]
	s_cbranch_execz .LBB43_838
; %bb.829:
	s_and_b64 vcc, exec, s[0:1]
	s_cbranch_vccnz .LBB43_831
; %bb.830:
	scratch_load_dwordx2 v[92:93], v17, off
	ds_read_b64 v[94:95], v1
	s_waitcnt vmcnt(0) lgkmcnt(0)
	v_mul_f64 v[92:93], v[92:93], v[94:95]
	s_cbranch_execz .LBB43_832
	s_branch .LBB43_833
.LBB43_831:
                                        ; implicit-def: $vgpr92_vgpr93
.LBB43_832:
	ds_read_b64 v[92:93], v1
.LBB43_833:
	v_cmp_ne_u32_e32 vcc, 41, v0
	s_and_saveexec_b64 s[6:7], vcc
	s_cbranch_execz .LBB43_837
; %bb.834:
	s_mov_b32 s8, 0
	v_add_u32_e32 v94, 0x168, v16
	v_add3_u32 v95, v16, s8, 8
	s_mov_b64 s[8:9], 0
	v_mov_b32_e32 v96, v0
.LBB43_835:                             ; =>This Inner Loop Header: Depth=1
	scratch_load_dwordx2 v[98:99], v95, off
	ds_read_b64 v[100:101], v94
	v_add_u32_e32 v96, 1, v96
	v_cmp_lt_u32_e32 vcc, 40, v96
	v_add_u32_e32 v94, 8, v94
	v_add_u32_e32 v95, 8, v95
	s_or_b64 s[8:9], vcc, s[8:9]
	s_waitcnt vmcnt(0) lgkmcnt(0)
	v_fmac_f64_e32 v[92:93], v[98:99], v[100:101]
	s_andn2_b64 exec, exec, s[8:9]
	s_cbranch_execnz .LBB43_835
; %bb.836:
	s_or_b64 exec, exec, s[8:9]
.LBB43_837:
	s_or_b64 exec, exec, s[6:7]
	v_mov_b32_e32 v94, 0
	ds_read_b64 v[94:95], v94 offset:336
	s_waitcnt lgkmcnt(0)
	v_mul_f64 v[92:93], v[92:93], v[94:95]
	scratch_store_dwordx2 off, v[92:93], off offset:336
.LBB43_838:
	s_or_b64 exec, exec, s[4:5]
	scratch_load_dwordx2 v[92:93], off, off offset:344
	v_cmp_ne_u32_e32 vcc, 43, v0
	s_waitcnt vmcnt(0)
	ds_write_b64 v1, v[92:93]
	s_waitcnt lgkmcnt(0)
	; wave barrier
	s_and_saveexec_b64 s[4:5], vcc
	s_cbranch_execz .LBB43_848
; %bb.839:
	s_and_b64 vcc, exec, s[0:1]
	s_cbranch_vccnz .LBB43_841
; %bb.840:
	scratch_load_dwordx2 v[92:93], v17, off
	ds_read_b64 v[94:95], v1
	s_waitcnt vmcnt(0) lgkmcnt(0)
	v_mul_f64 v[92:93], v[92:93], v[94:95]
	s_cbranch_execz .LBB43_842
	s_branch .LBB43_843
.LBB43_841:
                                        ; implicit-def: $vgpr92_vgpr93
.LBB43_842:
	ds_read_b64 v[92:93], v1
.LBB43_843:
	s_and_saveexec_b64 s[0:1], s[2:3]
	s_cbranch_execz .LBB43_847
; %bb.844:
	s_mov_b32 s2, 0
	v_add_u32_e32 v1, 0x168, v16
	v_add3_u32 v16, v16, s2, 8
	s_mov_b64 s[2:3], 0
.LBB43_845:                             ; =>This Inner Loop Header: Depth=1
	scratch_load_dwordx2 v[94:95], v16, off
	ds_read_b64 v[96:97], v1
	v_add_u32_e32 v0, 1, v0
	v_cmp_lt_u32_e32 vcc, 41, v0
	v_add_u32_e32 v1, 8, v1
	v_add_u32_e32 v16, 8, v16
	s_or_b64 s[2:3], vcc, s[2:3]
	s_waitcnt vmcnt(0) lgkmcnt(0)
	v_fmac_f64_e32 v[92:93], v[94:95], v[96:97]
	s_andn2_b64 exec, exec, s[2:3]
	s_cbranch_execnz .LBB43_845
; %bb.846:
	s_or_b64 exec, exec, s[2:3]
.LBB43_847:
	s_or_b64 exec, exec, s[0:1]
	v_mov_b32_e32 v0, 0
	ds_read_b64 v[0:1], v0 offset:344
	s_waitcnt lgkmcnt(0)
	v_mul_f64 v[0:1], v[92:93], v[0:1]
	scratch_store_dwordx2 off, v[0:1], off offset:344
.LBB43_848:
	s_or_b64 exec, exec, s[4:5]
.LBB43_849:
	scratch_load_dwordx4 v[92:95], off, off
	s_waitcnt vmcnt(0)
	global_store_dwordx2 v[2:3], v[92:93], off
	global_store_dwordx2 v[4:5], v[94:95], off
	scratch_load_dwordx4 v[0:3], off, off offset:16
	s_waitcnt vmcnt(0)
	global_store_dwordx2 v[6:7], v[0:1], off
	global_store_dwordx2 v[8:9], v[2:3], off
	scratch_load_dwordx4 v[0:3], off, off offset:32
	s_waitcnt vmcnt(0)
	global_store_dwordx2 v[10:11], v[0:1], off
	global_store_dwordx2 v[12:13], v[2:3], off
	scratch_load_dwordx4 v[0:3], off, off offset:48
	s_waitcnt vmcnt(0)
	global_store_dwordx2 v[14:15], v[0:1], off
	global_store_dwordx2 v[18:19], v[2:3], off
	scratch_load_dwordx4 v[0:3], off, off offset:64
	s_waitcnt vmcnt(0)
	global_store_dwordx2 v[20:21], v[0:1], off
	global_store_dwordx2 v[22:23], v[2:3], off
	scratch_load_dwordx4 v[0:3], off, off offset:80
	s_waitcnt vmcnt(0)
	global_store_dwordx2 v[24:25], v[0:1], off
	global_store_dwordx2 v[26:27], v[2:3], off
	scratch_load_dwordx4 v[0:3], off, off offset:96
	s_waitcnt vmcnt(0)
	global_store_dwordx2 v[28:29], v[0:1], off
	global_store_dwordx2 v[30:31], v[2:3], off
	scratch_load_dwordx4 v[0:3], off, off offset:112
	s_waitcnt vmcnt(0)
	global_store_dwordx2 v[32:33], v[0:1], off
	global_store_dwordx2 v[34:35], v[2:3], off
	scratch_load_dwordx4 v[0:3], off, off offset:128
	s_waitcnt vmcnt(0)
	global_store_dwordx2 v[36:37], v[0:1], off
	global_store_dwordx2 v[38:39], v[2:3], off
	scratch_load_dwordx4 v[0:3], off, off offset:144
	s_waitcnt vmcnt(0)
	global_store_dwordx2 v[40:41], v[0:1], off
	global_store_dwordx2 v[42:43], v[2:3], off
	scratch_load_dwordx4 v[0:3], off, off offset:160
	s_waitcnt vmcnt(0)
	global_store_dwordx2 v[44:45], v[0:1], off
	global_store_dwordx2 v[46:47], v[2:3], off
	scratch_load_dwordx4 v[0:3], off, off offset:176
	s_waitcnt vmcnt(0)
	global_store_dwordx2 v[48:49], v[0:1], off
	global_store_dwordx2 v[50:51], v[2:3], off
	scratch_load_dwordx4 v[0:3], off, off offset:192
	s_waitcnt vmcnt(0)
	global_store_dwordx2 v[52:53], v[0:1], off
	global_store_dwordx2 v[54:55], v[2:3], off
	scratch_load_dwordx4 v[0:3], off, off offset:208
	s_waitcnt vmcnt(0)
	global_store_dwordx2 v[56:57], v[0:1], off
	global_store_dwordx2 v[58:59], v[2:3], off
	scratch_load_dwordx4 v[0:3], off, off offset:224
	s_waitcnt vmcnt(0)
	global_store_dwordx2 v[60:61], v[0:1], off
	global_store_dwordx2 v[62:63], v[2:3], off
	scratch_load_dwordx4 v[0:3], off, off offset:240
	s_waitcnt vmcnt(0)
	global_store_dwordx2 v[64:65], v[0:1], off
	global_store_dwordx2 v[66:67], v[2:3], off
	scratch_load_dwordx4 v[0:3], off, off offset:256
	s_waitcnt vmcnt(0)
	global_store_dwordx2 v[68:69], v[0:1], off
	global_store_dwordx2 v[70:71], v[2:3], off
	scratch_load_dwordx4 v[0:3], off, off offset:272
	s_waitcnt vmcnt(0)
	global_store_dwordx2 v[72:73], v[0:1], off
	global_store_dwordx2 v[74:75], v[2:3], off
	scratch_load_dwordx4 v[0:3], off, off offset:288
	s_waitcnt vmcnt(0)
	global_store_dwordx2 v[78:79], v[0:1], off
	global_store_dwordx2 v[82:83], v[2:3], off
	scratch_load_dwordx4 v[0:3], off, off offset:304
	s_waitcnt vmcnt(0)
	global_store_dwordx2 v[84:85], v[0:1], off
	global_store_dwordx2 v[86:87], v[2:3], off
	scratch_load_dwordx4 v[0:3], off, off offset:320
	s_waitcnt vmcnt(0)
	global_store_dwordx2 v[88:89], v[0:1], off
	global_store_dwordx2 v[90:91], v[2:3], off
	scratch_load_dwordx4 v[0:3], off, off offset:336
	s_waitcnt vmcnt(0)
	global_store_dwordx2 v[76:77], v[0:1], off
	global_store_dwordx2 v[80:81], v[2:3], off
.LBB43_850:
	s_endpgm
	.section	.rodata,"a",@progbits
	.p2align	6, 0x0
	.amdhsa_kernel _ZN9rocsolver6v33100L18trti2_kernel_smallILi44EdPdEEv13rocblas_fill_17rocblas_diagonal_T1_iil
		.amdhsa_group_segment_fixed_size 704
		.amdhsa_private_segment_fixed_size 368
		.amdhsa_kernarg_size 32
		.amdhsa_user_sgpr_count 2
		.amdhsa_user_sgpr_dispatch_ptr 0
		.amdhsa_user_sgpr_queue_ptr 0
		.amdhsa_user_sgpr_kernarg_segment_ptr 1
		.amdhsa_user_sgpr_dispatch_id 0
		.amdhsa_user_sgpr_kernarg_preload_length 0
		.amdhsa_user_sgpr_kernarg_preload_offset 0
		.amdhsa_user_sgpr_private_segment_size 0
		.amdhsa_uses_dynamic_stack 0
		.amdhsa_enable_private_segment 1
		.amdhsa_system_sgpr_workgroup_id_x 1
		.amdhsa_system_sgpr_workgroup_id_y 0
		.amdhsa_system_sgpr_workgroup_id_z 0
		.amdhsa_system_sgpr_workgroup_info 0
		.amdhsa_system_vgpr_workitem_id 0
		.amdhsa_next_free_vgpr 102
		.amdhsa_next_free_sgpr 32
		.amdhsa_accum_offset 104
		.amdhsa_reserve_vcc 1
		.amdhsa_float_round_mode_32 0
		.amdhsa_float_round_mode_16_64 0
		.amdhsa_float_denorm_mode_32 3
		.amdhsa_float_denorm_mode_16_64 3
		.amdhsa_dx10_clamp 1
		.amdhsa_ieee_mode 1
		.amdhsa_fp16_overflow 0
		.amdhsa_tg_split 0
		.amdhsa_exception_fp_ieee_invalid_op 0
		.amdhsa_exception_fp_denorm_src 0
		.amdhsa_exception_fp_ieee_div_zero 0
		.amdhsa_exception_fp_ieee_overflow 0
		.amdhsa_exception_fp_ieee_underflow 0
		.amdhsa_exception_fp_ieee_inexact 0
		.amdhsa_exception_int_div_zero 0
	.end_amdhsa_kernel
	.section	.text._ZN9rocsolver6v33100L18trti2_kernel_smallILi44EdPdEEv13rocblas_fill_17rocblas_diagonal_T1_iil,"axG",@progbits,_ZN9rocsolver6v33100L18trti2_kernel_smallILi44EdPdEEv13rocblas_fill_17rocblas_diagonal_T1_iil,comdat
.Lfunc_end43:
	.size	_ZN9rocsolver6v33100L18trti2_kernel_smallILi44EdPdEEv13rocblas_fill_17rocblas_diagonal_T1_iil, .Lfunc_end43-_ZN9rocsolver6v33100L18trti2_kernel_smallILi44EdPdEEv13rocblas_fill_17rocblas_diagonal_T1_iil
                                        ; -- End function
	.set _ZN9rocsolver6v33100L18trti2_kernel_smallILi44EdPdEEv13rocblas_fill_17rocblas_diagonal_T1_iil.num_vgpr, 102
	.set _ZN9rocsolver6v33100L18trti2_kernel_smallILi44EdPdEEv13rocblas_fill_17rocblas_diagonal_T1_iil.num_agpr, 0
	.set _ZN9rocsolver6v33100L18trti2_kernel_smallILi44EdPdEEv13rocblas_fill_17rocblas_diagonal_T1_iil.numbered_sgpr, 32
	.set _ZN9rocsolver6v33100L18trti2_kernel_smallILi44EdPdEEv13rocblas_fill_17rocblas_diagonal_T1_iil.num_named_barrier, 0
	.set _ZN9rocsolver6v33100L18trti2_kernel_smallILi44EdPdEEv13rocblas_fill_17rocblas_diagonal_T1_iil.private_seg_size, 368
	.set _ZN9rocsolver6v33100L18trti2_kernel_smallILi44EdPdEEv13rocblas_fill_17rocblas_diagonal_T1_iil.uses_vcc, 1
	.set _ZN9rocsolver6v33100L18trti2_kernel_smallILi44EdPdEEv13rocblas_fill_17rocblas_diagonal_T1_iil.uses_flat_scratch, 0
	.set _ZN9rocsolver6v33100L18trti2_kernel_smallILi44EdPdEEv13rocblas_fill_17rocblas_diagonal_T1_iil.has_dyn_sized_stack, 0
	.set _ZN9rocsolver6v33100L18trti2_kernel_smallILi44EdPdEEv13rocblas_fill_17rocblas_diagonal_T1_iil.has_recursion, 0
	.set _ZN9rocsolver6v33100L18trti2_kernel_smallILi44EdPdEEv13rocblas_fill_17rocblas_diagonal_T1_iil.has_indirect_call, 0
	.section	.AMDGPU.csdata,"",@progbits
; Kernel info:
; codeLenInByte = 20900
; TotalNumSgprs: 38
; NumVgprs: 102
; NumAgprs: 0
; TotalNumVgprs: 102
; ScratchSize: 368
; MemoryBound: 0
; FloatMode: 240
; IeeeMode: 1
; LDSByteSize: 704 bytes/workgroup (compile time only)
; SGPRBlocks: 4
; VGPRBlocks: 12
; NumSGPRsForWavesPerEU: 38
; NumVGPRsForWavesPerEU: 102
; AccumOffset: 104
; Occupancy: 4
; WaveLimiterHint : 0
; COMPUTE_PGM_RSRC2:SCRATCH_EN: 1
; COMPUTE_PGM_RSRC2:USER_SGPR: 2
; COMPUTE_PGM_RSRC2:TRAP_HANDLER: 0
; COMPUTE_PGM_RSRC2:TGID_X_EN: 1
; COMPUTE_PGM_RSRC2:TGID_Y_EN: 0
; COMPUTE_PGM_RSRC2:TGID_Z_EN: 0
; COMPUTE_PGM_RSRC2:TIDIG_COMP_CNT: 0
; COMPUTE_PGM_RSRC3_GFX90A:ACCUM_OFFSET: 25
; COMPUTE_PGM_RSRC3_GFX90A:TG_SPLIT: 0
	.section	.text._ZN9rocsolver6v33100L18trti2_kernel_smallILi45EdPdEEv13rocblas_fill_17rocblas_diagonal_T1_iil,"axG",@progbits,_ZN9rocsolver6v33100L18trti2_kernel_smallILi45EdPdEEv13rocblas_fill_17rocblas_diagonal_T1_iil,comdat
	.globl	_ZN9rocsolver6v33100L18trti2_kernel_smallILi45EdPdEEv13rocblas_fill_17rocblas_diagonal_T1_iil ; -- Begin function _ZN9rocsolver6v33100L18trti2_kernel_smallILi45EdPdEEv13rocblas_fill_17rocblas_diagonal_T1_iil
	.p2align	8
	.type	_ZN9rocsolver6v33100L18trti2_kernel_smallILi45EdPdEEv13rocblas_fill_17rocblas_diagonal_T1_iil,@function
_ZN9rocsolver6v33100L18trti2_kernel_smallILi45EdPdEEv13rocblas_fill_17rocblas_diagonal_T1_iil: ; @_ZN9rocsolver6v33100L18trti2_kernel_smallILi45EdPdEEv13rocblas_fill_17rocblas_diagonal_T1_iil
; %bb.0:
	v_cmp_gt_u32_e32 vcc, 45, v0
	s_and_saveexec_b64 s[4:5], vcc
	s_cbranch_execz .LBB44_870
; %bb.1:
	s_load_dwordx8 s[4:11], s[0:1], 0x0
	s_ashr_i32 s3, s2, 31
	v_lshlrev_b32_e32 v10, 3, v0
	v_mov_b32_e32 v11, 0
	s_waitcnt lgkmcnt(0)
	s_ashr_i32 s1, s8, 31
	s_mov_b32 s0, s8
	s_mul_hi_u32 s8, s10, s2
	s_mul_i32 s3, s10, s3
	s_add_i32 s3, s8, s3
	s_mul_i32 s8, s11, s2
	s_add_i32 s3, s3, s8
	s_mul_i32 s2, s10, s2
	s_lshl_b64 s[2:3], s[2:3], 3
	s_add_u32 s2, s6, s2
	s_addc_u32 s3, s7, s3
	s_lshl_b64 s[0:1], s[0:1], 3
	s_add_u32 s0, s2, s0
	s_addc_u32 s1, s3, s1
	v_lshl_add_u64 v[2:3], s[0:1], 0, v[10:11]
	s_ashr_i32 s3, s9, 31
	s_mov_b32 s2, s9
	v_lshl_add_u64 v[4:5], s[2:3], 3, v[2:3]
	global_load_dwordx2 v[6:7], v10, s[0:1]
	global_load_dwordx2 v[8:9], v[4:5], off
	s_add_i32 s2, s9, s9
	s_cmpk_lg_i32 s5, 0x84
	s_cselect_b64 s[6:7], -1, 0
	s_cmpk_eq_i32 s5, 0x84
	s_waitcnt vmcnt(0)
	scratch_store_dwordx4 off, v[6:9], off
	s_nop 1
	v_add_u32_e32 v8, s2, v0
	v_add_u32_e32 v12, s9, v8
	v_ashrrev_i32_e32 v9, 31, v8
	v_ashrrev_i32_e32 v13, 31, v12
	v_lshl_add_u64 v[6:7], v[8:9], 3, s[0:1]
	v_lshl_add_u64 v[8:9], v[12:13], 3, s[0:1]
	global_load_dwordx2 v[14:15], v[6:7], off
	global_load_dwordx2 v[16:17], v[8:9], off
	s_waitcnt vmcnt(0)
	scratch_store_dwordx4 off, v[14:17], off offset:16
	s_nop 1
	v_add_u32_e32 v14, s9, v12
	v_add_u32_e32 v16, s9, v14
	v_ashrrev_i32_e32 v15, 31, v14
	v_ashrrev_i32_e32 v17, 31, v16
	v_lshl_add_u64 v[12:13], v[14:15], 3, s[0:1]
	v_lshl_add_u64 v[14:15], v[16:17], 3, s[0:1]
	global_load_dwordx2 v[18:19], v[12:13], off
	global_load_dwordx2 v[20:21], v[14:15], off
	s_waitcnt vmcnt(0)
	scratch_store_dwordx4 off, v[18:21], off offset:32
	;; [unrolled: 11-line block ×19, first 2 shown]
	s_nop 1
	v_add_u32_e32 v86, s9, v84
	v_ashrrev_i32_e32 v87, 31, v86
	v_lshl_add_u64 v[84:85], v[86:87], 3, s[0:1]
	v_add_u32_e32 v86, s9, v86
	v_ashrrev_i32_e32 v87, 31, v86
	v_lshl_add_u64 v[88:89], v[86:87], 3, s[0:1]
	global_load_dwordx2 v[90:91], v[84:85], off
	global_load_dwordx2 v[92:93], v[88:89], off
	v_add_u32_e32 v86, s9, v86
	v_ashrrev_i32_e32 v87, 31, v86
	s_waitcnt vmcnt(0)
	scratch_store_dwordx4 off, v[90:93], off offset:320
	s_nop 1
	v_lshl_add_u64 v[90:91], v[86:87], 3, s[0:1]
	v_add_u32_e32 v86, s9, v86
	v_ashrrev_i32_e32 v87, 31, v86
	v_lshl_add_u64 v[92:93], v[86:87], 3, s[0:1]
	global_load_dwordx2 v[94:95], v[90:91], off
	global_load_dwordx2 v[96:97], v[92:93], off
	v_add_u32_e32 v86, s9, v86
	v_ashrrev_i32_e32 v87, 31, v86
	v_lshl_add_u64 v[86:87], v[86:87], 3, s[0:1]
	s_waitcnt vmcnt(0)
	scratch_store_dwordx4 off, v[94:97], off offset:336
	global_load_dwordx2 v[94:95], v[86:87], off
	s_waitcnt vmcnt(0)
	scratch_store_dwordx2 off, v[94:95], off offset:352
	v_mov_b64_e32 v[94:95], -1.0
	s_cbranch_scc1 .LBB44_3
; %bb.2:
	scratch_load_dwordx2 v[94:95], v10, off
	s_waitcnt vmcnt(0)
	v_div_scale_f64 v[96:97], s[0:1], v[94:95], v[94:95], 1.0
	v_rcp_f64_e32 v[98:99], v[96:97]
	v_div_scale_f64 v[100:101], vcc, 1.0, v[94:95], 1.0
	v_fma_f64 v[102:103], -v[96:97], v[98:99], 1.0
	v_fmac_f64_e32 v[98:99], v[98:99], v[102:103]
	v_fma_f64 v[102:103], -v[96:97], v[98:99], 1.0
	v_fmac_f64_e32 v[98:99], v[98:99], v[102:103]
	v_mul_f64 v[102:103], v[100:101], v[98:99]
	v_fma_f64 v[96:97], -v[96:97], v[102:103], v[100:101]
	v_div_fmas_f64 v[96:97], v[96:97], v[98:99], v[102:103]
	v_div_fixup_f64 v[94:95], v[96:97], v[94:95], 1.0
	scratch_store_dwordx2 v10, v[94:95], off
	v_xor_b32_e32 v95, 0x80000000, v95
.LBB44_3:
	s_cmpk_eq_i32 s4, 0x79
	v_add_u32_e32 v1, 0x170, v10
	v_mov_b32_e32 v11, v10
	s_mov_b64 s[0:1], -1
	ds_write_b64 v10, v[94:95]
	s_cbranch_scc1 .LBB44_437
; %bb.4:
	scratch_load_dwordx2 v[94:95], off, off offset:344
	s_movk_i32 s8, 0x50
	s_movk_i32 s9, 0x60
	;; [unrolled: 1-line block ×17, first 2 shown]
	v_cmp_eq_u32_e64 s[0:1], 44, v0
	s_waitcnt vmcnt(0)
	ds_write_b64 v1, v[94:95]
	s_waitcnt lgkmcnt(0)
	; wave barrier
	s_and_saveexec_b64 s[2:3], s[0:1]
	s_cbranch_execz .LBB44_10
; %bb.5:
	s_and_b64 vcc, exec, s[6:7]
	s_cbranch_vccz .LBB44_7
; %bb.6:
	scratch_load_dwordx2 v[94:95], v11, off
	ds_read_b64 v[96:97], v1
	s_waitcnt vmcnt(0) lgkmcnt(0)
	v_mul_f64 v[94:95], v[94:95], v[96:97]
	s_cbranch_execz .LBB44_8
	s_branch .LBB44_9
.LBB44_7:
                                        ; implicit-def: $vgpr94_vgpr95
.LBB44_8:
	ds_read_b64 v[94:95], v1
.LBB44_9:
	v_mov_b32_e32 v96, 0
	ds_read_b64 v[96:97], v96 offset:344
	s_waitcnt lgkmcnt(0)
	v_mul_f64 v[94:95], v[94:95], v[96:97]
	scratch_store_dwordx2 off, v[94:95], off offset:344
.LBB44_10:
	s_or_b64 exec, exec, s[2:3]
	scratch_load_dwordx2 v[94:95], off, off offset:336
	s_mov_b32 s10, 16
	s_mov_b32 s11, 32
	s_mov_b32 s12, 48
	s_mov_b32 s13, 64
	s_mov_b32 s14, s8
	s_mov_b32 s15, s9
	v_cmp_lt_u32_e64 s[4:5], 42, v0
	s_waitcnt vmcnt(0)
	ds_write_b64 v1, v[94:95]
	s_waitcnt lgkmcnt(0)
	; wave barrier
	s_and_saveexec_b64 s[2:3], s[4:5]
	s_cbranch_execz .LBB44_16
; %bb.11:
	s_andn2_b64 vcc, exec, s[6:7]
	s_cbranch_vccnz .LBB44_13
; %bb.12:
	scratch_load_dwordx2 v[94:95], v11, off
	ds_read_b64 v[96:97], v1
	s_waitcnt vmcnt(0) lgkmcnt(0)
	v_mul_f64 v[94:95], v[94:95], v[96:97]
	s_cbranch_execz .LBB44_14
	s_branch .LBB44_15
.LBB44_13:
                                        ; implicit-def: $vgpr94_vgpr95
.LBB44_14:
	ds_read_b64 v[94:95], v1
.LBB44_15:
	scratch_load_dwordx2 v[100:101], off, off offset:344
	v_mov_b32_e32 v96, 0
	ds_read2_b64 v[96:99], v96 offset0:42 offset1:89
	s_waitcnt vmcnt(0) lgkmcnt(0)
	v_fma_f64 v[98:99], v[100:101], v[98:99], v[94:95]
	v_cndmask_b32_e64 v95, v95, v99, s[0:1]
	v_cndmask_b32_e64 v94, v94, v98, s[0:1]
	v_mul_f64 v[94:95], v[94:95], v[96:97]
	scratch_store_dwordx2 off, v[94:95], off offset:336
.LBB44_16:
	s_or_b64 exec, exec, s[2:3]
	scratch_load_dwordx2 v[94:95], off, off offset:328
	v_cmp_lt_u32_e64 s[2:3], 41, v0
	s_waitcnt vmcnt(0)
	ds_write_b64 v1, v[94:95]
	s_waitcnt lgkmcnt(0)
	; wave barrier
	s_and_saveexec_b64 s[0:1], s[2:3]
	s_cbranch_execz .LBB44_26
; %bb.17:
	s_andn2_b64 vcc, exec, s[6:7]
	s_cbranch_vccnz .LBB44_19
; %bb.18:
	scratch_load_dwordx2 v[94:95], v11, off
	ds_read_b64 v[96:97], v1
	s_waitcnt vmcnt(0) lgkmcnt(0)
	v_mul_f64 v[94:95], v[94:95], v[96:97]
	s_cbranch_execz .LBB44_20
	s_branch .LBB44_21
.LBB44_19:
                                        ; implicit-def: $vgpr94_vgpr95
.LBB44_20:
	ds_read_b64 v[94:95], v1
.LBB44_21:
	s_and_saveexec_b64 s[8:9], s[4:5]
	s_cbranch_execz .LBB44_25
; %bb.22:
	v_subrev_u32_e32 v96, 42, v0
	s_movk_i32 s31, 0x2c0
	s_mov_b64 s[4:5], 0
.LBB44_23:                              ; =>This Inner Loop Header: Depth=1
	scratch_load_dwordx2 v[98:99], off, s30
	v_mov_b32_e32 v97, s31
	ds_read_b64 v[100:101], v97
	v_add_u32_e32 v96, -1, v96
	s_add_i32 s31, s31, 8
	s_add_i32 s30, s30, 8
	v_cmp_eq_u32_e32 vcc, 0, v96
	s_or_b64 s[4:5], vcc, s[4:5]
	s_waitcnt vmcnt(0) lgkmcnt(0)
	v_fmac_f64_e32 v[94:95], v[98:99], v[100:101]
	s_andn2_b64 exec, exec, s[4:5]
	s_cbranch_execnz .LBB44_23
; %bb.24:
	s_or_b64 exec, exec, s[4:5]
.LBB44_25:
	s_or_b64 exec, exec, s[8:9]
	v_mov_b32_e32 v96, 0
	ds_read_b64 v[96:97], v96 offset:328
	s_waitcnt lgkmcnt(0)
	v_mul_f64 v[94:95], v[94:95], v[96:97]
	scratch_store_dwordx2 off, v[94:95], off offset:328
.LBB44_26:
	s_or_b64 exec, exec, s[0:1]
	scratch_load_dwordx2 v[94:95], off, off offset:320
	v_cmp_lt_u32_e64 s[0:1], 40, v0
	s_waitcnt vmcnt(0)
	ds_write_b64 v1, v[94:95]
	s_waitcnt lgkmcnt(0)
	; wave barrier
	s_and_saveexec_b64 s[4:5], s[0:1]
	s_cbranch_execz .LBB44_36
; %bb.27:
	s_andn2_b64 vcc, exec, s[6:7]
	s_cbranch_vccnz .LBB44_29
; %bb.28:
	scratch_load_dwordx2 v[94:95], v11, off
	ds_read_b64 v[96:97], v1
	s_waitcnt vmcnt(0) lgkmcnt(0)
	v_mul_f64 v[94:95], v[94:95], v[96:97]
	s_cbranch_execz .LBB44_30
	s_branch .LBB44_31
.LBB44_29:
                                        ; implicit-def: $vgpr94_vgpr95
.LBB44_30:
	ds_read_b64 v[94:95], v1
.LBB44_31:
	s_and_saveexec_b64 s[8:9], s[2:3]
	s_cbranch_execz .LBB44_35
; %bb.32:
	s_movk_i32 s30, 0x148
	v_subrev_u32_e32 v96, 41, v0
	s_movk_i32 s31, 0x2b8
	s_mov_b64 s[2:3], 0
.LBB44_33:                              ; =>This Inner Loop Header: Depth=1
	scratch_load_dwordx2 v[98:99], off, s30
	v_mov_b32_e32 v97, s31
	ds_read_b64 v[100:101], v97
	v_add_u32_e32 v96, -1, v96
	s_add_i32 s31, s31, 8
	s_add_i32 s30, s30, 8
	v_cmp_eq_u32_e32 vcc, 0, v96
	s_or_b64 s[2:3], vcc, s[2:3]
	s_waitcnt vmcnt(0) lgkmcnt(0)
	v_fmac_f64_e32 v[94:95], v[98:99], v[100:101]
	s_andn2_b64 exec, exec, s[2:3]
	s_cbranch_execnz .LBB44_33
; %bb.34:
	s_or_b64 exec, exec, s[2:3]
.LBB44_35:
	s_or_b64 exec, exec, s[8:9]
	v_mov_b32_e32 v96, 0
	ds_read_b64 v[96:97], v96 offset:320
	s_waitcnt lgkmcnt(0)
	v_mul_f64 v[94:95], v[94:95], v[96:97]
	scratch_store_dwordx2 off, v[94:95], off offset:320
.LBB44_36:
	s_or_b64 exec, exec, s[4:5]
	scratch_load_dwordx2 v[94:95], off, off offset:312
	v_cmp_lt_u32_e64 s[2:3], 39, v0
	s_waitcnt vmcnt(0)
	ds_write_b64 v1, v[94:95]
	s_waitcnt lgkmcnt(0)
	; wave barrier
	s_and_saveexec_b64 s[4:5], s[2:3]
	s_cbranch_execz .LBB44_46
; %bb.37:
	s_andn2_b64 vcc, exec, s[6:7]
	s_cbranch_vccnz .LBB44_39
; %bb.38:
	scratch_load_dwordx2 v[94:95], v11, off
	ds_read_b64 v[96:97], v1
	s_waitcnt vmcnt(0) lgkmcnt(0)
	v_mul_f64 v[94:95], v[94:95], v[96:97]
	s_cbranch_execz .LBB44_40
	s_branch .LBB44_41
.LBB44_39:
                                        ; implicit-def: $vgpr94_vgpr95
.LBB44_40:
	ds_read_b64 v[94:95], v1
.LBB44_41:
	s_and_saveexec_b64 s[8:9], s[0:1]
	s_cbranch_execz .LBB44_45
; %bb.42:
	v_subrev_u32_e32 v96, 40, v0
	s_movk_i32 s30, 0x2b0
	s_mov_b64 s[0:1], 0
.LBB44_43:                              ; =>This Inner Loop Header: Depth=1
	scratch_load_dwordx2 v[98:99], off, s29
	v_mov_b32_e32 v97, s30
	ds_read_b64 v[100:101], v97
	v_add_u32_e32 v96, -1, v96
	s_add_i32 s30, s30, 8
	s_add_i32 s29, s29, 8
	v_cmp_eq_u32_e32 vcc, 0, v96
	s_or_b64 s[0:1], vcc, s[0:1]
	s_waitcnt vmcnt(0) lgkmcnt(0)
	v_fmac_f64_e32 v[94:95], v[98:99], v[100:101]
	s_andn2_b64 exec, exec, s[0:1]
	s_cbranch_execnz .LBB44_43
; %bb.44:
	s_or_b64 exec, exec, s[0:1]
.LBB44_45:
	s_or_b64 exec, exec, s[8:9]
	v_mov_b32_e32 v96, 0
	ds_read_b64 v[96:97], v96 offset:312
	s_waitcnt lgkmcnt(0)
	v_mul_f64 v[94:95], v[94:95], v[96:97]
	scratch_store_dwordx2 off, v[94:95], off offset:312
.LBB44_46:
	s_or_b64 exec, exec, s[4:5]
	scratch_load_dwordx2 v[94:95], off, off offset:304
	v_cmp_lt_u32_e64 s[0:1], 38, v0
	s_waitcnt vmcnt(0)
	ds_write_b64 v1, v[94:95]
	s_waitcnt lgkmcnt(0)
	; wave barrier
	s_and_saveexec_b64 s[4:5], s[0:1]
	s_cbranch_execz .LBB44_56
; %bb.47:
	s_andn2_b64 vcc, exec, s[6:7]
	s_cbranch_vccnz .LBB44_49
; %bb.48:
	scratch_load_dwordx2 v[94:95], v11, off
	ds_read_b64 v[96:97], v1
	s_waitcnt vmcnt(0) lgkmcnt(0)
	v_mul_f64 v[94:95], v[94:95], v[96:97]
	s_cbranch_execz .LBB44_50
	s_branch .LBB44_51
.LBB44_49:
                                        ; implicit-def: $vgpr94_vgpr95
.LBB44_50:
	ds_read_b64 v[94:95], v1
.LBB44_51:
	s_and_saveexec_b64 s[8:9], s[2:3]
	s_cbranch_execz .LBB44_55
; %bb.52:
	s_movk_i32 s29, 0x138
	v_subrev_u32_e32 v96, 39, v0
	s_movk_i32 s30, 0x2a8
	s_mov_b64 s[2:3], 0
.LBB44_53:                              ; =>This Inner Loop Header: Depth=1
	scratch_load_dwordx2 v[98:99], off, s29
	v_mov_b32_e32 v97, s30
	ds_read_b64 v[100:101], v97
	v_add_u32_e32 v96, -1, v96
	s_add_i32 s30, s30, 8
	s_add_i32 s29, s29, 8
	v_cmp_eq_u32_e32 vcc, 0, v96
	s_or_b64 s[2:3], vcc, s[2:3]
	s_waitcnt vmcnt(0) lgkmcnt(0)
	v_fmac_f64_e32 v[94:95], v[98:99], v[100:101]
	s_andn2_b64 exec, exec, s[2:3]
	s_cbranch_execnz .LBB44_53
; %bb.54:
	s_or_b64 exec, exec, s[2:3]
.LBB44_55:
	s_or_b64 exec, exec, s[8:9]
	v_mov_b32_e32 v96, 0
	ds_read_b64 v[96:97], v96 offset:304
	s_waitcnt lgkmcnt(0)
	v_mul_f64 v[94:95], v[94:95], v[96:97]
	scratch_store_dwordx2 off, v[94:95], off offset:304
.LBB44_56:
	s_or_b64 exec, exec, s[4:5]
	scratch_load_dwordx2 v[94:95], off, off offset:296
	v_cmp_lt_u32_e64 s[2:3], 37, v0
	s_waitcnt vmcnt(0)
	ds_write_b64 v1, v[94:95]
	s_waitcnt lgkmcnt(0)
	; wave barrier
	s_and_saveexec_b64 s[4:5], s[2:3]
	s_cbranch_execz .LBB44_66
; %bb.57:
	s_andn2_b64 vcc, exec, s[6:7]
	s_cbranch_vccnz .LBB44_59
; %bb.58:
	scratch_load_dwordx2 v[94:95], v11, off
	ds_read_b64 v[96:97], v1
	s_waitcnt vmcnt(0) lgkmcnt(0)
	v_mul_f64 v[94:95], v[94:95], v[96:97]
	s_cbranch_execz .LBB44_60
	s_branch .LBB44_61
.LBB44_59:
                                        ; implicit-def: $vgpr94_vgpr95
.LBB44_60:
	ds_read_b64 v[94:95], v1
.LBB44_61:
	s_and_saveexec_b64 s[8:9], s[0:1]
	s_cbranch_execz .LBB44_65
; %bb.62:
	v_subrev_u32_e32 v96, 38, v0
	s_movk_i32 s29, 0x2a0
	s_mov_b64 s[0:1], 0
.LBB44_63:                              ; =>This Inner Loop Header: Depth=1
	scratch_load_dwordx2 v[98:99], off, s28
	v_mov_b32_e32 v97, s29
	ds_read_b64 v[100:101], v97
	v_add_u32_e32 v96, -1, v96
	s_add_i32 s29, s29, 8
	s_add_i32 s28, s28, 8
	v_cmp_eq_u32_e32 vcc, 0, v96
	s_or_b64 s[0:1], vcc, s[0:1]
	s_waitcnt vmcnt(0) lgkmcnt(0)
	v_fmac_f64_e32 v[94:95], v[98:99], v[100:101]
	s_andn2_b64 exec, exec, s[0:1]
	s_cbranch_execnz .LBB44_63
; %bb.64:
	s_or_b64 exec, exec, s[0:1]
.LBB44_65:
	s_or_b64 exec, exec, s[8:9]
	v_mov_b32_e32 v96, 0
	ds_read_b64 v[96:97], v96 offset:296
	s_waitcnt lgkmcnt(0)
	v_mul_f64 v[94:95], v[94:95], v[96:97]
	scratch_store_dwordx2 off, v[94:95], off offset:296
.LBB44_66:
	s_or_b64 exec, exec, s[4:5]
	scratch_load_dwordx2 v[94:95], off, off offset:288
	v_cmp_lt_u32_e64 s[0:1], 36, v0
	s_waitcnt vmcnt(0)
	ds_write_b64 v1, v[94:95]
	s_waitcnt lgkmcnt(0)
	; wave barrier
	s_and_saveexec_b64 s[4:5], s[0:1]
	s_cbranch_execz .LBB44_76
; %bb.67:
	s_andn2_b64 vcc, exec, s[6:7]
	s_cbranch_vccnz .LBB44_69
; %bb.68:
	scratch_load_dwordx2 v[94:95], v11, off
	ds_read_b64 v[96:97], v1
	s_waitcnt vmcnt(0) lgkmcnt(0)
	v_mul_f64 v[94:95], v[94:95], v[96:97]
	s_cbranch_execz .LBB44_70
	s_branch .LBB44_71
.LBB44_69:
                                        ; implicit-def: $vgpr94_vgpr95
.LBB44_70:
	ds_read_b64 v[94:95], v1
.LBB44_71:
	s_and_saveexec_b64 s[8:9], s[2:3]
	s_cbranch_execz .LBB44_75
; %bb.72:
	s_movk_i32 s28, 0x128
	v_subrev_u32_e32 v96, 37, v0
	s_movk_i32 s29, 0x298
	s_mov_b64 s[2:3], 0
.LBB44_73:                              ; =>This Inner Loop Header: Depth=1
	scratch_load_dwordx2 v[98:99], off, s28
	v_mov_b32_e32 v97, s29
	ds_read_b64 v[100:101], v97
	v_add_u32_e32 v96, -1, v96
	s_add_i32 s29, s29, 8
	s_add_i32 s28, s28, 8
	v_cmp_eq_u32_e32 vcc, 0, v96
	s_or_b64 s[2:3], vcc, s[2:3]
	s_waitcnt vmcnt(0) lgkmcnt(0)
	v_fmac_f64_e32 v[94:95], v[98:99], v[100:101]
	s_andn2_b64 exec, exec, s[2:3]
	s_cbranch_execnz .LBB44_73
; %bb.74:
	s_or_b64 exec, exec, s[2:3]
.LBB44_75:
	s_or_b64 exec, exec, s[8:9]
	v_mov_b32_e32 v96, 0
	ds_read_b64 v[96:97], v96 offset:288
	s_waitcnt lgkmcnt(0)
	v_mul_f64 v[94:95], v[94:95], v[96:97]
	scratch_store_dwordx2 off, v[94:95], off offset:288
.LBB44_76:
	s_or_b64 exec, exec, s[4:5]
	scratch_load_dwordx2 v[94:95], off, off offset:280
	v_cmp_lt_u32_e64 s[2:3], 35, v0
	s_waitcnt vmcnt(0)
	ds_write_b64 v1, v[94:95]
	s_waitcnt lgkmcnt(0)
	; wave barrier
	s_and_saveexec_b64 s[4:5], s[2:3]
	s_cbranch_execz .LBB44_86
; %bb.77:
	s_andn2_b64 vcc, exec, s[6:7]
	s_cbranch_vccnz .LBB44_79
; %bb.78:
	scratch_load_dwordx2 v[94:95], v11, off
	ds_read_b64 v[96:97], v1
	s_waitcnt vmcnt(0) lgkmcnt(0)
	v_mul_f64 v[94:95], v[94:95], v[96:97]
	s_cbranch_execz .LBB44_80
	s_branch .LBB44_81
.LBB44_79:
                                        ; implicit-def: $vgpr94_vgpr95
.LBB44_80:
	ds_read_b64 v[94:95], v1
.LBB44_81:
	s_and_saveexec_b64 s[8:9], s[0:1]
	s_cbranch_execz .LBB44_85
; %bb.82:
	v_subrev_u32_e32 v96, 36, v0
	s_movk_i32 s28, 0x290
	s_mov_b64 s[0:1], 0
.LBB44_83:                              ; =>This Inner Loop Header: Depth=1
	scratch_load_dwordx2 v[98:99], off, s27
	v_mov_b32_e32 v97, s28
	ds_read_b64 v[100:101], v97
	v_add_u32_e32 v96, -1, v96
	s_add_i32 s28, s28, 8
	s_add_i32 s27, s27, 8
	v_cmp_eq_u32_e32 vcc, 0, v96
	s_or_b64 s[0:1], vcc, s[0:1]
	s_waitcnt vmcnt(0) lgkmcnt(0)
	v_fmac_f64_e32 v[94:95], v[98:99], v[100:101]
	s_andn2_b64 exec, exec, s[0:1]
	s_cbranch_execnz .LBB44_83
; %bb.84:
	s_or_b64 exec, exec, s[0:1]
.LBB44_85:
	s_or_b64 exec, exec, s[8:9]
	v_mov_b32_e32 v96, 0
	ds_read_b64 v[96:97], v96 offset:280
	s_waitcnt lgkmcnt(0)
	v_mul_f64 v[94:95], v[94:95], v[96:97]
	scratch_store_dwordx2 off, v[94:95], off offset:280
.LBB44_86:
	s_or_b64 exec, exec, s[4:5]
	scratch_load_dwordx2 v[94:95], off, off offset:272
	v_cmp_lt_u32_e64 s[0:1], 34, v0
	s_waitcnt vmcnt(0)
	ds_write_b64 v1, v[94:95]
	s_waitcnt lgkmcnt(0)
	; wave barrier
	s_and_saveexec_b64 s[4:5], s[0:1]
	s_cbranch_execz .LBB44_96
; %bb.87:
	s_andn2_b64 vcc, exec, s[6:7]
	s_cbranch_vccnz .LBB44_89
; %bb.88:
	scratch_load_dwordx2 v[94:95], v11, off
	ds_read_b64 v[96:97], v1
	s_waitcnt vmcnt(0) lgkmcnt(0)
	v_mul_f64 v[94:95], v[94:95], v[96:97]
	s_cbranch_execz .LBB44_90
	s_branch .LBB44_91
.LBB44_89:
                                        ; implicit-def: $vgpr94_vgpr95
.LBB44_90:
	ds_read_b64 v[94:95], v1
.LBB44_91:
	s_and_saveexec_b64 s[8:9], s[2:3]
	s_cbranch_execz .LBB44_95
; %bb.92:
	s_movk_i32 s27, 0x118
	v_subrev_u32_e32 v96, 35, v0
	s_movk_i32 s28, 0x288
	s_mov_b64 s[2:3], 0
.LBB44_93:                              ; =>This Inner Loop Header: Depth=1
	scratch_load_dwordx2 v[98:99], off, s27
	v_mov_b32_e32 v97, s28
	ds_read_b64 v[100:101], v97
	v_add_u32_e32 v96, -1, v96
	s_add_i32 s28, s28, 8
	s_add_i32 s27, s27, 8
	v_cmp_eq_u32_e32 vcc, 0, v96
	s_or_b64 s[2:3], vcc, s[2:3]
	s_waitcnt vmcnt(0) lgkmcnt(0)
	v_fmac_f64_e32 v[94:95], v[98:99], v[100:101]
	s_andn2_b64 exec, exec, s[2:3]
	s_cbranch_execnz .LBB44_93
; %bb.94:
	s_or_b64 exec, exec, s[2:3]
.LBB44_95:
	s_or_b64 exec, exec, s[8:9]
	v_mov_b32_e32 v96, 0
	ds_read_b64 v[96:97], v96 offset:272
	s_waitcnt lgkmcnt(0)
	v_mul_f64 v[94:95], v[94:95], v[96:97]
	scratch_store_dwordx2 off, v[94:95], off offset:272
.LBB44_96:
	s_or_b64 exec, exec, s[4:5]
	scratch_load_dwordx2 v[94:95], off, off offset:264
	v_cmp_lt_u32_e64 s[2:3], 33, v0
	s_waitcnt vmcnt(0)
	ds_write_b64 v1, v[94:95]
	s_waitcnt lgkmcnt(0)
	; wave barrier
	s_and_saveexec_b64 s[4:5], s[2:3]
	s_cbranch_execz .LBB44_106
; %bb.97:
	s_andn2_b64 vcc, exec, s[6:7]
	s_cbranch_vccnz .LBB44_99
; %bb.98:
	scratch_load_dwordx2 v[94:95], v11, off
	ds_read_b64 v[96:97], v1
	s_waitcnt vmcnt(0) lgkmcnt(0)
	v_mul_f64 v[94:95], v[94:95], v[96:97]
	s_cbranch_execz .LBB44_100
	s_branch .LBB44_101
.LBB44_99:
                                        ; implicit-def: $vgpr94_vgpr95
.LBB44_100:
	ds_read_b64 v[94:95], v1
.LBB44_101:
	s_and_saveexec_b64 s[8:9], s[0:1]
	s_cbranch_execz .LBB44_105
; %bb.102:
	v_subrev_u32_e32 v96, 34, v0
	s_movk_i32 s27, 0x280
	s_mov_b64 s[0:1], 0
.LBB44_103:                             ; =>This Inner Loop Header: Depth=1
	scratch_load_dwordx2 v[98:99], off, s26
	v_mov_b32_e32 v97, s27
	ds_read_b64 v[100:101], v97
	v_add_u32_e32 v96, -1, v96
	s_add_i32 s27, s27, 8
	s_add_i32 s26, s26, 8
	v_cmp_eq_u32_e32 vcc, 0, v96
	s_or_b64 s[0:1], vcc, s[0:1]
	s_waitcnt vmcnt(0) lgkmcnt(0)
	v_fmac_f64_e32 v[94:95], v[98:99], v[100:101]
	s_andn2_b64 exec, exec, s[0:1]
	s_cbranch_execnz .LBB44_103
; %bb.104:
	s_or_b64 exec, exec, s[0:1]
.LBB44_105:
	s_or_b64 exec, exec, s[8:9]
	v_mov_b32_e32 v96, 0
	ds_read_b64 v[96:97], v96 offset:264
	s_waitcnt lgkmcnt(0)
	v_mul_f64 v[94:95], v[94:95], v[96:97]
	scratch_store_dwordx2 off, v[94:95], off offset:264
.LBB44_106:
	s_or_b64 exec, exec, s[4:5]
	scratch_load_dwordx2 v[94:95], off, off offset:256
	v_cmp_lt_u32_e64 s[0:1], 32, v0
	s_waitcnt vmcnt(0)
	ds_write_b64 v1, v[94:95]
	s_waitcnt lgkmcnt(0)
	; wave barrier
	s_and_saveexec_b64 s[4:5], s[0:1]
	s_cbranch_execz .LBB44_116
; %bb.107:
	s_andn2_b64 vcc, exec, s[6:7]
	s_cbranch_vccnz .LBB44_109
; %bb.108:
	scratch_load_dwordx2 v[94:95], v11, off
	ds_read_b64 v[96:97], v1
	s_waitcnt vmcnt(0) lgkmcnt(0)
	v_mul_f64 v[94:95], v[94:95], v[96:97]
	s_cbranch_execz .LBB44_110
	s_branch .LBB44_111
.LBB44_109:
                                        ; implicit-def: $vgpr94_vgpr95
.LBB44_110:
	ds_read_b64 v[94:95], v1
.LBB44_111:
	s_and_saveexec_b64 s[8:9], s[2:3]
	s_cbranch_execz .LBB44_115
; %bb.112:
	s_movk_i32 s26, 0x108
	v_subrev_u32_e32 v96, 33, v0
	s_movk_i32 s27, 0x278
	s_mov_b64 s[2:3], 0
.LBB44_113:                             ; =>This Inner Loop Header: Depth=1
	scratch_load_dwordx2 v[98:99], off, s26
	v_mov_b32_e32 v97, s27
	ds_read_b64 v[100:101], v97
	v_add_u32_e32 v96, -1, v96
	s_add_i32 s27, s27, 8
	s_add_i32 s26, s26, 8
	v_cmp_eq_u32_e32 vcc, 0, v96
	s_or_b64 s[2:3], vcc, s[2:3]
	s_waitcnt vmcnt(0) lgkmcnt(0)
	v_fmac_f64_e32 v[94:95], v[98:99], v[100:101]
	s_andn2_b64 exec, exec, s[2:3]
	s_cbranch_execnz .LBB44_113
; %bb.114:
	s_or_b64 exec, exec, s[2:3]
.LBB44_115:
	s_or_b64 exec, exec, s[8:9]
	v_mov_b32_e32 v96, 0
	ds_read_b64 v[96:97], v96 offset:256
	s_waitcnt lgkmcnt(0)
	v_mul_f64 v[94:95], v[94:95], v[96:97]
	scratch_store_dwordx2 off, v[94:95], off offset:256
.LBB44_116:
	s_or_b64 exec, exec, s[4:5]
	scratch_load_dwordx2 v[94:95], off, off offset:248
	v_cmp_lt_u32_e64 s[2:3], 31, v0
	s_waitcnt vmcnt(0)
	ds_write_b64 v1, v[94:95]
	s_waitcnt lgkmcnt(0)
	; wave barrier
	s_and_saveexec_b64 s[4:5], s[2:3]
	s_cbranch_execz .LBB44_126
; %bb.117:
	s_andn2_b64 vcc, exec, s[6:7]
	s_cbranch_vccnz .LBB44_119
; %bb.118:
	scratch_load_dwordx2 v[94:95], v11, off
	ds_read_b64 v[96:97], v1
	s_waitcnt vmcnt(0) lgkmcnt(0)
	v_mul_f64 v[94:95], v[94:95], v[96:97]
	s_cbranch_execz .LBB44_120
	s_branch .LBB44_121
.LBB44_119:
                                        ; implicit-def: $vgpr94_vgpr95
.LBB44_120:
	ds_read_b64 v[94:95], v1
.LBB44_121:
	s_and_saveexec_b64 s[8:9], s[0:1]
	s_cbranch_execz .LBB44_125
; %bb.122:
	v_subrev_u32_e32 v96, 32, v0
	s_movk_i32 s26, 0x270
	s_mov_b64 s[0:1], 0
.LBB44_123:                             ; =>This Inner Loop Header: Depth=1
	scratch_load_dwordx2 v[98:99], off, s25
	v_mov_b32_e32 v97, s26
	ds_read_b64 v[100:101], v97
	v_add_u32_e32 v96, -1, v96
	s_add_i32 s26, s26, 8
	s_add_i32 s25, s25, 8
	v_cmp_eq_u32_e32 vcc, 0, v96
	s_or_b64 s[0:1], vcc, s[0:1]
	s_waitcnt vmcnt(0) lgkmcnt(0)
	v_fmac_f64_e32 v[94:95], v[98:99], v[100:101]
	s_andn2_b64 exec, exec, s[0:1]
	s_cbranch_execnz .LBB44_123
; %bb.124:
	s_or_b64 exec, exec, s[0:1]
.LBB44_125:
	s_or_b64 exec, exec, s[8:9]
	v_mov_b32_e32 v96, 0
	ds_read_b64 v[96:97], v96 offset:248
	s_waitcnt lgkmcnt(0)
	v_mul_f64 v[94:95], v[94:95], v[96:97]
	scratch_store_dwordx2 off, v[94:95], off offset:248
.LBB44_126:
	s_or_b64 exec, exec, s[4:5]
	scratch_load_dwordx2 v[94:95], off, off offset:240
	v_cmp_lt_u32_e64 s[0:1], 30, v0
	s_waitcnt vmcnt(0)
	ds_write_b64 v1, v[94:95]
	s_waitcnt lgkmcnt(0)
	; wave barrier
	s_and_saveexec_b64 s[4:5], s[0:1]
	s_cbranch_execz .LBB44_136
; %bb.127:
	s_andn2_b64 vcc, exec, s[6:7]
	s_cbranch_vccnz .LBB44_129
; %bb.128:
	scratch_load_dwordx2 v[94:95], v11, off
	ds_read_b64 v[96:97], v1
	s_waitcnt vmcnt(0) lgkmcnt(0)
	v_mul_f64 v[94:95], v[94:95], v[96:97]
	s_cbranch_execz .LBB44_130
	s_branch .LBB44_131
.LBB44_129:
                                        ; implicit-def: $vgpr94_vgpr95
.LBB44_130:
	ds_read_b64 v[94:95], v1
.LBB44_131:
	s_and_saveexec_b64 s[8:9], s[2:3]
	s_cbranch_execz .LBB44_135
; %bb.132:
	s_movk_i32 s25, 0xf8
	v_subrev_u32_e32 v96, 31, v0
	s_movk_i32 s26, 0x268
	s_mov_b64 s[2:3], 0
.LBB44_133:                             ; =>This Inner Loop Header: Depth=1
	scratch_load_dwordx2 v[98:99], off, s25
	v_mov_b32_e32 v97, s26
	ds_read_b64 v[100:101], v97
	v_add_u32_e32 v96, -1, v96
	s_add_i32 s26, s26, 8
	s_add_i32 s25, s25, 8
	v_cmp_eq_u32_e32 vcc, 0, v96
	s_or_b64 s[2:3], vcc, s[2:3]
	s_waitcnt vmcnt(0) lgkmcnt(0)
	v_fmac_f64_e32 v[94:95], v[98:99], v[100:101]
	s_andn2_b64 exec, exec, s[2:3]
	s_cbranch_execnz .LBB44_133
; %bb.134:
	s_or_b64 exec, exec, s[2:3]
.LBB44_135:
	s_or_b64 exec, exec, s[8:9]
	v_mov_b32_e32 v96, 0
	ds_read_b64 v[96:97], v96 offset:240
	s_waitcnt lgkmcnt(0)
	v_mul_f64 v[94:95], v[94:95], v[96:97]
	scratch_store_dwordx2 off, v[94:95], off offset:240
.LBB44_136:
	s_or_b64 exec, exec, s[4:5]
	scratch_load_dwordx2 v[94:95], off, off offset:232
	v_cmp_lt_u32_e64 s[2:3], 29, v0
	s_waitcnt vmcnt(0)
	ds_write_b64 v1, v[94:95]
	s_waitcnt lgkmcnt(0)
	; wave barrier
	s_and_saveexec_b64 s[4:5], s[2:3]
	s_cbranch_execz .LBB44_146
; %bb.137:
	s_andn2_b64 vcc, exec, s[6:7]
	s_cbranch_vccnz .LBB44_139
; %bb.138:
	scratch_load_dwordx2 v[94:95], v11, off
	ds_read_b64 v[96:97], v1
	s_waitcnt vmcnt(0) lgkmcnt(0)
	v_mul_f64 v[94:95], v[94:95], v[96:97]
	s_cbranch_execz .LBB44_140
	s_branch .LBB44_141
.LBB44_139:
                                        ; implicit-def: $vgpr94_vgpr95
.LBB44_140:
	ds_read_b64 v[94:95], v1
.LBB44_141:
	s_and_saveexec_b64 s[8:9], s[0:1]
	s_cbranch_execz .LBB44_145
; %bb.142:
	v_subrev_u32_e32 v96, 30, v0
	s_movk_i32 s25, 0x260
	s_mov_b64 s[0:1], 0
.LBB44_143:                             ; =>This Inner Loop Header: Depth=1
	scratch_load_dwordx2 v[98:99], off, s24
	v_mov_b32_e32 v97, s25
	ds_read_b64 v[100:101], v97
	v_add_u32_e32 v96, -1, v96
	s_add_i32 s25, s25, 8
	s_add_i32 s24, s24, 8
	v_cmp_eq_u32_e32 vcc, 0, v96
	s_or_b64 s[0:1], vcc, s[0:1]
	s_waitcnt vmcnt(0) lgkmcnt(0)
	v_fmac_f64_e32 v[94:95], v[98:99], v[100:101]
	s_andn2_b64 exec, exec, s[0:1]
	s_cbranch_execnz .LBB44_143
; %bb.144:
	s_or_b64 exec, exec, s[0:1]
.LBB44_145:
	s_or_b64 exec, exec, s[8:9]
	v_mov_b32_e32 v96, 0
	ds_read_b64 v[96:97], v96 offset:232
	s_waitcnt lgkmcnt(0)
	v_mul_f64 v[94:95], v[94:95], v[96:97]
	scratch_store_dwordx2 off, v[94:95], off offset:232
.LBB44_146:
	s_or_b64 exec, exec, s[4:5]
	scratch_load_dwordx2 v[94:95], off, off offset:224
	v_cmp_lt_u32_e64 s[0:1], 28, v0
	s_waitcnt vmcnt(0)
	ds_write_b64 v1, v[94:95]
	s_waitcnt lgkmcnt(0)
	; wave barrier
	s_and_saveexec_b64 s[4:5], s[0:1]
	s_cbranch_execz .LBB44_156
; %bb.147:
	s_andn2_b64 vcc, exec, s[6:7]
	s_cbranch_vccnz .LBB44_149
; %bb.148:
	scratch_load_dwordx2 v[94:95], v11, off
	ds_read_b64 v[96:97], v1
	s_waitcnt vmcnt(0) lgkmcnt(0)
	v_mul_f64 v[94:95], v[94:95], v[96:97]
	s_cbranch_execz .LBB44_150
	s_branch .LBB44_151
.LBB44_149:
                                        ; implicit-def: $vgpr94_vgpr95
.LBB44_150:
	ds_read_b64 v[94:95], v1
.LBB44_151:
	s_and_saveexec_b64 s[8:9], s[2:3]
	s_cbranch_execz .LBB44_155
; %bb.152:
	s_movk_i32 s24, 0xe8
	v_subrev_u32_e32 v96, 29, v0
	s_movk_i32 s25, 0x258
	s_mov_b64 s[2:3], 0
.LBB44_153:                             ; =>This Inner Loop Header: Depth=1
	scratch_load_dwordx2 v[98:99], off, s24
	v_mov_b32_e32 v97, s25
	ds_read_b64 v[100:101], v97
	v_add_u32_e32 v96, -1, v96
	s_add_i32 s25, s25, 8
	s_add_i32 s24, s24, 8
	v_cmp_eq_u32_e32 vcc, 0, v96
	s_or_b64 s[2:3], vcc, s[2:3]
	s_waitcnt vmcnt(0) lgkmcnt(0)
	v_fmac_f64_e32 v[94:95], v[98:99], v[100:101]
	s_andn2_b64 exec, exec, s[2:3]
	s_cbranch_execnz .LBB44_153
; %bb.154:
	s_or_b64 exec, exec, s[2:3]
.LBB44_155:
	s_or_b64 exec, exec, s[8:9]
	v_mov_b32_e32 v96, 0
	ds_read_b64 v[96:97], v96 offset:224
	s_waitcnt lgkmcnt(0)
	v_mul_f64 v[94:95], v[94:95], v[96:97]
	scratch_store_dwordx2 off, v[94:95], off offset:224
.LBB44_156:
	s_or_b64 exec, exec, s[4:5]
	scratch_load_dwordx2 v[94:95], off, off offset:216
	v_cmp_lt_u32_e64 s[2:3], 27, v0
	s_waitcnt vmcnt(0)
	ds_write_b64 v1, v[94:95]
	s_waitcnt lgkmcnt(0)
	; wave barrier
	s_and_saveexec_b64 s[4:5], s[2:3]
	s_cbranch_execz .LBB44_166
; %bb.157:
	s_andn2_b64 vcc, exec, s[6:7]
	s_cbranch_vccnz .LBB44_159
; %bb.158:
	scratch_load_dwordx2 v[94:95], v11, off
	ds_read_b64 v[96:97], v1
	s_waitcnt vmcnt(0) lgkmcnt(0)
	v_mul_f64 v[94:95], v[94:95], v[96:97]
	s_cbranch_execz .LBB44_160
	s_branch .LBB44_161
.LBB44_159:
                                        ; implicit-def: $vgpr94_vgpr95
.LBB44_160:
	ds_read_b64 v[94:95], v1
.LBB44_161:
	s_and_saveexec_b64 s[8:9], s[0:1]
	s_cbranch_execz .LBB44_165
; %bb.162:
	v_subrev_u32_e32 v96, 28, v0
	s_movk_i32 s24, 0x250
	s_mov_b64 s[0:1], 0
.LBB44_163:                             ; =>This Inner Loop Header: Depth=1
	scratch_load_dwordx2 v[98:99], off, s23
	v_mov_b32_e32 v97, s24
	ds_read_b64 v[100:101], v97
	v_add_u32_e32 v96, -1, v96
	s_add_i32 s24, s24, 8
	s_add_i32 s23, s23, 8
	v_cmp_eq_u32_e32 vcc, 0, v96
	s_or_b64 s[0:1], vcc, s[0:1]
	s_waitcnt vmcnt(0) lgkmcnt(0)
	v_fmac_f64_e32 v[94:95], v[98:99], v[100:101]
	s_andn2_b64 exec, exec, s[0:1]
	s_cbranch_execnz .LBB44_163
; %bb.164:
	s_or_b64 exec, exec, s[0:1]
.LBB44_165:
	s_or_b64 exec, exec, s[8:9]
	v_mov_b32_e32 v96, 0
	ds_read_b64 v[96:97], v96 offset:216
	s_waitcnt lgkmcnt(0)
	v_mul_f64 v[94:95], v[94:95], v[96:97]
	scratch_store_dwordx2 off, v[94:95], off offset:216
.LBB44_166:
	s_or_b64 exec, exec, s[4:5]
	scratch_load_dwordx2 v[94:95], off, off offset:208
	v_cmp_lt_u32_e64 s[0:1], 26, v0
	s_waitcnt vmcnt(0)
	ds_write_b64 v1, v[94:95]
	s_waitcnt lgkmcnt(0)
	; wave barrier
	s_and_saveexec_b64 s[4:5], s[0:1]
	s_cbranch_execz .LBB44_176
; %bb.167:
	s_andn2_b64 vcc, exec, s[6:7]
	s_cbranch_vccnz .LBB44_169
; %bb.168:
	scratch_load_dwordx2 v[94:95], v11, off
	ds_read_b64 v[96:97], v1
	s_waitcnt vmcnt(0) lgkmcnt(0)
	v_mul_f64 v[94:95], v[94:95], v[96:97]
	s_cbranch_execz .LBB44_170
	s_branch .LBB44_171
.LBB44_169:
                                        ; implicit-def: $vgpr94_vgpr95
.LBB44_170:
	ds_read_b64 v[94:95], v1
.LBB44_171:
	s_and_saveexec_b64 s[8:9], s[2:3]
	s_cbranch_execz .LBB44_175
; %bb.172:
	s_movk_i32 s23, 0xd8
	v_subrev_u32_e32 v96, 27, v0
	s_movk_i32 s24, 0x248
	s_mov_b64 s[2:3], 0
.LBB44_173:                             ; =>This Inner Loop Header: Depth=1
	scratch_load_dwordx2 v[98:99], off, s23
	v_mov_b32_e32 v97, s24
	ds_read_b64 v[100:101], v97
	v_add_u32_e32 v96, -1, v96
	s_add_i32 s24, s24, 8
	s_add_i32 s23, s23, 8
	v_cmp_eq_u32_e32 vcc, 0, v96
	s_or_b64 s[2:3], vcc, s[2:3]
	s_waitcnt vmcnt(0) lgkmcnt(0)
	v_fmac_f64_e32 v[94:95], v[98:99], v[100:101]
	s_andn2_b64 exec, exec, s[2:3]
	s_cbranch_execnz .LBB44_173
; %bb.174:
	s_or_b64 exec, exec, s[2:3]
.LBB44_175:
	s_or_b64 exec, exec, s[8:9]
	v_mov_b32_e32 v96, 0
	ds_read_b64 v[96:97], v96 offset:208
	s_waitcnt lgkmcnt(0)
	v_mul_f64 v[94:95], v[94:95], v[96:97]
	scratch_store_dwordx2 off, v[94:95], off offset:208
.LBB44_176:
	s_or_b64 exec, exec, s[4:5]
	scratch_load_dwordx2 v[94:95], off, off offset:200
	v_cmp_lt_u32_e64 s[2:3], 25, v0
	s_waitcnt vmcnt(0)
	ds_write_b64 v1, v[94:95]
	s_waitcnt lgkmcnt(0)
	; wave barrier
	s_and_saveexec_b64 s[4:5], s[2:3]
	s_cbranch_execz .LBB44_186
; %bb.177:
	s_andn2_b64 vcc, exec, s[6:7]
	s_cbranch_vccnz .LBB44_179
; %bb.178:
	scratch_load_dwordx2 v[94:95], v11, off
	ds_read_b64 v[96:97], v1
	s_waitcnt vmcnt(0) lgkmcnt(0)
	v_mul_f64 v[94:95], v[94:95], v[96:97]
	s_cbranch_execz .LBB44_180
	s_branch .LBB44_181
.LBB44_179:
                                        ; implicit-def: $vgpr94_vgpr95
.LBB44_180:
	ds_read_b64 v[94:95], v1
.LBB44_181:
	s_and_saveexec_b64 s[8:9], s[0:1]
	s_cbranch_execz .LBB44_185
; %bb.182:
	v_subrev_u32_e32 v96, 26, v0
	s_movk_i32 s23, 0x240
	s_mov_b64 s[0:1], 0
.LBB44_183:                             ; =>This Inner Loop Header: Depth=1
	scratch_load_dwordx2 v[98:99], off, s22
	v_mov_b32_e32 v97, s23
	ds_read_b64 v[100:101], v97
	v_add_u32_e32 v96, -1, v96
	s_add_i32 s23, s23, 8
	s_add_i32 s22, s22, 8
	v_cmp_eq_u32_e32 vcc, 0, v96
	s_or_b64 s[0:1], vcc, s[0:1]
	s_waitcnt vmcnt(0) lgkmcnt(0)
	v_fmac_f64_e32 v[94:95], v[98:99], v[100:101]
	s_andn2_b64 exec, exec, s[0:1]
	s_cbranch_execnz .LBB44_183
; %bb.184:
	s_or_b64 exec, exec, s[0:1]
.LBB44_185:
	s_or_b64 exec, exec, s[8:9]
	v_mov_b32_e32 v96, 0
	ds_read_b64 v[96:97], v96 offset:200
	s_waitcnt lgkmcnt(0)
	v_mul_f64 v[94:95], v[94:95], v[96:97]
	scratch_store_dwordx2 off, v[94:95], off offset:200
.LBB44_186:
	s_or_b64 exec, exec, s[4:5]
	scratch_load_dwordx2 v[94:95], off, off offset:192
	v_cmp_lt_u32_e64 s[0:1], 24, v0
	s_waitcnt vmcnt(0)
	ds_write_b64 v1, v[94:95]
	s_waitcnt lgkmcnt(0)
	; wave barrier
	s_and_saveexec_b64 s[4:5], s[0:1]
	s_cbranch_execz .LBB44_196
; %bb.187:
	s_andn2_b64 vcc, exec, s[6:7]
	s_cbranch_vccnz .LBB44_189
; %bb.188:
	scratch_load_dwordx2 v[94:95], v11, off
	ds_read_b64 v[96:97], v1
	s_waitcnt vmcnt(0) lgkmcnt(0)
	v_mul_f64 v[94:95], v[94:95], v[96:97]
	s_cbranch_execz .LBB44_190
	s_branch .LBB44_191
.LBB44_189:
                                        ; implicit-def: $vgpr94_vgpr95
.LBB44_190:
	ds_read_b64 v[94:95], v1
.LBB44_191:
	s_and_saveexec_b64 s[8:9], s[2:3]
	s_cbranch_execz .LBB44_195
; %bb.192:
	s_movk_i32 s22, 0xc8
	v_subrev_u32_e32 v96, 25, v0
	s_movk_i32 s23, 0x238
	s_mov_b64 s[2:3], 0
.LBB44_193:                             ; =>This Inner Loop Header: Depth=1
	scratch_load_dwordx2 v[98:99], off, s22
	v_mov_b32_e32 v97, s23
	ds_read_b64 v[100:101], v97
	v_add_u32_e32 v96, -1, v96
	s_add_i32 s23, s23, 8
	s_add_i32 s22, s22, 8
	v_cmp_eq_u32_e32 vcc, 0, v96
	s_or_b64 s[2:3], vcc, s[2:3]
	s_waitcnt vmcnt(0) lgkmcnt(0)
	v_fmac_f64_e32 v[94:95], v[98:99], v[100:101]
	s_andn2_b64 exec, exec, s[2:3]
	s_cbranch_execnz .LBB44_193
; %bb.194:
	s_or_b64 exec, exec, s[2:3]
.LBB44_195:
	s_or_b64 exec, exec, s[8:9]
	v_mov_b32_e32 v96, 0
	ds_read_b64 v[96:97], v96 offset:192
	s_waitcnt lgkmcnt(0)
	v_mul_f64 v[94:95], v[94:95], v[96:97]
	scratch_store_dwordx2 off, v[94:95], off offset:192
.LBB44_196:
	s_or_b64 exec, exec, s[4:5]
	scratch_load_dwordx2 v[94:95], off, off offset:184
	v_cmp_lt_u32_e64 s[2:3], 23, v0
	s_waitcnt vmcnt(0)
	ds_write_b64 v1, v[94:95]
	s_waitcnt lgkmcnt(0)
	; wave barrier
	s_and_saveexec_b64 s[4:5], s[2:3]
	s_cbranch_execz .LBB44_206
; %bb.197:
	s_andn2_b64 vcc, exec, s[6:7]
	s_cbranch_vccnz .LBB44_199
; %bb.198:
	scratch_load_dwordx2 v[94:95], v11, off
	ds_read_b64 v[96:97], v1
	s_waitcnt vmcnt(0) lgkmcnt(0)
	v_mul_f64 v[94:95], v[94:95], v[96:97]
	s_cbranch_execz .LBB44_200
	s_branch .LBB44_201
.LBB44_199:
                                        ; implicit-def: $vgpr94_vgpr95
.LBB44_200:
	ds_read_b64 v[94:95], v1
.LBB44_201:
	s_and_saveexec_b64 s[8:9], s[0:1]
	s_cbranch_execz .LBB44_205
; %bb.202:
	v_subrev_u32_e32 v96, 24, v0
	s_movk_i32 s22, 0x230
	s_mov_b64 s[0:1], 0
.LBB44_203:                             ; =>This Inner Loop Header: Depth=1
	scratch_load_dwordx2 v[98:99], off, s21
	v_mov_b32_e32 v97, s22
	ds_read_b64 v[100:101], v97
	v_add_u32_e32 v96, -1, v96
	s_add_i32 s22, s22, 8
	s_add_i32 s21, s21, 8
	v_cmp_eq_u32_e32 vcc, 0, v96
	s_or_b64 s[0:1], vcc, s[0:1]
	s_waitcnt vmcnt(0) lgkmcnt(0)
	v_fmac_f64_e32 v[94:95], v[98:99], v[100:101]
	s_andn2_b64 exec, exec, s[0:1]
	s_cbranch_execnz .LBB44_203
; %bb.204:
	s_or_b64 exec, exec, s[0:1]
.LBB44_205:
	s_or_b64 exec, exec, s[8:9]
	v_mov_b32_e32 v96, 0
	ds_read_b64 v[96:97], v96 offset:184
	s_waitcnt lgkmcnt(0)
	v_mul_f64 v[94:95], v[94:95], v[96:97]
	scratch_store_dwordx2 off, v[94:95], off offset:184
.LBB44_206:
	s_or_b64 exec, exec, s[4:5]
	scratch_load_dwordx2 v[94:95], off, off offset:176
	v_cmp_lt_u32_e64 s[0:1], 22, v0
	s_waitcnt vmcnt(0)
	ds_write_b64 v1, v[94:95]
	s_waitcnt lgkmcnt(0)
	; wave barrier
	s_and_saveexec_b64 s[4:5], s[0:1]
	s_cbranch_execz .LBB44_216
; %bb.207:
	s_andn2_b64 vcc, exec, s[6:7]
	s_cbranch_vccnz .LBB44_209
; %bb.208:
	scratch_load_dwordx2 v[94:95], v11, off
	ds_read_b64 v[96:97], v1
	s_waitcnt vmcnt(0) lgkmcnt(0)
	v_mul_f64 v[94:95], v[94:95], v[96:97]
	s_cbranch_execz .LBB44_210
	s_branch .LBB44_211
.LBB44_209:
                                        ; implicit-def: $vgpr94_vgpr95
.LBB44_210:
	ds_read_b64 v[94:95], v1
.LBB44_211:
	s_and_saveexec_b64 s[8:9], s[2:3]
	s_cbranch_execz .LBB44_215
; %bb.212:
	s_movk_i32 s21, 0xb8
	v_subrev_u32_e32 v96, 23, v0
	s_movk_i32 s22, 0x228
	s_mov_b64 s[2:3], 0
.LBB44_213:                             ; =>This Inner Loop Header: Depth=1
	scratch_load_dwordx2 v[98:99], off, s21
	v_mov_b32_e32 v97, s22
	ds_read_b64 v[100:101], v97
	v_add_u32_e32 v96, -1, v96
	s_add_i32 s22, s22, 8
	s_add_i32 s21, s21, 8
	v_cmp_eq_u32_e32 vcc, 0, v96
	s_or_b64 s[2:3], vcc, s[2:3]
	s_waitcnt vmcnt(0) lgkmcnt(0)
	v_fmac_f64_e32 v[94:95], v[98:99], v[100:101]
	s_andn2_b64 exec, exec, s[2:3]
	s_cbranch_execnz .LBB44_213
; %bb.214:
	s_or_b64 exec, exec, s[2:3]
.LBB44_215:
	s_or_b64 exec, exec, s[8:9]
	v_mov_b32_e32 v96, 0
	ds_read_b64 v[96:97], v96 offset:176
	s_waitcnt lgkmcnt(0)
	v_mul_f64 v[94:95], v[94:95], v[96:97]
	scratch_store_dwordx2 off, v[94:95], off offset:176
.LBB44_216:
	s_or_b64 exec, exec, s[4:5]
	scratch_load_dwordx2 v[94:95], off, off offset:168
	v_cmp_lt_u32_e64 s[2:3], 21, v0
	s_waitcnt vmcnt(0)
	ds_write_b64 v1, v[94:95]
	s_waitcnt lgkmcnt(0)
	; wave barrier
	s_and_saveexec_b64 s[4:5], s[2:3]
	s_cbranch_execz .LBB44_226
; %bb.217:
	s_andn2_b64 vcc, exec, s[6:7]
	s_cbranch_vccnz .LBB44_219
; %bb.218:
	scratch_load_dwordx2 v[94:95], v11, off
	ds_read_b64 v[96:97], v1
	s_waitcnt vmcnt(0) lgkmcnt(0)
	v_mul_f64 v[94:95], v[94:95], v[96:97]
	s_cbranch_execz .LBB44_220
	s_branch .LBB44_221
.LBB44_219:
                                        ; implicit-def: $vgpr94_vgpr95
.LBB44_220:
	ds_read_b64 v[94:95], v1
.LBB44_221:
	s_and_saveexec_b64 s[8:9], s[0:1]
	s_cbranch_execz .LBB44_225
; %bb.222:
	v_subrev_u32_e32 v96, 22, v0
	s_movk_i32 s21, 0x220
	s_mov_b64 s[0:1], 0
.LBB44_223:                             ; =>This Inner Loop Header: Depth=1
	scratch_load_dwordx2 v[98:99], off, s20
	v_mov_b32_e32 v97, s21
	ds_read_b64 v[100:101], v97
	v_add_u32_e32 v96, -1, v96
	s_add_i32 s21, s21, 8
	s_add_i32 s20, s20, 8
	v_cmp_eq_u32_e32 vcc, 0, v96
	s_or_b64 s[0:1], vcc, s[0:1]
	s_waitcnt vmcnt(0) lgkmcnt(0)
	v_fmac_f64_e32 v[94:95], v[98:99], v[100:101]
	s_andn2_b64 exec, exec, s[0:1]
	s_cbranch_execnz .LBB44_223
; %bb.224:
	s_or_b64 exec, exec, s[0:1]
.LBB44_225:
	s_or_b64 exec, exec, s[8:9]
	v_mov_b32_e32 v96, 0
	ds_read_b64 v[96:97], v96 offset:168
	s_waitcnt lgkmcnt(0)
	v_mul_f64 v[94:95], v[94:95], v[96:97]
	scratch_store_dwordx2 off, v[94:95], off offset:168
.LBB44_226:
	s_or_b64 exec, exec, s[4:5]
	scratch_load_dwordx2 v[94:95], off, off offset:160
	v_cmp_lt_u32_e64 s[0:1], 20, v0
	s_waitcnt vmcnt(0)
	ds_write_b64 v1, v[94:95]
	s_waitcnt lgkmcnt(0)
	; wave barrier
	s_and_saveexec_b64 s[4:5], s[0:1]
	s_cbranch_execz .LBB44_236
; %bb.227:
	s_andn2_b64 vcc, exec, s[6:7]
	s_cbranch_vccnz .LBB44_229
; %bb.228:
	scratch_load_dwordx2 v[94:95], v11, off
	ds_read_b64 v[96:97], v1
	s_waitcnt vmcnt(0) lgkmcnt(0)
	v_mul_f64 v[94:95], v[94:95], v[96:97]
	s_cbranch_execz .LBB44_230
	s_branch .LBB44_231
.LBB44_229:
                                        ; implicit-def: $vgpr94_vgpr95
.LBB44_230:
	ds_read_b64 v[94:95], v1
.LBB44_231:
	s_and_saveexec_b64 s[8:9], s[2:3]
	s_cbranch_execz .LBB44_235
; %bb.232:
	s_movk_i32 s20, 0xa8
	v_subrev_u32_e32 v96, 21, v0
	s_movk_i32 s21, 0x218
	s_mov_b64 s[2:3], 0
.LBB44_233:                             ; =>This Inner Loop Header: Depth=1
	scratch_load_dwordx2 v[98:99], off, s20
	v_mov_b32_e32 v97, s21
	ds_read_b64 v[100:101], v97
	v_add_u32_e32 v96, -1, v96
	s_add_i32 s21, s21, 8
	s_add_i32 s20, s20, 8
	v_cmp_eq_u32_e32 vcc, 0, v96
	s_or_b64 s[2:3], vcc, s[2:3]
	s_waitcnt vmcnt(0) lgkmcnt(0)
	v_fmac_f64_e32 v[94:95], v[98:99], v[100:101]
	s_andn2_b64 exec, exec, s[2:3]
	s_cbranch_execnz .LBB44_233
; %bb.234:
	s_or_b64 exec, exec, s[2:3]
.LBB44_235:
	s_or_b64 exec, exec, s[8:9]
	v_mov_b32_e32 v96, 0
	ds_read_b64 v[96:97], v96 offset:160
	s_waitcnt lgkmcnt(0)
	v_mul_f64 v[94:95], v[94:95], v[96:97]
	scratch_store_dwordx2 off, v[94:95], off offset:160
.LBB44_236:
	s_or_b64 exec, exec, s[4:5]
	scratch_load_dwordx2 v[94:95], off, off offset:152
	v_cmp_lt_u32_e64 s[2:3], 19, v0
	s_waitcnt vmcnt(0)
	ds_write_b64 v1, v[94:95]
	s_waitcnt lgkmcnt(0)
	; wave barrier
	s_and_saveexec_b64 s[4:5], s[2:3]
	s_cbranch_execz .LBB44_246
; %bb.237:
	s_andn2_b64 vcc, exec, s[6:7]
	s_cbranch_vccnz .LBB44_239
; %bb.238:
	scratch_load_dwordx2 v[94:95], v11, off
	ds_read_b64 v[96:97], v1
	s_waitcnt vmcnt(0) lgkmcnt(0)
	v_mul_f64 v[94:95], v[94:95], v[96:97]
	s_cbranch_execz .LBB44_240
	s_branch .LBB44_241
.LBB44_239:
                                        ; implicit-def: $vgpr94_vgpr95
.LBB44_240:
	ds_read_b64 v[94:95], v1
.LBB44_241:
	s_and_saveexec_b64 s[8:9], s[0:1]
	s_cbranch_execz .LBB44_245
; %bb.242:
	v_subrev_u32_e32 v96, 20, v0
	s_movk_i32 s20, 0x210
	s_mov_b64 s[0:1], 0
.LBB44_243:                             ; =>This Inner Loop Header: Depth=1
	scratch_load_dwordx2 v[98:99], off, s19
	v_mov_b32_e32 v97, s20
	ds_read_b64 v[100:101], v97
	v_add_u32_e32 v96, -1, v96
	s_add_i32 s20, s20, 8
	s_add_i32 s19, s19, 8
	v_cmp_eq_u32_e32 vcc, 0, v96
	s_or_b64 s[0:1], vcc, s[0:1]
	s_waitcnt vmcnt(0) lgkmcnt(0)
	v_fmac_f64_e32 v[94:95], v[98:99], v[100:101]
	s_andn2_b64 exec, exec, s[0:1]
	s_cbranch_execnz .LBB44_243
; %bb.244:
	s_or_b64 exec, exec, s[0:1]
.LBB44_245:
	s_or_b64 exec, exec, s[8:9]
	v_mov_b32_e32 v96, 0
	ds_read_b64 v[96:97], v96 offset:152
	s_waitcnt lgkmcnt(0)
	v_mul_f64 v[94:95], v[94:95], v[96:97]
	scratch_store_dwordx2 off, v[94:95], off offset:152
.LBB44_246:
	s_or_b64 exec, exec, s[4:5]
	scratch_load_dwordx2 v[94:95], off, off offset:144
	v_cmp_lt_u32_e64 s[0:1], 18, v0
	s_waitcnt vmcnt(0)
	ds_write_b64 v1, v[94:95]
	s_waitcnt lgkmcnt(0)
	; wave barrier
	s_and_saveexec_b64 s[4:5], s[0:1]
	s_cbranch_execz .LBB44_256
; %bb.247:
	s_andn2_b64 vcc, exec, s[6:7]
	s_cbranch_vccnz .LBB44_249
; %bb.248:
	scratch_load_dwordx2 v[94:95], v11, off
	ds_read_b64 v[96:97], v1
	s_waitcnt vmcnt(0) lgkmcnt(0)
	v_mul_f64 v[94:95], v[94:95], v[96:97]
	s_cbranch_execz .LBB44_250
	s_branch .LBB44_251
.LBB44_249:
                                        ; implicit-def: $vgpr94_vgpr95
.LBB44_250:
	ds_read_b64 v[94:95], v1
.LBB44_251:
	s_and_saveexec_b64 s[8:9], s[2:3]
	s_cbranch_execz .LBB44_255
; %bb.252:
	s_movk_i32 s19, 0x98
	v_subrev_u32_e32 v96, 19, v0
	s_movk_i32 s20, 0x208
	s_mov_b64 s[2:3], 0
.LBB44_253:                             ; =>This Inner Loop Header: Depth=1
	scratch_load_dwordx2 v[98:99], off, s19
	v_mov_b32_e32 v97, s20
	ds_read_b64 v[100:101], v97
	v_add_u32_e32 v96, -1, v96
	s_add_i32 s20, s20, 8
	s_add_i32 s19, s19, 8
	v_cmp_eq_u32_e32 vcc, 0, v96
	s_or_b64 s[2:3], vcc, s[2:3]
	s_waitcnt vmcnt(0) lgkmcnt(0)
	v_fmac_f64_e32 v[94:95], v[98:99], v[100:101]
	s_andn2_b64 exec, exec, s[2:3]
	s_cbranch_execnz .LBB44_253
; %bb.254:
	s_or_b64 exec, exec, s[2:3]
.LBB44_255:
	s_or_b64 exec, exec, s[8:9]
	v_mov_b32_e32 v96, 0
	ds_read_b64 v[96:97], v96 offset:144
	s_waitcnt lgkmcnt(0)
	v_mul_f64 v[94:95], v[94:95], v[96:97]
	scratch_store_dwordx2 off, v[94:95], off offset:144
.LBB44_256:
	s_or_b64 exec, exec, s[4:5]
	scratch_load_dwordx2 v[94:95], off, off offset:136
	v_cmp_lt_u32_e64 s[2:3], 17, v0
	s_waitcnt vmcnt(0)
	ds_write_b64 v1, v[94:95]
	s_waitcnt lgkmcnt(0)
	; wave barrier
	s_and_saveexec_b64 s[4:5], s[2:3]
	s_cbranch_execz .LBB44_266
; %bb.257:
	s_andn2_b64 vcc, exec, s[6:7]
	s_cbranch_vccnz .LBB44_259
; %bb.258:
	scratch_load_dwordx2 v[94:95], v11, off
	ds_read_b64 v[96:97], v1
	s_waitcnt vmcnt(0) lgkmcnt(0)
	v_mul_f64 v[94:95], v[94:95], v[96:97]
	s_cbranch_execz .LBB44_260
	s_branch .LBB44_261
.LBB44_259:
                                        ; implicit-def: $vgpr94_vgpr95
.LBB44_260:
	ds_read_b64 v[94:95], v1
.LBB44_261:
	s_and_saveexec_b64 s[8:9], s[0:1]
	s_cbranch_execz .LBB44_265
; %bb.262:
	v_subrev_u32_e32 v96, 18, v0
	s_movk_i32 s19, 0x200
	s_mov_b64 s[0:1], 0
.LBB44_263:                             ; =>This Inner Loop Header: Depth=1
	scratch_load_dwordx2 v[98:99], off, s18
	v_mov_b32_e32 v97, s19
	ds_read_b64 v[100:101], v97
	v_add_u32_e32 v96, -1, v96
	s_add_i32 s19, s19, 8
	s_add_i32 s18, s18, 8
	v_cmp_eq_u32_e32 vcc, 0, v96
	s_or_b64 s[0:1], vcc, s[0:1]
	s_waitcnt vmcnt(0) lgkmcnt(0)
	v_fmac_f64_e32 v[94:95], v[98:99], v[100:101]
	s_andn2_b64 exec, exec, s[0:1]
	s_cbranch_execnz .LBB44_263
; %bb.264:
	s_or_b64 exec, exec, s[0:1]
.LBB44_265:
	s_or_b64 exec, exec, s[8:9]
	v_mov_b32_e32 v96, 0
	ds_read_b64 v[96:97], v96 offset:136
	s_waitcnt lgkmcnt(0)
	v_mul_f64 v[94:95], v[94:95], v[96:97]
	scratch_store_dwordx2 off, v[94:95], off offset:136
.LBB44_266:
	s_or_b64 exec, exec, s[4:5]
	scratch_load_dwordx2 v[94:95], off, off offset:128
	v_cmp_lt_u32_e64 s[0:1], 16, v0
	s_waitcnt vmcnt(0)
	ds_write_b64 v1, v[94:95]
	s_waitcnt lgkmcnt(0)
	; wave barrier
	s_and_saveexec_b64 s[4:5], s[0:1]
	s_cbranch_execz .LBB44_276
; %bb.267:
	s_andn2_b64 vcc, exec, s[6:7]
	s_cbranch_vccnz .LBB44_269
; %bb.268:
	scratch_load_dwordx2 v[94:95], v11, off
	ds_read_b64 v[96:97], v1
	s_waitcnt vmcnt(0) lgkmcnt(0)
	v_mul_f64 v[94:95], v[94:95], v[96:97]
	s_cbranch_execz .LBB44_270
	s_branch .LBB44_271
.LBB44_269:
                                        ; implicit-def: $vgpr94_vgpr95
.LBB44_270:
	ds_read_b64 v[94:95], v1
.LBB44_271:
	s_and_saveexec_b64 s[8:9], s[2:3]
	s_cbranch_execz .LBB44_275
; %bb.272:
	s_movk_i32 s18, 0x88
	v_subrev_u32_e32 v96, 17, v0
	s_movk_i32 s19, 0x1f8
	s_mov_b64 s[2:3], 0
.LBB44_273:                             ; =>This Inner Loop Header: Depth=1
	scratch_load_dwordx2 v[98:99], off, s18
	v_mov_b32_e32 v97, s19
	ds_read_b64 v[100:101], v97
	v_add_u32_e32 v96, -1, v96
	s_add_i32 s19, s19, 8
	s_add_i32 s18, s18, 8
	v_cmp_eq_u32_e32 vcc, 0, v96
	s_or_b64 s[2:3], vcc, s[2:3]
	s_waitcnt vmcnt(0) lgkmcnt(0)
	v_fmac_f64_e32 v[94:95], v[98:99], v[100:101]
	s_andn2_b64 exec, exec, s[2:3]
	s_cbranch_execnz .LBB44_273
; %bb.274:
	s_or_b64 exec, exec, s[2:3]
.LBB44_275:
	s_or_b64 exec, exec, s[8:9]
	v_mov_b32_e32 v96, 0
	ds_read_b64 v[96:97], v96 offset:128
	s_waitcnt lgkmcnt(0)
	v_mul_f64 v[94:95], v[94:95], v[96:97]
	scratch_store_dwordx2 off, v[94:95], off offset:128
.LBB44_276:
	s_or_b64 exec, exec, s[4:5]
	scratch_load_dwordx2 v[94:95], off, off offset:120
	v_cmp_lt_u32_e64 s[2:3], 15, v0
	s_waitcnt vmcnt(0)
	ds_write_b64 v1, v[94:95]
	s_waitcnt lgkmcnt(0)
	; wave barrier
	s_and_saveexec_b64 s[4:5], s[2:3]
	s_cbranch_execz .LBB44_286
; %bb.277:
	s_andn2_b64 vcc, exec, s[6:7]
	s_cbranch_vccnz .LBB44_279
; %bb.278:
	scratch_load_dwordx2 v[94:95], v11, off
	ds_read_b64 v[96:97], v1
	s_waitcnt vmcnt(0) lgkmcnt(0)
	v_mul_f64 v[94:95], v[94:95], v[96:97]
	s_cbranch_execz .LBB44_280
	s_branch .LBB44_281
.LBB44_279:
                                        ; implicit-def: $vgpr94_vgpr95
.LBB44_280:
	ds_read_b64 v[94:95], v1
.LBB44_281:
	s_and_saveexec_b64 s[8:9], s[0:1]
	s_cbranch_execz .LBB44_285
; %bb.282:
	v_add_u32_e32 v96, -16, v0
	s_movk_i32 s18, 0x1f0
	s_mov_b64 s[0:1], 0
.LBB44_283:                             ; =>This Inner Loop Header: Depth=1
	scratch_load_dwordx2 v[98:99], off, s17
	v_mov_b32_e32 v97, s18
	ds_read_b64 v[100:101], v97
	v_add_u32_e32 v96, -1, v96
	s_add_i32 s18, s18, 8
	s_add_i32 s17, s17, 8
	v_cmp_eq_u32_e32 vcc, 0, v96
	s_or_b64 s[0:1], vcc, s[0:1]
	s_waitcnt vmcnt(0) lgkmcnt(0)
	v_fmac_f64_e32 v[94:95], v[98:99], v[100:101]
	s_andn2_b64 exec, exec, s[0:1]
	s_cbranch_execnz .LBB44_283
; %bb.284:
	s_or_b64 exec, exec, s[0:1]
.LBB44_285:
	s_or_b64 exec, exec, s[8:9]
	v_mov_b32_e32 v96, 0
	ds_read_b64 v[96:97], v96 offset:120
	s_waitcnt lgkmcnt(0)
	v_mul_f64 v[94:95], v[94:95], v[96:97]
	scratch_store_dwordx2 off, v[94:95], off offset:120
.LBB44_286:
	s_or_b64 exec, exec, s[4:5]
	scratch_load_dwordx2 v[94:95], off, off offset:112
	v_cmp_lt_u32_e64 s[0:1], 14, v0
	s_waitcnt vmcnt(0)
	ds_write_b64 v1, v[94:95]
	s_waitcnt lgkmcnt(0)
	; wave barrier
	s_and_saveexec_b64 s[4:5], s[0:1]
	s_cbranch_execz .LBB44_296
; %bb.287:
	s_andn2_b64 vcc, exec, s[6:7]
	s_cbranch_vccnz .LBB44_289
; %bb.288:
	scratch_load_dwordx2 v[94:95], v11, off
	ds_read_b64 v[96:97], v1
	s_waitcnt vmcnt(0) lgkmcnt(0)
	v_mul_f64 v[94:95], v[94:95], v[96:97]
	s_cbranch_execz .LBB44_290
	s_branch .LBB44_291
.LBB44_289:
                                        ; implicit-def: $vgpr94_vgpr95
.LBB44_290:
	ds_read_b64 v[94:95], v1
.LBB44_291:
	s_and_saveexec_b64 s[8:9], s[2:3]
	s_cbranch_execz .LBB44_295
; %bb.292:
	s_movk_i32 s17, 0x78
	v_add_u32_e32 v96, -15, v0
	s_movk_i32 s18, 0x1e8
	s_mov_b64 s[2:3], 0
.LBB44_293:                             ; =>This Inner Loop Header: Depth=1
	scratch_load_dwordx2 v[98:99], off, s17
	v_mov_b32_e32 v97, s18
	ds_read_b64 v[100:101], v97
	v_add_u32_e32 v96, -1, v96
	s_add_i32 s18, s18, 8
	s_add_i32 s17, s17, 8
	v_cmp_eq_u32_e32 vcc, 0, v96
	s_or_b64 s[2:3], vcc, s[2:3]
	s_waitcnt vmcnt(0) lgkmcnt(0)
	v_fmac_f64_e32 v[94:95], v[98:99], v[100:101]
	s_andn2_b64 exec, exec, s[2:3]
	s_cbranch_execnz .LBB44_293
; %bb.294:
	s_or_b64 exec, exec, s[2:3]
.LBB44_295:
	s_or_b64 exec, exec, s[8:9]
	v_mov_b32_e32 v96, 0
	ds_read_b64 v[96:97], v96 offset:112
	s_waitcnt lgkmcnt(0)
	v_mul_f64 v[94:95], v[94:95], v[96:97]
	scratch_store_dwordx2 off, v[94:95], off offset:112
.LBB44_296:
	s_or_b64 exec, exec, s[4:5]
	scratch_load_dwordx2 v[94:95], off, off offset:104
	v_cmp_lt_u32_e64 s[2:3], 13, v0
	s_waitcnt vmcnt(0)
	ds_write_b64 v1, v[94:95]
	s_waitcnt lgkmcnt(0)
	; wave barrier
	s_and_saveexec_b64 s[4:5], s[2:3]
	s_cbranch_execz .LBB44_306
; %bb.297:
	s_andn2_b64 vcc, exec, s[6:7]
	s_cbranch_vccnz .LBB44_299
; %bb.298:
	scratch_load_dwordx2 v[94:95], v11, off
	ds_read_b64 v[96:97], v1
	s_waitcnt vmcnt(0) lgkmcnt(0)
	v_mul_f64 v[94:95], v[94:95], v[96:97]
	s_cbranch_execz .LBB44_300
	s_branch .LBB44_301
.LBB44_299:
                                        ; implicit-def: $vgpr94_vgpr95
.LBB44_300:
	ds_read_b64 v[94:95], v1
.LBB44_301:
	s_and_saveexec_b64 s[8:9], s[0:1]
	s_cbranch_execz .LBB44_305
; %bb.302:
	v_add_u32_e32 v96, -14, v0
	s_movk_i32 s17, 0x1e0
	s_mov_b64 s[0:1], 0
.LBB44_303:                             ; =>This Inner Loop Header: Depth=1
	scratch_load_dwordx2 v[98:99], off, s16
	v_mov_b32_e32 v97, s17
	ds_read_b64 v[100:101], v97
	v_add_u32_e32 v96, -1, v96
	s_add_i32 s17, s17, 8
	s_add_i32 s16, s16, 8
	v_cmp_eq_u32_e32 vcc, 0, v96
	s_or_b64 s[0:1], vcc, s[0:1]
	s_waitcnt vmcnt(0) lgkmcnt(0)
	v_fmac_f64_e32 v[94:95], v[98:99], v[100:101]
	s_andn2_b64 exec, exec, s[0:1]
	s_cbranch_execnz .LBB44_303
; %bb.304:
	s_or_b64 exec, exec, s[0:1]
.LBB44_305:
	s_or_b64 exec, exec, s[8:9]
	v_mov_b32_e32 v96, 0
	ds_read_b64 v[96:97], v96 offset:104
	s_waitcnt lgkmcnt(0)
	v_mul_f64 v[94:95], v[94:95], v[96:97]
	scratch_store_dwordx2 off, v[94:95], off offset:104
.LBB44_306:
	s_or_b64 exec, exec, s[4:5]
	scratch_load_dwordx2 v[94:95], off, off offset:96
	v_cmp_lt_u32_e64 s[0:1], 12, v0
	s_waitcnt vmcnt(0)
	ds_write_b64 v1, v[94:95]
	s_waitcnt lgkmcnt(0)
	; wave barrier
	s_and_saveexec_b64 s[4:5], s[0:1]
	s_cbranch_execz .LBB44_316
; %bb.307:
	s_andn2_b64 vcc, exec, s[6:7]
	s_cbranch_vccnz .LBB44_309
; %bb.308:
	scratch_load_dwordx2 v[94:95], v11, off
	ds_read_b64 v[96:97], v1
	s_waitcnt vmcnt(0) lgkmcnt(0)
	v_mul_f64 v[94:95], v[94:95], v[96:97]
	s_cbranch_execz .LBB44_310
	s_branch .LBB44_311
.LBB44_309:
                                        ; implicit-def: $vgpr94_vgpr95
.LBB44_310:
	ds_read_b64 v[94:95], v1
.LBB44_311:
	s_and_saveexec_b64 s[8:9], s[2:3]
	s_cbranch_execz .LBB44_315
; %bb.312:
	s_movk_i32 s16, 0x68
	v_add_u32_e32 v96, -13, v0
	s_movk_i32 s17, 0x1d8
	s_mov_b64 s[2:3], 0
.LBB44_313:                             ; =>This Inner Loop Header: Depth=1
	scratch_load_dwordx2 v[98:99], off, s16
	v_mov_b32_e32 v97, s17
	ds_read_b64 v[100:101], v97
	v_add_u32_e32 v96, -1, v96
	s_add_i32 s17, s17, 8
	s_add_i32 s16, s16, 8
	v_cmp_eq_u32_e32 vcc, 0, v96
	s_or_b64 s[2:3], vcc, s[2:3]
	s_waitcnt vmcnt(0) lgkmcnt(0)
	v_fmac_f64_e32 v[94:95], v[98:99], v[100:101]
	s_andn2_b64 exec, exec, s[2:3]
	s_cbranch_execnz .LBB44_313
; %bb.314:
	s_or_b64 exec, exec, s[2:3]
.LBB44_315:
	s_or_b64 exec, exec, s[8:9]
	v_mov_b32_e32 v96, 0
	ds_read_b64 v[96:97], v96 offset:96
	s_waitcnt lgkmcnt(0)
	v_mul_f64 v[94:95], v[94:95], v[96:97]
	scratch_store_dwordx2 off, v[94:95], off offset:96
.LBB44_316:
	s_or_b64 exec, exec, s[4:5]
	scratch_load_dwordx2 v[94:95], off, off offset:88
	v_cmp_lt_u32_e64 s[2:3], 11, v0
	s_waitcnt vmcnt(0)
	ds_write_b64 v1, v[94:95]
	s_waitcnt lgkmcnt(0)
	; wave barrier
	s_and_saveexec_b64 s[4:5], s[2:3]
	s_cbranch_execz .LBB44_326
; %bb.317:
	s_andn2_b64 vcc, exec, s[6:7]
	s_cbranch_vccnz .LBB44_319
; %bb.318:
	scratch_load_dwordx2 v[94:95], v11, off
	ds_read_b64 v[96:97], v1
	s_waitcnt vmcnt(0) lgkmcnt(0)
	v_mul_f64 v[94:95], v[94:95], v[96:97]
	s_cbranch_execz .LBB44_320
	s_branch .LBB44_321
.LBB44_319:
                                        ; implicit-def: $vgpr94_vgpr95
.LBB44_320:
	ds_read_b64 v[94:95], v1
.LBB44_321:
	s_and_saveexec_b64 s[8:9], s[0:1]
	s_cbranch_execz .LBB44_325
; %bb.322:
	v_add_u32_e32 v96, -12, v0
	s_movk_i32 s16, 0x1d0
	s_mov_b64 s[0:1], 0
.LBB44_323:                             ; =>This Inner Loop Header: Depth=1
	scratch_load_dwordx2 v[98:99], off, s15
	v_mov_b32_e32 v97, s16
	ds_read_b64 v[100:101], v97
	v_add_u32_e32 v96, -1, v96
	s_add_i32 s16, s16, 8
	s_add_i32 s15, s15, 8
	v_cmp_eq_u32_e32 vcc, 0, v96
	s_or_b64 s[0:1], vcc, s[0:1]
	s_waitcnt vmcnt(0) lgkmcnt(0)
	v_fmac_f64_e32 v[94:95], v[98:99], v[100:101]
	s_andn2_b64 exec, exec, s[0:1]
	s_cbranch_execnz .LBB44_323
; %bb.324:
	s_or_b64 exec, exec, s[0:1]
.LBB44_325:
	s_or_b64 exec, exec, s[8:9]
	v_mov_b32_e32 v96, 0
	ds_read_b64 v[96:97], v96 offset:88
	s_waitcnt lgkmcnt(0)
	v_mul_f64 v[94:95], v[94:95], v[96:97]
	scratch_store_dwordx2 off, v[94:95], off offset:88
.LBB44_326:
	s_or_b64 exec, exec, s[4:5]
	scratch_load_dwordx2 v[94:95], off, off offset:80
	v_cmp_lt_u32_e64 s[0:1], 10, v0
	s_waitcnt vmcnt(0)
	ds_write_b64 v1, v[94:95]
	s_waitcnt lgkmcnt(0)
	; wave barrier
	s_and_saveexec_b64 s[4:5], s[0:1]
	s_cbranch_execz .LBB44_336
; %bb.327:
	s_andn2_b64 vcc, exec, s[6:7]
	s_cbranch_vccnz .LBB44_329
; %bb.328:
	scratch_load_dwordx2 v[94:95], v11, off
	ds_read_b64 v[96:97], v1
	s_waitcnt vmcnt(0) lgkmcnt(0)
	v_mul_f64 v[94:95], v[94:95], v[96:97]
	s_cbranch_execz .LBB44_330
	s_branch .LBB44_331
.LBB44_329:
                                        ; implicit-def: $vgpr94_vgpr95
.LBB44_330:
	ds_read_b64 v[94:95], v1
.LBB44_331:
	s_and_saveexec_b64 s[8:9], s[2:3]
	s_cbranch_execz .LBB44_335
; %bb.332:
	s_movk_i32 s15, 0x58
	v_add_u32_e32 v96, -11, v0
	s_movk_i32 s16, 0x1c8
	s_mov_b64 s[2:3], 0
.LBB44_333:                             ; =>This Inner Loop Header: Depth=1
	scratch_load_dwordx2 v[98:99], off, s15
	v_mov_b32_e32 v97, s16
	ds_read_b64 v[100:101], v97
	v_add_u32_e32 v96, -1, v96
	s_add_i32 s16, s16, 8
	s_add_i32 s15, s15, 8
	v_cmp_eq_u32_e32 vcc, 0, v96
	s_or_b64 s[2:3], vcc, s[2:3]
	s_waitcnt vmcnt(0) lgkmcnt(0)
	v_fmac_f64_e32 v[94:95], v[98:99], v[100:101]
	s_andn2_b64 exec, exec, s[2:3]
	s_cbranch_execnz .LBB44_333
; %bb.334:
	s_or_b64 exec, exec, s[2:3]
.LBB44_335:
	s_or_b64 exec, exec, s[8:9]
	v_mov_b32_e32 v96, 0
	ds_read_b64 v[96:97], v96 offset:80
	s_waitcnt lgkmcnt(0)
	v_mul_f64 v[94:95], v[94:95], v[96:97]
	scratch_store_dwordx2 off, v[94:95], off offset:80
.LBB44_336:
	s_or_b64 exec, exec, s[4:5]
	scratch_load_dwordx2 v[94:95], off, off offset:72
	v_cmp_lt_u32_e64 s[2:3], 9, v0
	s_waitcnt vmcnt(0)
	ds_write_b64 v1, v[94:95]
	s_waitcnt lgkmcnt(0)
	; wave barrier
	s_and_saveexec_b64 s[4:5], s[2:3]
	s_cbranch_execz .LBB44_346
; %bb.337:
	s_andn2_b64 vcc, exec, s[6:7]
	s_cbranch_vccnz .LBB44_339
; %bb.338:
	scratch_load_dwordx2 v[94:95], v11, off
	ds_read_b64 v[96:97], v1
	s_waitcnt vmcnt(0) lgkmcnt(0)
	v_mul_f64 v[94:95], v[94:95], v[96:97]
	s_cbranch_execz .LBB44_340
	s_branch .LBB44_341
.LBB44_339:
                                        ; implicit-def: $vgpr94_vgpr95
.LBB44_340:
	ds_read_b64 v[94:95], v1
.LBB44_341:
	s_and_saveexec_b64 s[8:9], s[0:1]
	s_cbranch_execz .LBB44_345
; %bb.342:
	v_add_u32_e32 v96, -10, v0
	s_movk_i32 s15, 0x1c0
	s_mov_b64 s[0:1], 0
.LBB44_343:                             ; =>This Inner Loop Header: Depth=1
	scratch_load_dwordx2 v[98:99], off, s14
	v_mov_b32_e32 v97, s15
	ds_read_b64 v[100:101], v97
	v_add_u32_e32 v96, -1, v96
	s_add_i32 s15, s15, 8
	s_add_i32 s14, s14, 8
	v_cmp_eq_u32_e32 vcc, 0, v96
	s_or_b64 s[0:1], vcc, s[0:1]
	s_waitcnt vmcnt(0) lgkmcnt(0)
	v_fmac_f64_e32 v[94:95], v[98:99], v[100:101]
	s_andn2_b64 exec, exec, s[0:1]
	s_cbranch_execnz .LBB44_343
; %bb.344:
	s_or_b64 exec, exec, s[0:1]
.LBB44_345:
	s_or_b64 exec, exec, s[8:9]
	v_mov_b32_e32 v96, 0
	ds_read_b64 v[96:97], v96 offset:72
	s_waitcnt lgkmcnt(0)
	v_mul_f64 v[94:95], v[94:95], v[96:97]
	scratch_store_dwordx2 off, v[94:95], off offset:72
.LBB44_346:
	s_or_b64 exec, exec, s[4:5]
	scratch_load_dwordx2 v[94:95], off, off offset:64
	v_cmp_lt_u32_e64 s[0:1], 8, v0
	s_waitcnt vmcnt(0)
	ds_write_b64 v1, v[94:95]
	s_waitcnt lgkmcnt(0)
	; wave barrier
	s_and_saveexec_b64 s[4:5], s[0:1]
	s_cbranch_execz .LBB44_356
; %bb.347:
	s_andn2_b64 vcc, exec, s[6:7]
	s_cbranch_vccnz .LBB44_349
; %bb.348:
	scratch_load_dwordx2 v[94:95], v11, off
	ds_read_b64 v[96:97], v1
	s_waitcnt vmcnt(0) lgkmcnt(0)
	v_mul_f64 v[94:95], v[94:95], v[96:97]
	s_cbranch_execz .LBB44_350
	s_branch .LBB44_351
.LBB44_349:
                                        ; implicit-def: $vgpr94_vgpr95
.LBB44_350:
	ds_read_b64 v[94:95], v1
.LBB44_351:
	s_and_saveexec_b64 s[8:9], s[2:3]
	s_cbranch_execz .LBB44_355
; %bb.352:
	s_movk_i32 s14, 0x48
	v_add_u32_e32 v96, -9, v0
	s_movk_i32 s15, 0x1b8
	s_mov_b64 s[2:3], 0
.LBB44_353:                             ; =>This Inner Loop Header: Depth=1
	scratch_load_dwordx2 v[98:99], off, s14
	v_mov_b32_e32 v97, s15
	ds_read_b64 v[100:101], v97
	v_add_u32_e32 v96, -1, v96
	s_add_i32 s15, s15, 8
	s_add_i32 s14, s14, 8
	v_cmp_eq_u32_e32 vcc, 0, v96
	s_or_b64 s[2:3], vcc, s[2:3]
	s_waitcnt vmcnt(0) lgkmcnt(0)
	v_fmac_f64_e32 v[94:95], v[98:99], v[100:101]
	s_andn2_b64 exec, exec, s[2:3]
	s_cbranch_execnz .LBB44_353
; %bb.354:
	s_or_b64 exec, exec, s[2:3]
.LBB44_355:
	s_or_b64 exec, exec, s[8:9]
	v_mov_b32_e32 v96, 0
	ds_read_b64 v[96:97], v96 offset:64
	s_waitcnt lgkmcnt(0)
	v_mul_f64 v[94:95], v[94:95], v[96:97]
	scratch_store_dwordx2 off, v[94:95], off offset:64
.LBB44_356:
	s_or_b64 exec, exec, s[4:5]
	scratch_load_dwordx2 v[94:95], off, off offset:56
	v_cmp_lt_u32_e64 s[2:3], 7, v0
	s_waitcnt vmcnt(0)
	ds_write_b64 v1, v[94:95]
	s_waitcnt lgkmcnt(0)
	; wave barrier
	s_and_saveexec_b64 s[4:5], s[2:3]
	s_cbranch_execz .LBB44_366
; %bb.357:
	s_andn2_b64 vcc, exec, s[6:7]
	s_cbranch_vccnz .LBB44_359
; %bb.358:
	scratch_load_dwordx2 v[94:95], v11, off
	ds_read_b64 v[96:97], v1
	s_waitcnt vmcnt(0) lgkmcnt(0)
	v_mul_f64 v[94:95], v[94:95], v[96:97]
	s_cbranch_execz .LBB44_360
	s_branch .LBB44_361
.LBB44_359:
                                        ; implicit-def: $vgpr94_vgpr95
.LBB44_360:
	ds_read_b64 v[94:95], v1
.LBB44_361:
	s_and_saveexec_b64 s[8:9], s[0:1]
	s_cbranch_execz .LBB44_365
; %bb.362:
	v_add_u32_e32 v96, -8, v0
	s_movk_i32 s14, 0x1b0
	s_mov_b64 s[0:1], 0
.LBB44_363:                             ; =>This Inner Loop Header: Depth=1
	scratch_load_dwordx2 v[98:99], off, s13
	v_mov_b32_e32 v97, s14
	ds_read_b64 v[100:101], v97
	v_add_u32_e32 v96, -1, v96
	s_add_i32 s14, s14, 8
	s_add_i32 s13, s13, 8
	v_cmp_eq_u32_e32 vcc, 0, v96
	s_or_b64 s[0:1], vcc, s[0:1]
	s_waitcnt vmcnt(0) lgkmcnt(0)
	v_fmac_f64_e32 v[94:95], v[98:99], v[100:101]
	s_andn2_b64 exec, exec, s[0:1]
	s_cbranch_execnz .LBB44_363
; %bb.364:
	s_or_b64 exec, exec, s[0:1]
.LBB44_365:
	s_or_b64 exec, exec, s[8:9]
	v_mov_b32_e32 v96, 0
	ds_read_b64 v[96:97], v96 offset:56
	s_waitcnt lgkmcnt(0)
	v_mul_f64 v[94:95], v[94:95], v[96:97]
	scratch_store_dwordx2 off, v[94:95], off offset:56
.LBB44_366:
	s_or_b64 exec, exec, s[4:5]
	scratch_load_dwordx2 v[94:95], off, off offset:48
	v_cmp_lt_u32_e64 s[0:1], 6, v0
	s_waitcnt vmcnt(0)
	ds_write_b64 v1, v[94:95]
	s_waitcnt lgkmcnt(0)
	; wave barrier
	s_and_saveexec_b64 s[4:5], s[0:1]
	s_cbranch_execz .LBB44_376
; %bb.367:
	s_andn2_b64 vcc, exec, s[6:7]
	s_cbranch_vccnz .LBB44_369
; %bb.368:
	scratch_load_dwordx2 v[94:95], v11, off
	ds_read_b64 v[96:97], v1
	s_waitcnt vmcnt(0) lgkmcnt(0)
	v_mul_f64 v[94:95], v[94:95], v[96:97]
	s_cbranch_execz .LBB44_370
	s_branch .LBB44_371
.LBB44_369:
                                        ; implicit-def: $vgpr94_vgpr95
.LBB44_370:
	ds_read_b64 v[94:95], v1
.LBB44_371:
	s_and_saveexec_b64 s[8:9], s[2:3]
	s_cbranch_execz .LBB44_375
; %bb.372:
	s_mov_b32 s13, 56
	v_add_u32_e32 v96, -7, v0
	s_movk_i32 s14, 0x1a8
	s_mov_b64 s[2:3], 0
.LBB44_373:                             ; =>This Inner Loop Header: Depth=1
	scratch_load_dwordx2 v[98:99], off, s13
	v_mov_b32_e32 v97, s14
	ds_read_b64 v[100:101], v97
	v_add_u32_e32 v96, -1, v96
	s_add_i32 s14, s14, 8
	s_add_i32 s13, s13, 8
	v_cmp_eq_u32_e32 vcc, 0, v96
	s_or_b64 s[2:3], vcc, s[2:3]
	s_waitcnt vmcnt(0) lgkmcnt(0)
	v_fmac_f64_e32 v[94:95], v[98:99], v[100:101]
	s_andn2_b64 exec, exec, s[2:3]
	s_cbranch_execnz .LBB44_373
; %bb.374:
	s_or_b64 exec, exec, s[2:3]
.LBB44_375:
	s_or_b64 exec, exec, s[8:9]
	v_mov_b32_e32 v96, 0
	ds_read_b64 v[96:97], v96 offset:48
	s_waitcnt lgkmcnt(0)
	v_mul_f64 v[94:95], v[94:95], v[96:97]
	scratch_store_dwordx2 off, v[94:95], off offset:48
.LBB44_376:
	s_or_b64 exec, exec, s[4:5]
	scratch_load_dwordx2 v[94:95], off, off offset:40
	v_cmp_lt_u32_e64 s[2:3], 5, v0
	s_waitcnt vmcnt(0)
	ds_write_b64 v1, v[94:95]
	s_waitcnt lgkmcnt(0)
	; wave barrier
	s_and_saveexec_b64 s[4:5], s[2:3]
	s_cbranch_execz .LBB44_386
; %bb.377:
	s_andn2_b64 vcc, exec, s[6:7]
	s_cbranch_vccnz .LBB44_379
; %bb.378:
	scratch_load_dwordx2 v[94:95], v11, off
	ds_read_b64 v[96:97], v1
	s_waitcnt vmcnt(0) lgkmcnt(0)
	v_mul_f64 v[94:95], v[94:95], v[96:97]
	s_cbranch_execz .LBB44_380
	s_branch .LBB44_381
.LBB44_379:
                                        ; implicit-def: $vgpr94_vgpr95
.LBB44_380:
	ds_read_b64 v[94:95], v1
.LBB44_381:
	s_and_saveexec_b64 s[8:9], s[0:1]
	s_cbranch_execz .LBB44_385
; %bb.382:
	v_add_u32_e32 v96, -6, v0
	s_movk_i32 s13, 0x1a0
	s_mov_b64 s[0:1], 0
.LBB44_383:                             ; =>This Inner Loop Header: Depth=1
	scratch_load_dwordx2 v[98:99], off, s12
	v_mov_b32_e32 v97, s13
	ds_read_b64 v[100:101], v97
	v_add_u32_e32 v96, -1, v96
	s_add_i32 s13, s13, 8
	s_add_i32 s12, s12, 8
	v_cmp_eq_u32_e32 vcc, 0, v96
	s_or_b64 s[0:1], vcc, s[0:1]
	s_waitcnt vmcnt(0) lgkmcnt(0)
	v_fmac_f64_e32 v[94:95], v[98:99], v[100:101]
	s_andn2_b64 exec, exec, s[0:1]
	s_cbranch_execnz .LBB44_383
; %bb.384:
	s_or_b64 exec, exec, s[0:1]
.LBB44_385:
	s_or_b64 exec, exec, s[8:9]
	v_mov_b32_e32 v96, 0
	ds_read_b64 v[96:97], v96 offset:40
	s_waitcnt lgkmcnt(0)
	v_mul_f64 v[94:95], v[94:95], v[96:97]
	scratch_store_dwordx2 off, v[94:95], off offset:40
.LBB44_386:
	s_or_b64 exec, exec, s[4:5]
	scratch_load_dwordx2 v[94:95], off, off offset:32
	v_cmp_lt_u32_e64 s[0:1], 4, v0
	s_waitcnt vmcnt(0)
	ds_write_b64 v1, v[94:95]
	s_waitcnt lgkmcnt(0)
	; wave barrier
	s_and_saveexec_b64 s[4:5], s[0:1]
	s_cbranch_execz .LBB44_396
; %bb.387:
	s_andn2_b64 vcc, exec, s[6:7]
	s_cbranch_vccnz .LBB44_389
; %bb.388:
	scratch_load_dwordx2 v[94:95], v11, off
	ds_read_b64 v[96:97], v1
	s_waitcnt vmcnt(0) lgkmcnt(0)
	v_mul_f64 v[94:95], v[94:95], v[96:97]
	s_cbranch_execz .LBB44_390
	s_branch .LBB44_391
.LBB44_389:
                                        ; implicit-def: $vgpr94_vgpr95
.LBB44_390:
	ds_read_b64 v[94:95], v1
.LBB44_391:
	s_and_saveexec_b64 s[8:9], s[2:3]
	s_cbranch_execz .LBB44_395
; %bb.392:
	s_mov_b32 s12, 40
	v_add_u32_e32 v96, -5, v0
	s_movk_i32 s13, 0x198
	s_mov_b64 s[2:3], 0
.LBB44_393:                             ; =>This Inner Loop Header: Depth=1
	scratch_load_dwordx2 v[98:99], off, s12
	v_mov_b32_e32 v97, s13
	ds_read_b64 v[100:101], v97
	v_add_u32_e32 v96, -1, v96
	s_add_i32 s13, s13, 8
	s_add_i32 s12, s12, 8
	v_cmp_eq_u32_e32 vcc, 0, v96
	s_or_b64 s[2:3], vcc, s[2:3]
	s_waitcnt vmcnt(0) lgkmcnt(0)
	v_fmac_f64_e32 v[94:95], v[98:99], v[100:101]
	s_andn2_b64 exec, exec, s[2:3]
	s_cbranch_execnz .LBB44_393
; %bb.394:
	s_or_b64 exec, exec, s[2:3]
.LBB44_395:
	s_or_b64 exec, exec, s[8:9]
	v_mov_b32_e32 v96, 0
	ds_read_b64 v[96:97], v96 offset:32
	s_waitcnt lgkmcnt(0)
	v_mul_f64 v[94:95], v[94:95], v[96:97]
	scratch_store_dwordx2 off, v[94:95], off offset:32
.LBB44_396:
	s_or_b64 exec, exec, s[4:5]
	scratch_load_dwordx2 v[94:95], off, off offset:24
	v_cmp_lt_u32_e64 s[2:3], 3, v0
	s_waitcnt vmcnt(0)
	ds_write_b64 v1, v[94:95]
	s_waitcnt lgkmcnt(0)
	; wave barrier
	s_and_saveexec_b64 s[4:5], s[2:3]
	s_cbranch_execz .LBB44_406
; %bb.397:
	s_andn2_b64 vcc, exec, s[6:7]
	s_cbranch_vccnz .LBB44_399
; %bb.398:
	scratch_load_dwordx2 v[94:95], v11, off
	ds_read_b64 v[96:97], v1
	s_waitcnt vmcnt(0) lgkmcnt(0)
	v_mul_f64 v[94:95], v[94:95], v[96:97]
	s_cbranch_execz .LBB44_400
	s_branch .LBB44_401
.LBB44_399:
                                        ; implicit-def: $vgpr94_vgpr95
.LBB44_400:
	ds_read_b64 v[94:95], v1
.LBB44_401:
	s_and_saveexec_b64 s[8:9], s[0:1]
	s_cbranch_execz .LBB44_405
; %bb.402:
	v_add_u32_e32 v96, -4, v0
	s_movk_i32 s12, 0x190
	s_mov_b64 s[0:1], 0
.LBB44_403:                             ; =>This Inner Loop Header: Depth=1
	scratch_load_dwordx2 v[98:99], off, s11
	v_mov_b32_e32 v97, s12
	ds_read_b64 v[100:101], v97
	v_add_u32_e32 v96, -1, v96
	s_add_i32 s12, s12, 8
	s_add_i32 s11, s11, 8
	v_cmp_eq_u32_e32 vcc, 0, v96
	s_or_b64 s[0:1], vcc, s[0:1]
	s_waitcnt vmcnt(0) lgkmcnt(0)
	v_fmac_f64_e32 v[94:95], v[98:99], v[100:101]
	s_andn2_b64 exec, exec, s[0:1]
	s_cbranch_execnz .LBB44_403
; %bb.404:
	s_or_b64 exec, exec, s[0:1]
.LBB44_405:
	s_or_b64 exec, exec, s[8:9]
	v_mov_b32_e32 v96, 0
	ds_read_b64 v[96:97], v96 offset:24
	s_waitcnt lgkmcnt(0)
	v_mul_f64 v[94:95], v[94:95], v[96:97]
	scratch_store_dwordx2 off, v[94:95], off offset:24
.LBB44_406:
	s_or_b64 exec, exec, s[4:5]
	scratch_load_dwordx2 v[94:95], off, off offset:16
	v_cmp_lt_u32_e64 s[0:1], 2, v0
	s_waitcnt vmcnt(0)
	ds_write_b64 v1, v[94:95]
	s_waitcnt lgkmcnt(0)
	; wave barrier
	s_and_saveexec_b64 s[4:5], s[0:1]
	s_cbranch_execz .LBB44_416
; %bb.407:
	s_andn2_b64 vcc, exec, s[6:7]
	s_cbranch_vccnz .LBB44_409
; %bb.408:
	scratch_load_dwordx2 v[94:95], v11, off
	ds_read_b64 v[96:97], v1
	s_waitcnt vmcnt(0) lgkmcnt(0)
	v_mul_f64 v[94:95], v[94:95], v[96:97]
	s_cbranch_execz .LBB44_410
	s_branch .LBB44_411
.LBB44_409:
                                        ; implicit-def: $vgpr94_vgpr95
.LBB44_410:
	ds_read_b64 v[94:95], v1
.LBB44_411:
	s_and_saveexec_b64 s[8:9], s[2:3]
	s_cbranch_execz .LBB44_415
; %bb.412:
	s_mov_b32 s11, 24
	v_add_u32_e32 v96, -3, v0
	s_movk_i32 s12, 0x188
	s_mov_b64 s[2:3], 0
.LBB44_413:                             ; =>This Inner Loop Header: Depth=1
	scratch_load_dwordx2 v[98:99], off, s11
	v_mov_b32_e32 v97, s12
	ds_read_b64 v[100:101], v97
	v_add_u32_e32 v96, -1, v96
	s_add_i32 s12, s12, 8
	s_add_i32 s11, s11, 8
	v_cmp_eq_u32_e32 vcc, 0, v96
	s_or_b64 s[2:3], vcc, s[2:3]
	s_waitcnt vmcnt(0) lgkmcnt(0)
	v_fmac_f64_e32 v[94:95], v[98:99], v[100:101]
	s_andn2_b64 exec, exec, s[2:3]
	s_cbranch_execnz .LBB44_413
; %bb.414:
	s_or_b64 exec, exec, s[2:3]
.LBB44_415:
	s_or_b64 exec, exec, s[8:9]
	v_mov_b32_e32 v96, 0
	ds_read_b64 v[96:97], v96 offset:16
	s_waitcnt lgkmcnt(0)
	v_mul_f64 v[94:95], v[94:95], v[96:97]
	scratch_store_dwordx2 off, v[94:95], off offset:16
.LBB44_416:
	s_or_b64 exec, exec, s[4:5]
	scratch_load_dwordx2 v[94:95], off, off offset:8
	v_cmp_lt_u32_e64 s[2:3], 1, v0
	s_waitcnt vmcnt(0)
	ds_write_b64 v1, v[94:95]
	s_waitcnt lgkmcnt(0)
	; wave barrier
	s_and_saveexec_b64 s[4:5], s[2:3]
	s_cbranch_execz .LBB44_426
; %bb.417:
	s_andn2_b64 vcc, exec, s[6:7]
	s_cbranch_vccnz .LBB44_419
; %bb.418:
	scratch_load_dwordx2 v[94:95], v11, off
	ds_read_b64 v[96:97], v1
	s_waitcnt vmcnt(0) lgkmcnt(0)
	v_mul_f64 v[94:95], v[94:95], v[96:97]
	s_cbranch_execz .LBB44_420
	s_branch .LBB44_421
.LBB44_419:
                                        ; implicit-def: $vgpr94_vgpr95
.LBB44_420:
	ds_read_b64 v[94:95], v1
.LBB44_421:
	s_and_saveexec_b64 s[8:9], s[0:1]
	s_cbranch_execz .LBB44_425
; %bb.422:
	v_add_u32_e32 v96, -2, v0
	s_movk_i32 s11, 0x180
	s_mov_b64 s[0:1], 0
.LBB44_423:                             ; =>This Inner Loop Header: Depth=1
	scratch_load_dwordx2 v[98:99], off, s10
	v_mov_b32_e32 v97, s11
	ds_read_b64 v[100:101], v97
	v_add_u32_e32 v96, -1, v96
	s_add_i32 s11, s11, 8
	s_add_i32 s10, s10, 8
	v_cmp_eq_u32_e32 vcc, 0, v96
	s_or_b64 s[0:1], vcc, s[0:1]
	s_waitcnt vmcnt(0) lgkmcnt(0)
	v_fmac_f64_e32 v[94:95], v[98:99], v[100:101]
	s_andn2_b64 exec, exec, s[0:1]
	s_cbranch_execnz .LBB44_423
; %bb.424:
	s_or_b64 exec, exec, s[0:1]
.LBB44_425:
	s_or_b64 exec, exec, s[8:9]
	v_mov_b32_e32 v96, 0
	ds_read_b64 v[96:97], v96 offset:8
	s_waitcnt lgkmcnt(0)
	v_mul_f64 v[94:95], v[94:95], v[96:97]
	scratch_store_dwordx2 off, v[94:95], off offset:8
.LBB44_426:
	s_or_b64 exec, exec, s[4:5]
	scratch_load_dwordx2 v[94:95], off, off
	v_cmp_ne_u32_e32 vcc, 0, v0
	s_waitcnt vmcnt(0)
	ds_write_b64 v1, v[94:95]
	s_waitcnt lgkmcnt(0)
	; wave barrier
	s_and_saveexec_b64 s[0:1], vcc
	s_cbranch_execz .LBB44_436
; %bb.427:
	s_andn2_b64 vcc, exec, s[6:7]
	s_cbranch_vccnz .LBB44_429
; %bb.428:
	scratch_load_dwordx2 v[94:95], v11, off
	ds_read_b64 v[96:97], v1
	s_waitcnt vmcnt(0) lgkmcnt(0)
	v_mul_f64 v[94:95], v[94:95], v[96:97]
	s_cbranch_execz .LBB44_430
	s_branch .LBB44_431
.LBB44_429:
                                        ; implicit-def: $vgpr94_vgpr95
.LBB44_430:
	ds_read_b64 v[94:95], v1
.LBB44_431:
	s_and_saveexec_b64 s[4:5], s[2:3]
	s_cbranch_execz .LBB44_435
; %bb.432:
	s_or_b32 s8, 0, 8
	v_add_u32_e32 v96, -1, v0
	s_movk_i32 s9, 0x178
	s_mov_b64 s[2:3], 0
.LBB44_433:                             ; =>This Inner Loop Header: Depth=1
	scratch_load_dwordx2 v[98:99], off, s8
	v_mov_b32_e32 v97, s9
	ds_read_b64 v[100:101], v97
	v_add_u32_e32 v96, -1, v96
	s_add_i32 s9, s9, 8
	s_add_i32 s8, s8, 8
	v_cmp_eq_u32_e32 vcc, 0, v96
	s_or_b64 s[2:3], vcc, s[2:3]
	s_waitcnt vmcnt(0) lgkmcnt(0)
	v_fmac_f64_e32 v[94:95], v[98:99], v[100:101]
	s_andn2_b64 exec, exec, s[2:3]
	s_cbranch_execnz .LBB44_433
; %bb.434:
	s_or_b64 exec, exec, s[2:3]
.LBB44_435:
	s_or_b64 exec, exec, s[4:5]
	v_mov_b32_e32 v96, 0
	ds_read_b64 v[96:97], v96
	s_waitcnt lgkmcnt(0)
	v_mul_f64 v[94:95], v[94:95], v[96:97]
	scratch_store_dwordx2 off, v[94:95], off
.LBB44_436:
	s_or_b64 exec, exec, s[0:1]
	s_mov_b64 s[0:1], 0
.LBB44_437:
	s_and_b64 vcc, exec, s[0:1]
	s_cbranch_vccz .LBB44_869
; %bb.438:
	scratch_load_dwordx2 v[94:95], off, off offset:8
	v_cmp_eq_u32_e64 s[2:3], 0, v0
	s_waitcnt vmcnt(0)
	ds_write_b64 v1, v[94:95]
	s_waitcnt lgkmcnt(0)
	; wave barrier
	s_and_saveexec_b64 s[0:1], s[2:3]
	s_cbranch_execz .LBB44_444
; %bb.439:
	s_and_b64 vcc, exec, s[6:7]
	s_cbranch_vccz .LBB44_441
; %bb.440:
	scratch_load_dwordx2 v[94:95], v11, off
	ds_read_b64 v[96:97], v1
	s_waitcnt vmcnt(0) lgkmcnt(0)
	v_mul_f64 v[94:95], v[94:95], v[96:97]
	s_cbranch_execz .LBB44_442
	s_branch .LBB44_443
.LBB44_441:
                                        ; implicit-def: $vgpr94_vgpr95
.LBB44_442:
	ds_read_b64 v[94:95], v1
.LBB44_443:
	v_mov_b32_e32 v96, 0
	ds_read_b64 v[96:97], v96 offset:8
	s_waitcnt lgkmcnt(0)
	v_mul_f64 v[94:95], v[94:95], v[96:97]
	scratch_store_dwordx2 off, v[94:95], off offset:8
.LBB44_444:
	s_or_b64 exec, exec, s[0:1]
	scratch_load_dwordx2 v[94:95], off, off offset:16
	v_cndmask_b32_e64 v96, 0, 1, s[6:7]
	v_cmp_gt_u32_e32 vcc, 2, v0
	v_cmp_ne_u32_e64 s[0:1], 1, v96
	s_waitcnt vmcnt(0)
	ds_write_b64 v1, v[94:95]
	s_waitcnt lgkmcnt(0)
	; wave barrier
	s_and_saveexec_b64 s[4:5], vcc
	s_cbranch_execz .LBB44_450
; %bb.445:
	s_and_b64 vcc, exec, s[0:1]
	s_cbranch_vccnz .LBB44_447
; %bb.446:
	scratch_load_dwordx2 v[94:95], v11, off
	ds_read_b64 v[96:97], v1
	s_waitcnt vmcnt(0) lgkmcnt(0)
	v_mul_f64 v[94:95], v[94:95], v[96:97]
	s_cbranch_execz .LBB44_448
	s_branch .LBB44_449
.LBB44_447:
                                        ; implicit-def: $vgpr94_vgpr95
.LBB44_448:
	ds_read_b64 v[94:95], v1
.LBB44_449:
	scratch_load_dwordx2 v[100:101], off, off offset:8
	v_mov_b32_e32 v96, 0
	ds_read2_b64 v[96:99], v96 offset0:2 offset1:47
	s_waitcnt vmcnt(0) lgkmcnt(0)
	v_fma_f64 v[98:99], v[100:101], v[98:99], v[94:95]
	v_cndmask_b32_e64 v95, v95, v99, s[2:3]
	v_cndmask_b32_e64 v94, v94, v98, s[2:3]
	v_mul_f64 v[94:95], v[94:95], v[96:97]
	scratch_store_dwordx2 off, v[94:95], off offset:16
.LBB44_450:
	s_or_b64 exec, exec, s[4:5]
	scratch_load_dwordx2 v[94:95], off, off offset:24
	v_cmp_gt_u32_e32 vcc, 3, v0
	s_waitcnt vmcnt(0)
	ds_write_b64 v1, v[94:95]
	s_waitcnt lgkmcnt(0)
	; wave barrier
	s_and_saveexec_b64 s[4:5], vcc
	s_cbranch_execz .LBB44_458
; %bb.451:
	s_and_b64 vcc, exec, s[0:1]
	s_cbranch_vccnz .LBB44_453
; %bb.452:
	scratch_load_dwordx2 v[94:95], v11, off
	ds_read_b64 v[96:97], v1
	s_waitcnt vmcnt(0) lgkmcnt(0)
	v_mul_f64 v[94:95], v[94:95], v[96:97]
	s_cbranch_execz .LBB44_454
	s_branch .LBB44_455
.LBB44_453:
                                        ; implicit-def: $vgpr94_vgpr95
.LBB44_454:
	ds_read_b64 v[94:95], v1
.LBB44_455:
	v_cmp_ne_u32_e32 vcc, 2, v0
	s_and_saveexec_b64 s[6:7], vcc
	s_cbranch_execz .LBB44_457
; %bb.456:
	scratch_load_dwordx2 v[96:97], v11, off offset:8
	scratch_load_dwordx2 v[98:99], off, off offset:16
	ds_read_b64 v[100:101], v1 offset:8
	v_mov_b32_e32 v102, 0
	ds_read_b64 v[102:103], v102 offset:384
	s_waitcnt vmcnt(1) lgkmcnt(1)
	v_fmac_f64_e32 v[94:95], v[96:97], v[100:101]
	s_waitcnt vmcnt(0) lgkmcnt(0)
	v_fma_f64 v[96:97], v[98:99], v[102:103], v[94:95]
	v_cndmask_b32_e64 v95, v95, v97, s[2:3]
	v_cndmask_b32_e64 v94, v94, v96, s[2:3]
.LBB44_457:
	s_or_b64 exec, exec, s[6:7]
	v_mov_b32_e32 v96, 0
	ds_read_b64 v[96:97], v96 offset:24
	s_waitcnt lgkmcnt(0)
	v_mul_f64 v[94:95], v[94:95], v[96:97]
	scratch_store_dwordx2 off, v[94:95], off offset:24
.LBB44_458:
	s_or_b64 exec, exec, s[4:5]
	scratch_load_dwordx2 v[94:95], off, off offset:32
	v_cmp_gt_u32_e32 vcc, 4, v0
	s_waitcnt vmcnt(0)
	ds_write_b64 v1, v[94:95]
	s_waitcnt lgkmcnt(0)
	; wave barrier
	s_and_saveexec_b64 s[2:3], vcc
	s_cbranch_execz .LBB44_468
; %bb.459:
	s_and_b64 vcc, exec, s[0:1]
	s_cbranch_vccnz .LBB44_461
; %bb.460:
	scratch_load_dwordx2 v[94:95], v11, off
	ds_read_b64 v[96:97], v1
	s_waitcnt vmcnt(0) lgkmcnt(0)
	v_mul_f64 v[94:95], v[94:95], v[96:97]
	s_cbranch_execz .LBB44_462
	s_branch .LBB44_463
.LBB44_461:
                                        ; implicit-def: $vgpr94_vgpr95
.LBB44_462:
	ds_read_b64 v[94:95], v1
.LBB44_463:
	v_cmp_ne_u32_e32 vcc, 3, v0
	s_and_saveexec_b64 s[4:5], vcc
	s_cbranch_execz .LBB44_467
; %bb.464:
	s_mov_b32 s6, 0
	v_add_u32_e32 v96, 0x178, v10
	v_add3_u32 v97, v10, s6, 8
	s_mov_b64 s[6:7], 0
	v_mov_b32_e32 v98, v0
.LBB44_465:                             ; =>This Inner Loop Header: Depth=1
	scratch_load_dwordx2 v[100:101], v97, off
	ds_read_b64 v[102:103], v96
	v_add_u32_e32 v98, 1, v98
	v_cmp_lt_u32_e32 vcc, 2, v98
	v_add_u32_e32 v96, 8, v96
	v_add_u32_e32 v97, 8, v97
	s_or_b64 s[6:7], vcc, s[6:7]
	s_waitcnt vmcnt(0) lgkmcnt(0)
	v_fmac_f64_e32 v[94:95], v[100:101], v[102:103]
	s_andn2_b64 exec, exec, s[6:7]
	s_cbranch_execnz .LBB44_465
; %bb.466:
	s_or_b64 exec, exec, s[6:7]
.LBB44_467:
	s_or_b64 exec, exec, s[4:5]
	v_mov_b32_e32 v96, 0
	ds_read_b64 v[96:97], v96 offset:32
	s_waitcnt lgkmcnt(0)
	v_mul_f64 v[94:95], v[94:95], v[96:97]
	scratch_store_dwordx2 off, v[94:95], off offset:32
.LBB44_468:
	s_or_b64 exec, exec, s[2:3]
	scratch_load_dwordx2 v[94:95], off, off offset:40
	v_cmp_gt_u32_e32 vcc, 5, v0
	s_waitcnt vmcnt(0)
	ds_write_b64 v1, v[94:95]
	s_waitcnt lgkmcnt(0)
	; wave barrier
	s_and_saveexec_b64 s[2:3], vcc
	s_cbranch_execz .LBB44_478
; %bb.469:
	s_and_b64 vcc, exec, s[0:1]
	s_cbranch_vccnz .LBB44_471
; %bb.470:
	scratch_load_dwordx2 v[94:95], v11, off
	ds_read_b64 v[96:97], v1
	s_waitcnt vmcnt(0) lgkmcnt(0)
	v_mul_f64 v[94:95], v[94:95], v[96:97]
	s_cbranch_execz .LBB44_472
	s_branch .LBB44_473
.LBB44_471:
                                        ; implicit-def: $vgpr94_vgpr95
.LBB44_472:
	ds_read_b64 v[94:95], v1
.LBB44_473:
	v_cmp_ne_u32_e32 vcc, 4, v0
	s_and_saveexec_b64 s[4:5], vcc
	s_cbranch_execz .LBB44_477
; %bb.474:
	s_mov_b32 s6, 0
	v_add_u32_e32 v96, 0x178, v10
	v_add3_u32 v97, v10, s6, 8
	s_mov_b64 s[6:7], 0
	v_mov_b32_e32 v98, v0
.LBB44_475:                             ; =>This Inner Loop Header: Depth=1
	scratch_load_dwordx2 v[100:101], v97, off
	ds_read_b64 v[102:103], v96
	v_add_u32_e32 v98, 1, v98
	v_cmp_lt_u32_e32 vcc, 3, v98
	v_add_u32_e32 v96, 8, v96
	v_add_u32_e32 v97, 8, v97
	s_or_b64 s[6:7], vcc, s[6:7]
	s_waitcnt vmcnt(0) lgkmcnt(0)
	v_fmac_f64_e32 v[94:95], v[100:101], v[102:103]
	s_andn2_b64 exec, exec, s[6:7]
	s_cbranch_execnz .LBB44_475
; %bb.476:
	s_or_b64 exec, exec, s[6:7]
.LBB44_477:
	s_or_b64 exec, exec, s[4:5]
	v_mov_b32_e32 v96, 0
	ds_read_b64 v[96:97], v96 offset:40
	s_waitcnt lgkmcnt(0)
	v_mul_f64 v[94:95], v[94:95], v[96:97]
	scratch_store_dwordx2 off, v[94:95], off offset:40
.LBB44_478:
	;; [unrolled: 55-line block ×39, first 2 shown]
	s_or_b64 exec, exec, s[2:3]
	scratch_load_dwordx2 v[94:95], off, off offset:344
	v_cmp_gt_u32_e64 s[2:3], 43, v0
	s_waitcnt vmcnt(0)
	ds_write_b64 v1, v[94:95]
	s_waitcnt lgkmcnt(0)
	; wave barrier
	s_and_saveexec_b64 s[4:5], s[2:3]
	s_cbranch_execz .LBB44_858
; %bb.849:
	s_and_b64 vcc, exec, s[0:1]
	s_cbranch_vccnz .LBB44_851
; %bb.850:
	scratch_load_dwordx2 v[94:95], v11, off
	ds_read_b64 v[96:97], v1
	s_waitcnt vmcnt(0) lgkmcnt(0)
	v_mul_f64 v[94:95], v[94:95], v[96:97]
	s_cbranch_execz .LBB44_852
	s_branch .LBB44_853
.LBB44_851:
                                        ; implicit-def: $vgpr94_vgpr95
.LBB44_852:
	ds_read_b64 v[94:95], v1
.LBB44_853:
	v_cmp_ne_u32_e32 vcc, 42, v0
	s_and_saveexec_b64 s[6:7], vcc
	s_cbranch_execz .LBB44_857
; %bb.854:
	s_mov_b32 s8, 0
	v_add_u32_e32 v96, 0x178, v10
	v_add3_u32 v97, v10, s8, 8
	s_mov_b64 s[8:9], 0
	v_mov_b32_e32 v98, v0
.LBB44_855:                             ; =>This Inner Loop Header: Depth=1
	scratch_load_dwordx2 v[100:101], v97, off
	ds_read_b64 v[102:103], v96
	v_add_u32_e32 v98, 1, v98
	v_cmp_lt_u32_e32 vcc, 41, v98
	v_add_u32_e32 v96, 8, v96
	v_add_u32_e32 v97, 8, v97
	s_or_b64 s[8:9], vcc, s[8:9]
	s_waitcnt vmcnt(0) lgkmcnt(0)
	v_fmac_f64_e32 v[94:95], v[100:101], v[102:103]
	s_andn2_b64 exec, exec, s[8:9]
	s_cbranch_execnz .LBB44_855
; %bb.856:
	s_or_b64 exec, exec, s[8:9]
.LBB44_857:
	s_or_b64 exec, exec, s[6:7]
	v_mov_b32_e32 v96, 0
	ds_read_b64 v[96:97], v96 offset:344
	s_waitcnt lgkmcnt(0)
	v_mul_f64 v[94:95], v[94:95], v[96:97]
	scratch_store_dwordx2 off, v[94:95], off offset:344
.LBB44_858:
	s_or_b64 exec, exec, s[4:5]
	scratch_load_dwordx2 v[94:95], off, off offset:352
	v_cmp_ne_u32_e32 vcc, 44, v0
	s_waitcnt vmcnt(0)
	ds_write_b64 v1, v[94:95]
	s_waitcnt lgkmcnt(0)
	; wave barrier
	s_and_saveexec_b64 s[4:5], vcc
	s_cbranch_execz .LBB44_868
; %bb.859:
	s_and_b64 vcc, exec, s[0:1]
	s_cbranch_vccnz .LBB44_861
; %bb.860:
	scratch_load_dwordx2 v[94:95], v11, off
	ds_read_b64 v[96:97], v1
	s_waitcnt vmcnt(0) lgkmcnt(0)
	v_mul_f64 v[94:95], v[94:95], v[96:97]
	s_cbranch_execz .LBB44_862
	s_branch .LBB44_863
.LBB44_861:
                                        ; implicit-def: $vgpr94_vgpr95
.LBB44_862:
	ds_read_b64 v[94:95], v1
.LBB44_863:
	s_and_saveexec_b64 s[0:1], s[2:3]
	s_cbranch_execz .LBB44_867
; %bb.864:
	s_mov_b32 s2, 0
	v_add_u32_e32 v1, 0x178, v10
	v_add3_u32 v10, v10, s2, 8
	s_mov_b64 s[2:3], 0
.LBB44_865:                             ; =>This Inner Loop Header: Depth=1
	scratch_load_dwordx2 v[96:97], v10, off
	ds_read_b64 v[98:99], v1
	v_add_u32_e32 v0, 1, v0
	v_cmp_lt_u32_e32 vcc, 42, v0
	v_add_u32_e32 v1, 8, v1
	v_add_u32_e32 v10, 8, v10
	s_or_b64 s[2:3], vcc, s[2:3]
	s_waitcnt vmcnt(0) lgkmcnt(0)
	v_fmac_f64_e32 v[94:95], v[96:97], v[98:99]
	s_andn2_b64 exec, exec, s[2:3]
	s_cbranch_execnz .LBB44_865
; %bb.866:
	s_or_b64 exec, exec, s[2:3]
.LBB44_867:
	s_or_b64 exec, exec, s[0:1]
	v_mov_b32_e32 v0, 0
	ds_read_b64 v[0:1], v0 offset:352
	s_waitcnt lgkmcnt(0)
	v_mul_f64 v[0:1], v[94:95], v[0:1]
	scratch_store_dwordx2 off, v[0:1], off offset:352
.LBB44_868:
	s_or_b64 exec, exec, s[4:5]
.LBB44_869:
	scratch_load_dwordx4 v[94:97], off, off
	s_waitcnt vmcnt(0)
	global_store_dwordx2 v[2:3], v[94:95], off
	global_store_dwordx2 v[4:5], v[96:97], off
	scratch_load_dwordx4 v[0:3], off, off offset:16
	s_waitcnt vmcnt(0)
	global_store_dwordx2 v[6:7], v[0:1], off
	global_store_dwordx2 v[8:9], v[2:3], off
	scratch_load_dwordx4 v[0:3], off, off offset:32
	s_waitcnt vmcnt(0)
	global_store_dwordx2 v[12:13], v[0:1], off
	global_store_dwordx2 v[14:15], v[2:3], off
	scratch_load_dwordx4 v[0:3], off, off offset:48
	s_waitcnt vmcnt(0)
	global_store_dwordx2 v[16:17], v[0:1], off
	global_store_dwordx2 v[18:19], v[2:3], off
	scratch_load_dwordx4 v[0:3], off, off offset:64
	s_waitcnt vmcnt(0)
	global_store_dwordx2 v[20:21], v[0:1], off
	global_store_dwordx2 v[22:23], v[2:3], off
	scratch_load_dwordx4 v[0:3], off, off offset:80
	s_waitcnt vmcnt(0)
	global_store_dwordx2 v[24:25], v[0:1], off
	global_store_dwordx2 v[26:27], v[2:3], off
	scratch_load_dwordx4 v[0:3], off, off offset:96
	s_waitcnt vmcnt(0)
	global_store_dwordx2 v[28:29], v[0:1], off
	global_store_dwordx2 v[30:31], v[2:3], off
	scratch_load_dwordx4 v[0:3], off, off offset:112
	s_waitcnt vmcnt(0)
	global_store_dwordx2 v[32:33], v[0:1], off
	global_store_dwordx2 v[34:35], v[2:3], off
	scratch_load_dwordx4 v[0:3], off, off offset:128
	s_waitcnt vmcnt(0)
	global_store_dwordx2 v[36:37], v[0:1], off
	global_store_dwordx2 v[38:39], v[2:3], off
	scratch_load_dwordx4 v[0:3], off, off offset:144
	s_waitcnt vmcnt(0)
	global_store_dwordx2 v[40:41], v[0:1], off
	global_store_dwordx2 v[42:43], v[2:3], off
	scratch_load_dwordx4 v[0:3], off, off offset:160
	s_waitcnt vmcnt(0)
	global_store_dwordx2 v[44:45], v[0:1], off
	global_store_dwordx2 v[46:47], v[2:3], off
	scratch_load_dwordx4 v[0:3], off, off offset:176
	s_waitcnt vmcnt(0)
	global_store_dwordx2 v[48:49], v[0:1], off
	global_store_dwordx2 v[50:51], v[2:3], off
	scratch_load_dwordx4 v[0:3], off, off offset:192
	s_waitcnt vmcnt(0)
	global_store_dwordx2 v[52:53], v[0:1], off
	global_store_dwordx2 v[54:55], v[2:3], off
	scratch_load_dwordx4 v[0:3], off, off offset:208
	s_waitcnt vmcnt(0)
	global_store_dwordx2 v[56:57], v[0:1], off
	global_store_dwordx2 v[58:59], v[2:3], off
	scratch_load_dwordx4 v[0:3], off, off offset:224
	s_waitcnt vmcnt(0)
	global_store_dwordx2 v[60:61], v[0:1], off
	global_store_dwordx2 v[62:63], v[2:3], off
	scratch_load_dwordx4 v[0:3], off, off offset:240
	s_waitcnt vmcnt(0)
	global_store_dwordx2 v[64:65], v[0:1], off
	global_store_dwordx2 v[66:67], v[2:3], off
	scratch_load_dwordx4 v[0:3], off, off offset:256
	s_waitcnt vmcnt(0)
	global_store_dwordx2 v[68:69], v[0:1], off
	global_store_dwordx2 v[70:71], v[2:3], off
	scratch_load_dwordx4 v[0:3], off, off offset:272
	s_waitcnt vmcnt(0)
	global_store_dwordx2 v[72:73], v[0:1], off
	global_store_dwordx2 v[74:75], v[2:3], off
	scratch_load_dwordx4 v[0:3], off, off offset:288
	s_waitcnt vmcnt(0)
	global_store_dwordx2 v[76:77], v[0:1], off
	global_store_dwordx2 v[78:79], v[2:3], off
	scratch_load_dwordx4 v[0:3], off, off offset:304
	s_waitcnt vmcnt(0)
	global_store_dwordx2 v[80:81], v[0:1], off
	global_store_dwordx2 v[82:83], v[2:3], off
	scratch_load_dwordx4 v[0:3], off, off offset:320
	s_waitcnt vmcnt(0)
	global_store_dwordx2 v[84:85], v[0:1], off
	global_store_dwordx2 v[88:89], v[2:3], off
	scratch_load_dwordx4 v[0:3], off, off offset:336
	s_waitcnt vmcnt(0)
	global_store_dwordx2 v[90:91], v[0:1], off
	global_store_dwordx2 v[92:93], v[2:3], off
	scratch_load_dwordx2 v[0:1], off, off offset:352
	s_waitcnt vmcnt(0)
	global_store_dwordx2 v[86:87], v[0:1], off
.LBB44_870:
	s_endpgm
	.section	.rodata,"a",@progbits
	.p2align	6, 0x0
	.amdhsa_kernel _ZN9rocsolver6v33100L18trti2_kernel_smallILi45EdPdEEv13rocblas_fill_17rocblas_diagonal_T1_iil
		.amdhsa_group_segment_fixed_size 728
		.amdhsa_private_segment_fixed_size 368
		.amdhsa_kernarg_size 32
		.amdhsa_user_sgpr_count 2
		.amdhsa_user_sgpr_dispatch_ptr 0
		.amdhsa_user_sgpr_queue_ptr 0
		.amdhsa_user_sgpr_kernarg_segment_ptr 1
		.amdhsa_user_sgpr_dispatch_id 0
		.amdhsa_user_sgpr_kernarg_preload_length 0
		.amdhsa_user_sgpr_kernarg_preload_offset 0
		.amdhsa_user_sgpr_private_segment_size 0
		.amdhsa_uses_dynamic_stack 0
		.amdhsa_enable_private_segment 1
		.amdhsa_system_sgpr_workgroup_id_x 1
		.amdhsa_system_sgpr_workgroup_id_y 0
		.amdhsa_system_sgpr_workgroup_id_z 0
		.amdhsa_system_sgpr_workgroup_info 0
		.amdhsa_system_vgpr_workitem_id 0
		.amdhsa_next_free_vgpr 104
		.amdhsa_next_free_sgpr 32
		.amdhsa_accum_offset 104
		.amdhsa_reserve_vcc 1
		.amdhsa_float_round_mode_32 0
		.amdhsa_float_round_mode_16_64 0
		.amdhsa_float_denorm_mode_32 3
		.amdhsa_float_denorm_mode_16_64 3
		.amdhsa_dx10_clamp 1
		.amdhsa_ieee_mode 1
		.amdhsa_fp16_overflow 0
		.amdhsa_tg_split 0
		.amdhsa_exception_fp_ieee_invalid_op 0
		.amdhsa_exception_fp_denorm_src 0
		.amdhsa_exception_fp_ieee_div_zero 0
		.amdhsa_exception_fp_ieee_overflow 0
		.amdhsa_exception_fp_ieee_underflow 0
		.amdhsa_exception_fp_ieee_inexact 0
		.amdhsa_exception_int_div_zero 0
	.end_amdhsa_kernel
	.section	.text._ZN9rocsolver6v33100L18trti2_kernel_smallILi45EdPdEEv13rocblas_fill_17rocblas_diagonal_T1_iil,"axG",@progbits,_ZN9rocsolver6v33100L18trti2_kernel_smallILi45EdPdEEv13rocblas_fill_17rocblas_diagonal_T1_iil,comdat
.Lfunc_end44:
	.size	_ZN9rocsolver6v33100L18trti2_kernel_smallILi45EdPdEEv13rocblas_fill_17rocblas_diagonal_T1_iil, .Lfunc_end44-_ZN9rocsolver6v33100L18trti2_kernel_smallILi45EdPdEEv13rocblas_fill_17rocblas_diagonal_T1_iil
                                        ; -- End function
	.set _ZN9rocsolver6v33100L18trti2_kernel_smallILi45EdPdEEv13rocblas_fill_17rocblas_diagonal_T1_iil.num_vgpr, 104
	.set _ZN9rocsolver6v33100L18trti2_kernel_smallILi45EdPdEEv13rocblas_fill_17rocblas_diagonal_T1_iil.num_agpr, 0
	.set _ZN9rocsolver6v33100L18trti2_kernel_smallILi45EdPdEEv13rocblas_fill_17rocblas_diagonal_T1_iil.numbered_sgpr, 32
	.set _ZN9rocsolver6v33100L18trti2_kernel_smallILi45EdPdEEv13rocblas_fill_17rocblas_diagonal_T1_iil.num_named_barrier, 0
	.set _ZN9rocsolver6v33100L18trti2_kernel_smallILi45EdPdEEv13rocblas_fill_17rocblas_diagonal_T1_iil.private_seg_size, 368
	.set _ZN9rocsolver6v33100L18trti2_kernel_smallILi45EdPdEEv13rocblas_fill_17rocblas_diagonal_T1_iil.uses_vcc, 1
	.set _ZN9rocsolver6v33100L18trti2_kernel_smallILi45EdPdEEv13rocblas_fill_17rocblas_diagonal_T1_iil.uses_flat_scratch, 0
	.set _ZN9rocsolver6v33100L18trti2_kernel_smallILi45EdPdEEv13rocblas_fill_17rocblas_diagonal_T1_iil.has_dyn_sized_stack, 0
	.set _ZN9rocsolver6v33100L18trti2_kernel_smallILi45EdPdEEv13rocblas_fill_17rocblas_diagonal_T1_iil.has_recursion, 0
	.set _ZN9rocsolver6v33100L18trti2_kernel_smallILi45EdPdEEv13rocblas_fill_17rocblas_diagonal_T1_iil.has_indirect_call, 0
	.section	.AMDGPU.csdata,"",@progbits
; Kernel info:
; codeLenInByte = 21392
; TotalNumSgprs: 38
; NumVgprs: 104
; NumAgprs: 0
; TotalNumVgprs: 104
; ScratchSize: 368
; MemoryBound: 0
; FloatMode: 240
; IeeeMode: 1
; LDSByteSize: 728 bytes/workgroup (compile time only)
; SGPRBlocks: 4
; VGPRBlocks: 12
; NumSGPRsForWavesPerEU: 38
; NumVGPRsForWavesPerEU: 104
; AccumOffset: 104
; Occupancy: 4
; WaveLimiterHint : 0
; COMPUTE_PGM_RSRC2:SCRATCH_EN: 1
; COMPUTE_PGM_RSRC2:USER_SGPR: 2
; COMPUTE_PGM_RSRC2:TRAP_HANDLER: 0
; COMPUTE_PGM_RSRC2:TGID_X_EN: 1
; COMPUTE_PGM_RSRC2:TGID_Y_EN: 0
; COMPUTE_PGM_RSRC2:TGID_Z_EN: 0
; COMPUTE_PGM_RSRC2:TIDIG_COMP_CNT: 0
; COMPUTE_PGM_RSRC3_GFX90A:ACCUM_OFFSET: 25
; COMPUTE_PGM_RSRC3_GFX90A:TG_SPLIT: 0
	.section	.text._ZN9rocsolver6v33100L18trti2_kernel_smallILi46EdPdEEv13rocblas_fill_17rocblas_diagonal_T1_iil,"axG",@progbits,_ZN9rocsolver6v33100L18trti2_kernel_smallILi46EdPdEEv13rocblas_fill_17rocblas_diagonal_T1_iil,comdat
	.globl	_ZN9rocsolver6v33100L18trti2_kernel_smallILi46EdPdEEv13rocblas_fill_17rocblas_diagonal_T1_iil ; -- Begin function _ZN9rocsolver6v33100L18trti2_kernel_smallILi46EdPdEEv13rocblas_fill_17rocblas_diagonal_T1_iil
	.p2align	8
	.type	_ZN9rocsolver6v33100L18trti2_kernel_smallILi46EdPdEEv13rocblas_fill_17rocblas_diagonal_T1_iil,@function
_ZN9rocsolver6v33100L18trti2_kernel_smallILi46EdPdEEv13rocblas_fill_17rocblas_diagonal_T1_iil: ; @_ZN9rocsolver6v33100L18trti2_kernel_smallILi46EdPdEEv13rocblas_fill_17rocblas_diagonal_T1_iil
; %bb.0:
	v_cmp_gt_u32_e32 vcc, 46, v0
	s_and_saveexec_b64 s[4:5], vcc
	s_cbranch_execz .LBB45_890
; %bb.1:
	s_load_dwordx8 s[4:11], s[0:1], 0x0
	s_ashr_i32 s3, s2, 31
	v_lshlrev_b32_e32 v16, 3, v0
	v_mov_b32_e32 v17, 0
	s_waitcnt lgkmcnt(0)
	s_ashr_i32 s1, s8, 31
	s_mov_b32 s0, s8
	s_mul_hi_u32 s8, s10, s2
	s_mul_i32 s3, s10, s3
	s_add_i32 s3, s8, s3
	s_mul_i32 s8, s11, s2
	s_add_i32 s3, s3, s8
	s_mul_i32 s2, s10, s2
	s_lshl_b64 s[2:3], s[2:3], 3
	s_add_u32 s2, s6, s2
	s_addc_u32 s3, s7, s3
	s_lshl_b64 s[0:1], s[0:1], 3
	s_add_u32 s0, s2, s0
	s_addc_u32 s1, s3, s1
	v_lshl_add_u64 v[2:3], s[0:1], 0, v[16:17]
	s_ashr_i32 s3, s9, 31
	s_mov_b32 s2, s9
	v_lshl_add_u64 v[4:5], s[2:3], 3, v[2:3]
	global_load_dwordx2 v[6:7], v16, s[0:1]
	global_load_dwordx2 v[8:9], v[4:5], off
	s_add_i32 s2, s9, s9
	s_cmpk_lg_i32 s5, 0x84
	s_cselect_b64 s[6:7], -1, 0
	s_cmpk_eq_i32 s5, 0x84
	s_waitcnt vmcnt(0)
	scratch_store_dwordx4 off, v[6:9], off
	s_nop 1
	v_add_u32_e32 v8, s2, v0
	v_add_u32_e32 v10, s9, v8
	v_ashrrev_i32_e32 v9, 31, v8
	v_ashrrev_i32_e32 v11, 31, v10
	v_lshl_add_u64 v[6:7], v[8:9], 3, s[0:1]
	v_lshl_add_u64 v[8:9], v[10:11], 3, s[0:1]
	global_load_dwordx2 v[12:13], v[6:7], off
	global_load_dwordx2 v[14:15], v[8:9], off
	s_waitcnt vmcnt(0)
	scratch_store_dwordx4 off, v[12:15], off offset:16
	s_nop 1
	v_add_u32_e32 v12, s9, v10
	v_add_u32_e32 v14, s9, v12
	v_ashrrev_i32_e32 v13, 31, v12
	v_ashrrev_i32_e32 v15, 31, v14
	v_lshl_add_u64 v[10:11], v[12:13], 3, s[0:1]
	v_lshl_add_u64 v[12:13], v[14:15], 3, s[0:1]
	global_load_dwordx2 v[18:19], v[10:11], off
	global_load_dwordx2 v[20:21], v[12:13], off
	s_waitcnt vmcnt(0)
	scratch_store_dwordx4 off, v[18:21], off offset:32
	s_nop 1
	v_add_u32_e32 v18, s9, v14
	v_add_u32_e32 v20, s9, v18
	v_ashrrev_i32_e32 v19, 31, v18
	v_ashrrev_i32_e32 v21, 31, v20
	v_lshl_add_u64 v[14:15], v[18:19], 3, s[0:1]
	v_lshl_add_u64 v[18:19], v[20:21], 3, s[0:1]
	global_load_dwordx2 v[22:23], v[14:15], off
	global_load_dwordx2 v[24:25], v[18:19], off
	s_waitcnt vmcnt(0)
	scratch_store_dwordx4 off, v[22:25], off offset:48
	s_nop 1
	v_add_u32_e32 v22, s9, v20
	v_add_u32_e32 v24, s9, v22
	v_ashrrev_i32_e32 v23, 31, v22
	v_ashrrev_i32_e32 v25, 31, v24
	v_lshl_add_u64 v[20:21], v[22:23], 3, s[0:1]
	v_lshl_add_u64 v[22:23], v[24:25], 3, s[0:1]
	global_load_dwordx2 v[26:27], v[20:21], off
	global_load_dwordx2 v[28:29], v[22:23], off
	s_waitcnt vmcnt(0)
	scratch_store_dwordx4 off, v[26:29], off offset:64
	s_nop 1
	v_add_u32_e32 v26, s9, v24
	v_add_u32_e32 v28, s9, v26
	v_ashrrev_i32_e32 v27, 31, v26
	v_ashrrev_i32_e32 v29, 31, v28
	v_lshl_add_u64 v[24:25], v[26:27], 3, s[0:1]
	v_lshl_add_u64 v[26:27], v[28:29], 3, s[0:1]
	global_load_dwordx2 v[30:31], v[24:25], off
	global_load_dwordx2 v[32:33], v[26:27], off
	s_waitcnt vmcnt(0)
	scratch_store_dwordx4 off, v[30:33], off offset:80
	s_nop 1
	v_add_u32_e32 v30, s9, v28
	v_add_u32_e32 v32, s9, v30
	v_ashrrev_i32_e32 v31, 31, v30
	v_ashrrev_i32_e32 v33, 31, v32
	v_lshl_add_u64 v[28:29], v[30:31], 3, s[0:1]
	v_lshl_add_u64 v[30:31], v[32:33], 3, s[0:1]
	global_load_dwordx2 v[34:35], v[28:29], off
	global_load_dwordx2 v[36:37], v[30:31], off
	s_waitcnt vmcnt(0)
	scratch_store_dwordx4 off, v[34:37], off offset:96
	s_nop 1
	v_add_u32_e32 v34, s9, v32
	v_add_u32_e32 v36, s9, v34
	v_ashrrev_i32_e32 v35, 31, v34
	v_ashrrev_i32_e32 v37, 31, v36
	v_lshl_add_u64 v[32:33], v[34:35], 3, s[0:1]
	v_lshl_add_u64 v[34:35], v[36:37], 3, s[0:1]
	global_load_dwordx2 v[38:39], v[32:33], off
	global_load_dwordx2 v[40:41], v[34:35], off
	s_waitcnt vmcnt(0)
	scratch_store_dwordx4 off, v[38:41], off offset:112
	s_nop 1
	v_add_u32_e32 v38, s9, v36
	v_add_u32_e32 v40, s9, v38
	v_ashrrev_i32_e32 v39, 31, v38
	v_ashrrev_i32_e32 v41, 31, v40
	v_lshl_add_u64 v[36:37], v[38:39], 3, s[0:1]
	v_lshl_add_u64 v[38:39], v[40:41], 3, s[0:1]
	global_load_dwordx2 v[42:43], v[36:37], off
	global_load_dwordx2 v[44:45], v[38:39], off
	s_waitcnt vmcnt(0)
	scratch_store_dwordx4 off, v[42:45], off offset:128
	s_nop 1
	v_add_u32_e32 v42, s9, v40
	v_add_u32_e32 v44, s9, v42
	v_ashrrev_i32_e32 v43, 31, v42
	v_ashrrev_i32_e32 v45, 31, v44
	v_lshl_add_u64 v[40:41], v[42:43], 3, s[0:1]
	v_lshl_add_u64 v[42:43], v[44:45], 3, s[0:1]
	global_load_dwordx2 v[46:47], v[40:41], off
	global_load_dwordx2 v[48:49], v[42:43], off
	s_waitcnt vmcnt(0)
	scratch_store_dwordx4 off, v[46:49], off offset:144
	s_nop 1
	v_add_u32_e32 v46, s9, v44
	v_add_u32_e32 v48, s9, v46
	v_ashrrev_i32_e32 v47, 31, v46
	v_ashrrev_i32_e32 v49, 31, v48
	v_lshl_add_u64 v[44:45], v[46:47], 3, s[0:1]
	v_lshl_add_u64 v[46:47], v[48:49], 3, s[0:1]
	global_load_dwordx2 v[50:51], v[44:45], off
	global_load_dwordx2 v[52:53], v[46:47], off
	s_waitcnt vmcnt(0)
	scratch_store_dwordx4 off, v[50:53], off offset:160
	s_nop 1
	v_add_u32_e32 v50, s9, v48
	v_add_u32_e32 v52, s9, v50
	v_ashrrev_i32_e32 v51, 31, v50
	v_ashrrev_i32_e32 v53, 31, v52
	v_lshl_add_u64 v[48:49], v[50:51], 3, s[0:1]
	v_lshl_add_u64 v[50:51], v[52:53], 3, s[0:1]
	global_load_dwordx2 v[54:55], v[48:49], off
	global_load_dwordx2 v[56:57], v[50:51], off
	s_waitcnt vmcnt(0)
	scratch_store_dwordx4 off, v[54:57], off offset:176
	s_nop 1
	v_add_u32_e32 v54, s9, v52
	v_add_u32_e32 v56, s9, v54
	v_ashrrev_i32_e32 v55, 31, v54
	v_ashrrev_i32_e32 v57, 31, v56
	v_lshl_add_u64 v[52:53], v[54:55], 3, s[0:1]
	v_lshl_add_u64 v[54:55], v[56:57], 3, s[0:1]
	global_load_dwordx2 v[58:59], v[52:53], off
	global_load_dwordx2 v[60:61], v[54:55], off
	s_waitcnt vmcnt(0)
	scratch_store_dwordx4 off, v[58:61], off offset:192
	s_nop 1
	v_add_u32_e32 v58, s9, v56
	v_add_u32_e32 v60, s9, v58
	v_ashrrev_i32_e32 v59, 31, v58
	v_ashrrev_i32_e32 v61, 31, v60
	v_lshl_add_u64 v[56:57], v[58:59], 3, s[0:1]
	v_lshl_add_u64 v[58:59], v[60:61], 3, s[0:1]
	global_load_dwordx2 v[62:63], v[56:57], off
	global_load_dwordx2 v[64:65], v[58:59], off
	s_waitcnt vmcnt(0)
	scratch_store_dwordx4 off, v[62:65], off offset:208
	s_nop 1
	v_add_u32_e32 v62, s9, v60
	v_add_u32_e32 v64, s9, v62
	v_ashrrev_i32_e32 v63, 31, v62
	v_ashrrev_i32_e32 v65, 31, v64
	v_lshl_add_u64 v[60:61], v[62:63], 3, s[0:1]
	v_lshl_add_u64 v[62:63], v[64:65], 3, s[0:1]
	global_load_dwordx2 v[66:67], v[60:61], off
	global_load_dwordx2 v[68:69], v[62:63], off
	s_waitcnt vmcnt(0)
	scratch_store_dwordx4 off, v[66:69], off offset:224
	s_nop 1
	v_add_u32_e32 v66, s9, v64
	v_add_u32_e32 v68, s9, v66
	v_ashrrev_i32_e32 v67, 31, v66
	v_ashrrev_i32_e32 v69, 31, v68
	v_lshl_add_u64 v[64:65], v[66:67], 3, s[0:1]
	v_lshl_add_u64 v[66:67], v[68:69], 3, s[0:1]
	global_load_dwordx2 v[70:71], v[64:65], off
	global_load_dwordx2 v[72:73], v[66:67], off
	s_waitcnt vmcnt(0)
	scratch_store_dwordx4 off, v[70:73], off offset:240
	s_nop 1
	v_add_u32_e32 v70, s9, v68
	v_add_u32_e32 v72, s9, v70
	v_ashrrev_i32_e32 v71, 31, v70
	v_ashrrev_i32_e32 v73, 31, v72
	v_lshl_add_u64 v[68:69], v[70:71], 3, s[0:1]
	v_lshl_add_u64 v[70:71], v[72:73], 3, s[0:1]
	global_load_dwordx2 v[74:75], v[68:69], off
	global_load_dwordx2 v[76:77], v[70:71], off
	s_waitcnt vmcnt(0)
	scratch_store_dwordx4 off, v[74:77], off offset:256
	s_nop 1
	v_add_u32_e32 v74, s9, v72
	v_add_u32_e32 v76, s9, v74
	v_ashrrev_i32_e32 v75, 31, v74
	v_ashrrev_i32_e32 v77, 31, v76
	v_lshl_add_u64 v[72:73], v[74:75], 3, s[0:1]
	v_lshl_add_u64 v[74:75], v[76:77], 3, s[0:1]
	global_load_dwordx2 v[78:79], v[72:73], off
	global_load_dwordx2 v[80:81], v[74:75], off
	s_waitcnt vmcnt(0)
	scratch_store_dwordx4 off, v[78:81], off offset:272
	s_nop 1
	v_add_u32_e32 v78, s9, v76
	v_add_u32_e32 v80, s9, v78
	v_ashrrev_i32_e32 v79, 31, v78
	v_ashrrev_i32_e32 v81, 31, v80
	v_lshl_add_u64 v[76:77], v[78:79], 3, s[0:1]
	v_lshl_add_u64 v[78:79], v[80:81], 3, s[0:1]
	global_load_dwordx2 v[82:83], v[76:77], off
	global_load_dwordx2 v[84:85], v[78:79], off
	v_add_u32_e32 v80, s9, v80
	v_ashrrev_i32_e32 v81, 31, v80
	s_waitcnt vmcnt(0)
	scratch_store_dwordx4 off, v[82:85], off offset:288
	s_nop 1
	v_lshl_add_u64 v[82:83], v[80:81], 3, s[0:1]
	v_add_u32_e32 v80, s9, v80
	v_ashrrev_i32_e32 v81, 31, v80
	v_lshl_add_u64 v[86:87], v[80:81], 3, s[0:1]
	global_load_dwordx2 v[88:89], v[82:83], off
	global_load_dwordx2 v[90:91], v[86:87], off
	v_add_u32_e32 v80, s9, v80
	v_ashrrev_i32_e32 v81, 31, v80
	s_waitcnt vmcnt(0)
	scratch_store_dwordx4 off, v[88:91], off offset:304
	s_nop 1
	v_lshl_add_u64 v[88:89], v[80:81], 3, s[0:1]
	v_add_u32_e32 v80, s9, v80
	v_ashrrev_i32_e32 v81, 31, v80
	;; [unrolled: 11-line block ×3, first 2 shown]
	v_lshl_add_u64 v[94:95], v[80:81], 3, s[0:1]
	global_load_dwordx2 v[96:97], v[92:93], off
	global_load_dwordx2 v[98:99], v[94:95], off
	v_add_u32_e32 v84, s9, v80
	v_ashrrev_i32_e32 v85, 31, v84
	v_lshl_add_u64 v[80:81], v[84:85], 3, s[0:1]
	v_add_u32_e32 v84, s9, v84
	v_ashrrev_i32_e32 v85, 31, v84
	v_lshl_add_u64 v[84:85], v[84:85], 3, s[0:1]
	s_waitcnt vmcnt(0)
	scratch_store_dwordx4 off, v[96:99], off offset:336
	global_load_dwordx2 v[96:97], v[80:81], off
	s_nop 0
	global_load_dwordx2 v[98:99], v[84:85], off
	s_waitcnt vmcnt(0)
	scratch_store_dwordx4 off, v[96:99], off offset:352
	s_nop 1
	v_mov_b64_e32 v[96:97], -1.0
	s_cbranch_scc1 .LBB45_3
; %bb.2:
	scratch_load_dwordx2 v[96:97], v16, off
	s_waitcnt vmcnt(0)
	v_div_scale_f64 v[98:99], s[0:1], v[96:97], v[96:97], 1.0
	v_rcp_f64_e32 v[100:101], v[98:99]
	v_div_scale_f64 v[102:103], vcc, 1.0, v[96:97], 1.0
	v_fma_f64 v[104:105], -v[98:99], v[100:101], 1.0
	v_fmac_f64_e32 v[100:101], v[100:101], v[104:105]
	v_fma_f64 v[104:105], -v[98:99], v[100:101], 1.0
	v_fmac_f64_e32 v[100:101], v[100:101], v[104:105]
	v_mul_f64 v[104:105], v[102:103], v[100:101]
	v_fma_f64 v[98:99], -v[98:99], v[104:105], v[102:103]
	v_div_fmas_f64 v[98:99], v[98:99], v[100:101], v[104:105]
	v_div_fixup_f64 v[96:97], v[98:99], v[96:97], 1.0
	scratch_store_dwordx2 v16, v[96:97], off
	v_xor_b32_e32 v97, 0x80000000, v97
.LBB45_3:
	s_cmpk_eq_i32 s4, 0x79
	v_add_u32_e32 v1, 0x170, v16
	v_mov_b32_e32 v17, v16
	s_mov_b64 s[0:1], -1
	ds_write_b64 v16, v[96:97]
	s_cbranch_scc1 .LBB45_447
; %bb.4:
	scratch_load_dwordx2 v[96:97], off, off offset:352
	s_movk_i32 s8, 0x50
	s_movk_i32 s9, 0x60
	;; [unrolled: 1-line block ×17, first 2 shown]
	v_cmp_eq_u32_e64 s[0:1], 45, v0
	s_waitcnt vmcnt(0)
	ds_write_b64 v1, v[96:97]
	s_waitcnt lgkmcnt(0)
	; wave barrier
	s_and_saveexec_b64 s[2:3], s[0:1]
	s_cbranch_execz .LBB45_10
; %bb.5:
	s_and_b64 vcc, exec, s[6:7]
	s_cbranch_vccz .LBB45_7
; %bb.6:
	scratch_load_dwordx2 v[96:97], v17, off
	ds_read_b64 v[98:99], v1
	s_waitcnt vmcnt(0) lgkmcnt(0)
	v_mul_f64 v[96:97], v[96:97], v[98:99]
	s_cbranch_execz .LBB45_8
	s_branch .LBB45_9
.LBB45_7:
                                        ; implicit-def: $vgpr96_vgpr97
.LBB45_8:
	ds_read_b64 v[96:97], v1
.LBB45_9:
	v_mov_b32_e32 v98, 0
	ds_read_b64 v[98:99], v98 offset:352
	s_waitcnt lgkmcnt(0)
	v_mul_f64 v[96:97], v[96:97], v[98:99]
	scratch_store_dwordx2 off, v[96:97], off offset:352
.LBB45_10:
	s_or_b64 exec, exec, s[2:3]
	scratch_load_dwordx2 v[96:97], off, off offset:344
	s_mov_b32 s10, 16
	s_mov_b32 s11, 32
	;; [unrolled: 1-line block ×6, first 2 shown]
	v_cmp_lt_u32_e64 s[2:3], 43, v0
	s_waitcnt vmcnt(0)
	ds_write_b64 v1, v[96:97]
	s_waitcnt lgkmcnt(0)
	; wave barrier
	s_and_saveexec_b64 s[4:5], s[2:3]
	s_cbranch_execz .LBB45_16
; %bb.11:
	s_andn2_b64 vcc, exec, s[6:7]
	s_cbranch_vccnz .LBB45_13
; %bb.12:
	scratch_load_dwordx2 v[96:97], v17, off
	ds_read_b64 v[98:99], v1
	s_waitcnt vmcnt(0) lgkmcnt(0)
	v_mul_f64 v[96:97], v[96:97], v[98:99]
	s_cbranch_execz .LBB45_14
	s_branch .LBB45_15
.LBB45_13:
                                        ; implicit-def: $vgpr96_vgpr97
.LBB45_14:
	ds_read_b64 v[96:97], v1
.LBB45_15:
	scratch_load_dwordx2 v[102:103], off, off offset:352
	v_mov_b32_e32 v98, 0
	ds_read2_b64 v[98:101], v98 offset0:43 offset1:90
	s_waitcnt vmcnt(0) lgkmcnt(0)
	v_fma_f64 v[100:101], v[102:103], v[100:101], v[96:97]
	v_cndmask_b32_e64 v97, v97, v101, s[0:1]
	v_cndmask_b32_e64 v96, v96, v100, s[0:1]
	v_mul_f64 v[96:97], v[96:97], v[98:99]
	scratch_store_dwordx2 off, v[96:97], off offset:344
.LBB45_16:
	s_or_b64 exec, exec, s[4:5]
	scratch_load_dwordx2 v[96:97], off, off offset:336
	v_cmp_lt_u32_e64 s[0:1], 42, v0
	s_waitcnt vmcnt(0)
	ds_write_b64 v1, v[96:97]
	s_waitcnt lgkmcnt(0)
	; wave barrier
	s_and_saveexec_b64 s[4:5], s[0:1]
	s_cbranch_execz .LBB45_26
; %bb.17:
	s_andn2_b64 vcc, exec, s[6:7]
	s_cbranch_vccnz .LBB45_19
; %bb.18:
	scratch_load_dwordx2 v[96:97], v17, off
	ds_read_b64 v[98:99], v1
	s_waitcnt vmcnt(0) lgkmcnt(0)
	v_mul_f64 v[96:97], v[96:97], v[98:99]
	s_cbranch_execz .LBB45_20
	s_branch .LBB45_21
.LBB45_19:
                                        ; implicit-def: $vgpr96_vgpr97
.LBB45_20:
	ds_read_b64 v[96:97], v1
.LBB45_21:
	s_and_saveexec_b64 s[8:9], s[2:3]
	s_cbranch_execz .LBB45_25
; %bb.22:
	s_movk_i32 s31, 0x158
	v_subrev_u32_e32 v98, 43, v0
	s_movk_i32 s33, 0x2c8
	s_mov_b64 s[2:3], 0
.LBB45_23:                              ; =>This Inner Loop Header: Depth=1
	scratch_load_dwordx2 v[100:101], off, s31
	v_mov_b32_e32 v99, s33
	ds_read_b64 v[102:103], v99
	v_add_u32_e32 v98, -1, v98
	s_add_i32 s33, s33, 8
	s_add_i32 s31, s31, 8
	v_cmp_eq_u32_e32 vcc, 0, v98
	s_or_b64 s[2:3], vcc, s[2:3]
	s_waitcnt vmcnt(0) lgkmcnt(0)
	v_fmac_f64_e32 v[96:97], v[100:101], v[102:103]
	s_andn2_b64 exec, exec, s[2:3]
	s_cbranch_execnz .LBB45_23
; %bb.24:
	s_or_b64 exec, exec, s[2:3]
.LBB45_25:
	s_or_b64 exec, exec, s[8:9]
	v_mov_b32_e32 v98, 0
	ds_read_b64 v[98:99], v98 offset:336
	s_waitcnt lgkmcnt(0)
	v_mul_f64 v[96:97], v[96:97], v[98:99]
	scratch_store_dwordx2 off, v[96:97], off offset:336
.LBB45_26:
	s_or_b64 exec, exec, s[4:5]
	scratch_load_dwordx2 v[96:97], off, off offset:328
	v_cmp_lt_u32_e64 s[2:3], 41, v0
	s_waitcnt vmcnt(0)
	ds_write_b64 v1, v[96:97]
	s_waitcnt lgkmcnt(0)
	; wave barrier
	s_and_saveexec_b64 s[4:5], s[2:3]
	s_cbranch_execz .LBB45_36
; %bb.27:
	s_andn2_b64 vcc, exec, s[6:7]
	s_cbranch_vccnz .LBB45_29
; %bb.28:
	scratch_load_dwordx2 v[96:97], v17, off
	ds_read_b64 v[98:99], v1
	s_waitcnt vmcnt(0) lgkmcnt(0)
	v_mul_f64 v[96:97], v[96:97], v[98:99]
	s_cbranch_execz .LBB45_30
	s_branch .LBB45_31
.LBB45_29:
                                        ; implicit-def: $vgpr96_vgpr97
.LBB45_30:
	ds_read_b64 v[96:97], v1
.LBB45_31:
	s_and_saveexec_b64 s[8:9], s[0:1]
	s_cbranch_execz .LBB45_35
; %bb.32:
	v_subrev_u32_e32 v98, 42, v0
	s_movk_i32 s31, 0x2c0
	s_mov_b64 s[0:1], 0
.LBB45_33:                              ; =>This Inner Loop Header: Depth=1
	scratch_load_dwordx2 v[100:101], off, s30
	v_mov_b32_e32 v99, s31
	ds_read_b64 v[102:103], v99
	v_add_u32_e32 v98, -1, v98
	s_add_i32 s31, s31, 8
	s_add_i32 s30, s30, 8
	v_cmp_eq_u32_e32 vcc, 0, v98
	s_or_b64 s[0:1], vcc, s[0:1]
	s_waitcnt vmcnt(0) lgkmcnt(0)
	v_fmac_f64_e32 v[96:97], v[100:101], v[102:103]
	s_andn2_b64 exec, exec, s[0:1]
	s_cbranch_execnz .LBB45_33
; %bb.34:
	s_or_b64 exec, exec, s[0:1]
.LBB45_35:
	s_or_b64 exec, exec, s[8:9]
	v_mov_b32_e32 v98, 0
	ds_read_b64 v[98:99], v98 offset:328
	s_waitcnt lgkmcnt(0)
	v_mul_f64 v[96:97], v[96:97], v[98:99]
	scratch_store_dwordx2 off, v[96:97], off offset:328
.LBB45_36:
	s_or_b64 exec, exec, s[4:5]
	scratch_load_dwordx2 v[96:97], off, off offset:320
	v_cmp_lt_u32_e64 s[0:1], 40, v0
	s_waitcnt vmcnt(0)
	ds_write_b64 v1, v[96:97]
	s_waitcnt lgkmcnt(0)
	; wave barrier
	s_and_saveexec_b64 s[4:5], s[0:1]
	s_cbranch_execz .LBB45_46
; %bb.37:
	s_andn2_b64 vcc, exec, s[6:7]
	s_cbranch_vccnz .LBB45_39
; %bb.38:
	scratch_load_dwordx2 v[96:97], v17, off
	ds_read_b64 v[98:99], v1
	s_waitcnt vmcnt(0) lgkmcnt(0)
	v_mul_f64 v[96:97], v[96:97], v[98:99]
	s_cbranch_execz .LBB45_40
	s_branch .LBB45_41
.LBB45_39:
                                        ; implicit-def: $vgpr96_vgpr97
.LBB45_40:
	ds_read_b64 v[96:97], v1
.LBB45_41:
	s_and_saveexec_b64 s[8:9], s[2:3]
	s_cbranch_execz .LBB45_45
; %bb.42:
	s_movk_i32 s30, 0x148
	v_subrev_u32_e32 v98, 41, v0
	s_movk_i32 s31, 0x2b8
	s_mov_b64 s[2:3], 0
.LBB45_43:                              ; =>This Inner Loop Header: Depth=1
	scratch_load_dwordx2 v[100:101], off, s30
	v_mov_b32_e32 v99, s31
	ds_read_b64 v[102:103], v99
	v_add_u32_e32 v98, -1, v98
	s_add_i32 s31, s31, 8
	s_add_i32 s30, s30, 8
	v_cmp_eq_u32_e32 vcc, 0, v98
	s_or_b64 s[2:3], vcc, s[2:3]
	s_waitcnt vmcnt(0) lgkmcnt(0)
	v_fmac_f64_e32 v[96:97], v[100:101], v[102:103]
	s_andn2_b64 exec, exec, s[2:3]
	s_cbranch_execnz .LBB45_43
; %bb.44:
	s_or_b64 exec, exec, s[2:3]
.LBB45_45:
	s_or_b64 exec, exec, s[8:9]
	v_mov_b32_e32 v98, 0
	ds_read_b64 v[98:99], v98 offset:320
	s_waitcnt lgkmcnt(0)
	v_mul_f64 v[96:97], v[96:97], v[98:99]
	scratch_store_dwordx2 off, v[96:97], off offset:320
.LBB45_46:
	s_or_b64 exec, exec, s[4:5]
	scratch_load_dwordx2 v[96:97], off, off offset:312
	v_cmp_lt_u32_e64 s[2:3], 39, v0
	s_waitcnt vmcnt(0)
	ds_write_b64 v1, v[96:97]
	s_waitcnt lgkmcnt(0)
	; wave barrier
	s_and_saveexec_b64 s[4:5], s[2:3]
	s_cbranch_execz .LBB45_56
; %bb.47:
	s_andn2_b64 vcc, exec, s[6:7]
	s_cbranch_vccnz .LBB45_49
; %bb.48:
	scratch_load_dwordx2 v[96:97], v17, off
	ds_read_b64 v[98:99], v1
	s_waitcnt vmcnt(0) lgkmcnt(0)
	v_mul_f64 v[96:97], v[96:97], v[98:99]
	s_cbranch_execz .LBB45_50
	s_branch .LBB45_51
.LBB45_49:
                                        ; implicit-def: $vgpr96_vgpr97
.LBB45_50:
	ds_read_b64 v[96:97], v1
.LBB45_51:
	s_and_saveexec_b64 s[8:9], s[0:1]
	s_cbranch_execz .LBB45_55
; %bb.52:
	v_subrev_u32_e32 v98, 40, v0
	s_movk_i32 s30, 0x2b0
	s_mov_b64 s[0:1], 0
.LBB45_53:                              ; =>This Inner Loop Header: Depth=1
	scratch_load_dwordx2 v[100:101], off, s29
	v_mov_b32_e32 v99, s30
	ds_read_b64 v[102:103], v99
	v_add_u32_e32 v98, -1, v98
	s_add_i32 s30, s30, 8
	s_add_i32 s29, s29, 8
	v_cmp_eq_u32_e32 vcc, 0, v98
	s_or_b64 s[0:1], vcc, s[0:1]
	s_waitcnt vmcnt(0) lgkmcnt(0)
	v_fmac_f64_e32 v[96:97], v[100:101], v[102:103]
	s_andn2_b64 exec, exec, s[0:1]
	s_cbranch_execnz .LBB45_53
; %bb.54:
	s_or_b64 exec, exec, s[0:1]
.LBB45_55:
	s_or_b64 exec, exec, s[8:9]
	v_mov_b32_e32 v98, 0
	ds_read_b64 v[98:99], v98 offset:312
	s_waitcnt lgkmcnt(0)
	v_mul_f64 v[96:97], v[96:97], v[98:99]
	scratch_store_dwordx2 off, v[96:97], off offset:312
.LBB45_56:
	s_or_b64 exec, exec, s[4:5]
	scratch_load_dwordx2 v[96:97], off, off offset:304
	v_cmp_lt_u32_e64 s[0:1], 38, v0
	s_waitcnt vmcnt(0)
	ds_write_b64 v1, v[96:97]
	s_waitcnt lgkmcnt(0)
	; wave barrier
	s_and_saveexec_b64 s[4:5], s[0:1]
	s_cbranch_execz .LBB45_66
; %bb.57:
	s_andn2_b64 vcc, exec, s[6:7]
	s_cbranch_vccnz .LBB45_59
; %bb.58:
	scratch_load_dwordx2 v[96:97], v17, off
	ds_read_b64 v[98:99], v1
	s_waitcnt vmcnt(0) lgkmcnt(0)
	v_mul_f64 v[96:97], v[96:97], v[98:99]
	s_cbranch_execz .LBB45_60
	s_branch .LBB45_61
.LBB45_59:
                                        ; implicit-def: $vgpr96_vgpr97
.LBB45_60:
	ds_read_b64 v[96:97], v1
.LBB45_61:
	s_and_saveexec_b64 s[8:9], s[2:3]
	s_cbranch_execz .LBB45_65
; %bb.62:
	s_movk_i32 s29, 0x138
	v_subrev_u32_e32 v98, 39, v0
	s_movk_i32 s30, 0x2a8
	s_mov_b64 s[2:3], 0
.LBB45_63:                              ; =>This Inner Loop Header: Depth=1
	scratch_load_dwordx2 v[100:101], off, s29
	v_mov_b32_e32 v99, s30
	ds_read_b64 v[102:103], v99
	v_add_u32_e32 v98, -1, v98
	s_add_i32 s30, s30, 8
	s_add_i32 s29, s29, 8
	v_cmp_eq_u32_e32 vcc, 0, v98
	s_or_b64 s[2:3], vcc, s[2:3]
	s_waitcnt vmcnt(0) lgkmcnt(0)
	v_fmac_f64_e32 v[96:97], v[100:101], v[102:103]
	s_andn2_b64 exec, exec, s[2:3]
	s_cbranch_execnz .LBB45_63
; %bb.64:
	s_or_b64 exec, exec, s[2:3]
.LBB45_65:
	s_or_b64 exec, exec, s[8:9]
	v_mov_b32_e32 v98, 0
	ds_read_b64 v[98:99], v98 offset:304
	s_waitcnt lgkmcnt(0)
	v_mul_f64 v[96:97], v[96:97], v[98:99]
	scratch_store_dwordx2 off, v[96:97], off offset:304
.LBB45_66:
	s_or_b64 exec, exec, s[4:5]
	scratch_load_dwordx2 v[96:97], off, off offset:296
	v_cmp_lt_u32_e64 s[2:3], 37, v0
	s_waitcnt vmcnt(0)
	ds_write_b64 v1, v[96:97]
	s_waitcnt lgkmcnt(0)
	; wave barrier
	s_and_saveexec_b64 s[4:5], s[2:3]
	s_cbranch_execz .LBB45_76
; %bb.67:
	s_andn2_b64 vcc, exec, s[6:7]
	s_cbranch_vccnz .LBB45_69
; %bb.68:
	scratch_load_dwordx2 v[96:97], v17, off
	ds_read_b64 v[98:99], v1
	s_waitcnt vmcnt(0) lgkmcnt(0)
	v_mul_f64 v[96:97], v[96:97], v[98:99]
	s_cbranch_execz .LBB45_70
	s_branch .LBB45_71
.LBB45_69:
                                        ; implicit-def: $vgpr96_vgpr97
.LBB45_70:
	ds_read_b64 v[96:97], v1
.LBB45_71:
	s_and_saveexec_b64 s[8:9], s[0:1]
	s_cbranch_execz .LBB45_75
; %bb.72:
	v_subrev_u32_e32 v98, 38, v0
	s_movk_i32 s29, 0x2a0
	s_mov_b64 s[0:1], 0
.LBB45_73:                              ; =>This Inner Loop Header: Depth=1
	scratch_load_dwordx2 v[100:101], off, s28
	v_mov_b32_e32 v99, s29
	ds_read_b64 v[102:103], v99
	v_add_u32_e32 v98, -1, v98
	s_add_i32 s29, s29, 8
	s_add_i32 s28, s28, 8
	v_cmp_eq_u32_e32 vcc, 0, v98
	s_or_b64 s[0:1], vcc, s[0:1]
	s_waitcnt vmcnt(0) lgkmcnt(0)
	v_fmac_f64_e32 v[96:97], v[100:101], v[102:103]
	s_andn2_b64 exec, exec, s[0:1]
	s_cbranch_execnz .LBB45_73
; %bb.74:
	s_or_b64 exec, exec, s[0:1]
.LBB45_75:
	s_or_b64 exec, exec, s[8:9]
	v_mov_b32_e32 v98, 0
	ds_read_b64 v[98:99], v98 offset:296
	s_waitcnt lgkmcnt(0)
	v_mul_f64 v[96:97], v[96:97], v[98:99]
	scratch_store_dwordx2 off, v[96:97], off offset:296
.LBB45_76:
	s_or_b64 exec, exec, s[4:5]
	scratch_load_dwordx2 v[96:97], off, off offset:288
	v_cmp_lt_u32_e64 s[0:1], 36, v0
	s_waitcnt vmcnt(0)
	ds_write_b64 v1, v[96:97]
	s_waitcnt lgkmcnt(0)
	; wave barrier
	s_and_saveexec_b64 s[4:5], s[0:1]
	s_cbranch_execz .LBB45_86
; %bb.77:
	s_andn2_b64 vcc, exec, s[6:7]
	s_cbranch_vccnz .LBB45_79
; %bb.78:
	scratch_load_dwordx2 v[96:97], v17, off
	ds_read_b64 v[98:99], v1
	s_waitcnt vmcnt(0) lgkmcnt(0)
	v_mul_f64 v[96:97], v[96:97], v[98:99]
	s_cbranch_execz .LBB45_80
	s_branch .LBB45_81
.LBB45_79:
                                        ; implicit-def: $vgpr96_vgpr97
.LBB45_80:
	ds_read_b64 v[96:97], v1
.LBB45_81:
	s_and_saveexec_b64 s[8:9], s[2:3]
	s_cbranch_execz .LBB45_85
; %bb.82:
	s_movk_i32 s28, 0x128
	v_subrev_u32_e32 v98, 37, v0
	s_movk_i32 s29, 0x298
	s_mov_b64 s[2:3], 0
.LBB45_83:                              ; =>This Inner Loop Header: Depth=1
	scratch_load_dwordx2 v[100:101], off, s28
	v_mov_b32_e32 v99, s29
	ds_read_b64 v[102:103], v99
	v_add_u32_e32 v98, -1, v98
	s_add_i32 s29, s29, 8
	s_add_i32 s28, s28, 8
	v_cmp_eq_u32_e32 vcc, 0, v98
	s_or_b64 s[2:3], vcc, s[2:3]
	s_waitcnt vmcnt(0) lgkmcnt(0)
	v_fmac_f64_e32 v[96:97], v[100:101], v[102:103]
	s_andn2_b64 exec, exec, s[2:3]
	s_cbranch_execnz .LBB45_83
; %bb.84:
	s_or_b64 exec, exec, s[2:3]
.LBB45_85:
	s_or_b64 exec, exec, s[8:9]
	v_mov_b32_e32 v98, 0
	ds_read_b64 v[98:99], v98 offset:288
	s_waitcnt lgkmcnt(0)
	v_mul_f64 v[96:97], v[96:97], v[98:99]
	scratch_store_dwordx2 off, v[96:97], off offset:288
.LBB45_86:
	s_or_b64 exec, exec, s[4:5]
	scratch_load_dwordx2 v[96:97], off, off offset:280
	v_cmp_lt_u32_e64 s[2:3], 35, v0
	s_waitcnt vmcnt(0)
	ds_write_b64 v1, v[96:97]
	s_waitcnt lgkmcnt(0)
	; wave barrier
	s_and_saveexec_b64 s[4:5], s[2:3]
	s_cbranch_execz .LBB45_96
; %bb.87:
	s_andn2_b64 vcc, exec, s[6:7]
	s_cbranch_vccnz .LBB45_89
; %bb.88:
	scratch_load_dwordx2 v[96:97], v17, off
	ds_read_b64 v[98:99], v1
	s_waitcnt vmcnt(0) lgkmcnt(0)
	v_mul_f64 v[96:97], v[96:97], v[98:99]
	s_cbranch_execz .LBB45_90
	s_branch .LBB45_91
.LBB45_89:
                                        ; implicit-def: $vgpr96_vgpr97
.LBB45_90:
	ds_read_b64 v[96:97], v1
.LBB45_91:
	s_and_saveexec_b64 s[8:9], s[0:1]
	s_cbranch_execz .LBB45_95
; %bb.92:
	v_subrev_u32_e32 v98, 36, v0
	s_movk_i32 s28, 0x290
	s_mov_b64 s[0:1], 0
.LBB45_93:                              ; =>This Inner Loop Header: Depth=1
	scratch_load_dwordx2 v[100:101], off, s27
	v_mov_b32_e32 v99, s28
	ds_read_b64 v[102:103], v99
	v_add_u32_e32 v98, -1, v98
	s_add_i32 s28, s28, 8
	s_add_i32 s27, s27, 8
	v_cmp_eq_u32_e32 vcc, 0, v98
	s_or_b64 s[0:1], vcc, s[0:1]
	s_waitcnt vmcnt(0) lgkmcnt(0)
	v_fmac_f64_e32 v[96:97], v[100:101], v[102:103]
	s_andn2_b64 exec, exec, s[0:1]
	s_cbranch_execnz .LBB45_93
; %bb.94:
	s_or_b64 exec, exec, s[0:1]
.LBB45_95:
	s_or_b64 exec, exec, s[8:9]
	v_mov_b32_e32 v98, 0
	ds_read_b64 v[98:99], v98 offset:280
	s_waitcnt lgkmcnt(0)
	v_mul_f64 v[96:97], v[96:97], v[98:99]
	scratch_store_dwordx2 off, v[96:97], off offset:280
.LBB45_96:
	s_or_b64 exec, exec, s[4:5]
	scratch_load_dwordx2 v[96:97], off, off offset:272
	v_cmp_lt_u32_e64 s[0:1], 34, v0
	s_waitcnt vmcnt(0)
	ds_write_b64 v1, v[96:97]
	s_waitcnt lgkmcnt(0)
	; wave barrier
	s_and_saveexec_b64 s[4:5], s[0:1]
	s_cbranch_execz .LBB45_106
; %bb.97:
	s_andn2_b64 vcc, exec, s[6:7]
	s_cbranch_vccnz .LBB45_99
; %bb.98:
	scratch_load_dwordx2 v[96:97], v17, off
	ds_read_b64 v[98:99], v1
	s_waitcnt vmcnt(0) lgkmcnt(0)
	v_mul_f64 v[96:97], v[96:97], v[98:99]
	s_cbranch_execz .LBB45_100
	s_branch .LBB45_101
.LBB45_99:
                                        ; implicit-def: $vgpr96_vgpr97
.LBB45_100:
	ds_read_b64 v[96:97], v1
.LBB45_101:
	s_and_saveexec_b64 s[8:9], s[2:3]
	s_cbranch_execz .LBB45_105
; %bb.102:
	s_movk_i32 s27, 0x118
	v_subrev_u32_e32 v98, 35, v0
	s_movk_i32 s28, 0x288
	s_mov_b64 s[2:3], 0
.LBB45_103:                             ; =>This Inner Loop Header: Depth=1
	scratch_load_dwordx2 v[100:101], off, s27
	v_mov_b32_e32 v99, s28
	ds_read_b64 v[102:103], v99
	v_add_u32_e32 v98, -1, v98
	s_add_i32 s28, s28, 8
	s_add_i32 s27, s27, 8
	v_cmp_eq_u32_e32 vcc, 0, v98
	s_or_b64 s[2:3], vcc, s[2:3]
	s_waitcnt vmcnt(0) lgkmcnt(0)
	v_fmac_f64_e32 v[96:97], v[100:101], v[102:103]
	s_andn2_b64 exec, exec, s[2:3]
	s_cbranch_execnz .LBB45_103
; %bb.104:
	s_or_b64 exec, exec, s[2:3]
.LBB45_105:
	s_or_b64 exec, exec, s[8:9]
	v_mov_b32_e32 v98, 0
	ds_read_b64 v[98:99], v98 offset:272
	s_waitcnt lgkmcnt(0)
	v_mul_f64 v[96:97], v[96:97], v[98:99]
	scratch_store_dwordx2 off, v[96:97], off offset:272
.LBB45_106:
	s_or_b64 exec, exec, s[4:5]
	scratch_load_dwordx2 v[96:97], off, off offset:264
	v_cmp_lt_u32_e64 s[2:3], 33, v0
	s_waitcnt vmcnt(0)
	ds_write_b64 v1, v[96:97]
	s_waitcnt lgkmcnt(0)
	; wave barrier
	s_and_saveexec_b64 s[4:5], s[2:3]
	s_cbranch_execz .LBB45_116
; %bb.107:
	s_andn2_b64 vcc, exec, s[6:7]
	s_cbranch_vccnz .LBB45_109
; %bb.108:
	scratch_load_dwordx2 v[96:97], v17, off
	ds_read_b64 v[98:99], v1
	s_waitcnt vmcnt(0) lgkmcnt(0)
	v_mul_f64 v[96:97], v[96:97], v[98:99]
	s_cbranch_execz .LBB45_110
	s_branch .LBB45_111
.LBB45_109:
                                        ; implicit-def: $vgpr96_vgpr97
.LBB45_110:
	ds_read_b64 v[96:97], v1
.LBB45_111:
	s_and_saveexec_b64 s[8:9], s[0:1]
	s_cbranch_execz .LBB45_115
; %bb.112:
	v_subrev_u32_e32 v98, 34, v0
	s_movk_i32 s27, 0x280
	s_mov_b64 s[0:1], 0
.LBB45_113:                             ; =>This Inner Loop Header: Depth=1
	scratch_load_dwordx2 v[100:101], off, s26
	v_mov_b32_e32 v99, s27
	ds_read_b64 v[102:103], v99
	v_add_u32_e32 v98, -1, v98
	s_add_i32 s27, s27, 8
	s_add_i32 s26, s26, 8
	v_cmp_eq_u32_e32 vcc, 0, v98
	s_or_b64 s[0:1], vcc, s[0:1]
	s_waitcnt vmcnt(0) lgkmcnt(0)
	v_fmac_f64_e32 v[96:97], v[100:101], v[102:103]
	s_andn2_b64 exec, exec, s[0:1]
	s_cbranch_execnz .LBB45_113
; %bb.114:
	s_or_b64 exec, exec, s[0:1]
.LBB45_115:
	s_or_b64 exec, exec, s[8:9]
	v_mov_b32_e32 v98, 0
	ds_read_b64 v[98:99], v98 offset:264
	s_waitcnt lgkmcnt(0)
	v_mul_f64 v[96:97], v[96:97], v[98:99]
	scratch_store_dwordx2 off, v[96:97], off offset:264
.LBB45_116:
	s_or_b64 exec, exec, s[4:5]
	scratch_load_dwordx2 v[96:97], off, off offset:256
	v_cmp_lt_u32_e64 s[0:1], 32, v0
	s_waitcnt vmcnt(0)
	ds_write_b64 v1, v[96:97]
	s_waitcnt lgkmcnt(0)
	; wave barrier
	s_and_saveexec_b64 s[4:5], s[0:1]
	s_cbranch_execz .LBB45_126
; %bb.117:
	s_andn2_b64 vcc, exec, s[6:7]
	s_cbranch_vccnz .LBB45_119
; %bb.118:
	scratch_load_dwordx2 v[96:97], v17, off
	ds_read_b64 v[98:99], v1
	s_waitcnt vmcnt(0) lgkmcnt(0)
	v_mul_f64 v[96:97], v[96:97], v[98:99]
	s_cbranch_execz .LBB45_120
	s_branch .LBB45_121
.LBB45_119:
                                        ; implicit-def: $vgpr96_vgpr97
.LBB45_120:
	ds_read_b64 v[96:97], v1
.LBB45_121:
	s_and_saveexec_b64 s[8:9], s[2:3]
	s_cbranch_execz .LBB45_125
; %bb.122:
	s_movk_i32 s26, 0x108
	v_subrev_u32_e32 v98, 33, v0
	s_movk_i32 s27, 0x278
	s_mov_b64 s[2:3], 0
.LBB45_123:                             ; =>This Inner Loop Header: Depth=1
	scratch_load_dwordx2 v[100:101], off, s26
	v_mov_b32_e32 v99, s27
	ds_read_b64 v[102:103], v99
	v_add_u32_e32 v98, -1, v98
	s_add_i32 s27, s27, 8
	s_add_i32 s26, s26, 8
	v_cmp_eq_u32_e32 vcc, 0, v98
	s_or_b64 s[2:3], vcc, s[2:3]
	s_waitcnt vmcnt(0) lgkmcnt(0)
	v_fmac_f64_e32 v[96:97], v[100:101], v[102:103]
	s_andn2_b64 exec, exec, s[2:3]
	s_cbranch_execnz .LBB45_123
; %bb.124:
	s_or_b64 exec, exec, s[2:3]
.LBB45_125:
	s_or_b64 exec, exec, s[8:9]
	v_mov_b32_e32 v98, 0
	ds_read_b64 v[98:99], v98 offset:256
	s_waitcnt lgkmcnt(0)
	v_mul_f64 v[96:97], v[96:97], v[98:99]
	scratch_store_dwordx2 off, v[96:97], off offset:256
.LBB45_126:
	s_or_b64 exec, exec, s[4:5]
	scratch_load_dwordx2 v[96:97], off, off offset:248
	v_cmp_lt_u32_e64 s[2:3], 31, v0
	s_waitcnt vmcnt(0)
	ds_write_b64 v1, v[96:97]
	s_waitcnt lgkmcnt(0)
	; wave barrier
	s_and_saveexec_b64 s[4:5], s[2:3]
	s_cbranch_execz .LBB45_136
; %bb.127:
	s_andn2_b64 vcc, exec, s[6:7]
	s_cbranch_vccnz .LBB45_129
; %bb.128:
	scratch_load_dwordx2 v[96:97], v17, off
	ds_read_b64 v[98:99], v1
	s_waitcnt vmcnt(0) lgkmcnt(0)
	v_mul_f64 v[96:97], v[96:97], v[98:99]
	s_cbranch_execz .LBB45_130
	s_branch .LBB45_131
.LBB45_129:
                                        ; implicit-def: $vgpr96_vgpr97
.LBB45_130:
	ds_read_b64 v[96:97], v1
.LBB45_131:
	s_and_saveexec_b64 s[8:9], s[0:1]
	s_cbranch_execz .LBB45_135
; %bb.132:
	v_subrev_u32_e32 v98, 32, v0
	s_movk_i32 s26, 0x270
	s_mov_b64 s[0:1], 0
.LBB45_133:                             ; =>This Inner Loop Header: Depth=1
	scratch_load_dwordx2 v[100:101], off, s25
	v_mov_b32_e32 v99, s26
	ds_read_b64 v[102:103], v99
	v_add_u32_e32 v98, -1, v98
	s_add_i32 s26, s26, 8
	s_add_i32 s25, s25, 8
	v_cmp_eq_u32_e32 vcc, 0, v98
	s_or_b64 s[0:1], vcc, s[0:1]
	s_waitcnt vmcnt(0) lgkmcnt(0)
	v_fmac_f64_e32 v[96:97], v[100:101], v[102:103]
	s_andn2_b64 exec, exec, s[0:1]
	s_cbranch_execnz .LBB45_133
; %bb.134:
	s_or_b64 exec, exec, s[0:1]
.LBB45_135:
	s_or_b64 exec, exec, s[8:9]
	v_mov_b32_e32 v98, 0
	ds_read_b64 v[98:99], v98 offset:248
	s_waitcnt lgkmcnt(0)
	v_mul_f64 v[96:97], v[96:97], v[98:99]
	scratch_store_dwordx2 off, v[96:97], off offset:248
.LBB45_136:
	s_or_b64 exec, exec, s[4:5]
	scratch_load_dwordx2 v[96:97], off, off offset:240
	v_cmp_lt_u32_e64 s[0:1], 30, v0
	s_waitcnt vmcnt(0)
	ds_write_b64 v1, v[96:97]
	s_waitcnt lgkmcnt(0)
	; wave barrier
	s_and_saveexec_b64 s[4:5], s[0:1]
	s_cbranch_execz .LBB45_146
; %bb.137:
	s_andn2_b64 vcc, exec, s[6:7]
	s_cbranch_vccnz .LBB45_139
; %bb.138:
	scratch_load_dwordx2 v[96:97], v17, off
	ds_read_b64 v[98:99], v1
	s_waitcnt vmcnt(0) lgkmcnt(0)
	v_mul_f64 v[96:97], v[96:97], v[98:99]
	s_cbranch_execz .LBB45_140
	s_branch .LBB45_141
.LBB45_139:
                                        ; implicit-def: $vgpr96_vgpr97
.LBB45_140:
	ds_read_b64 v[96:97], v1
.LBB45_141:
	s_and_saveexec_b64 s[8:9], s[2:3]
	s_cbranch_execz .LBB45_145
; %bb.142:
	s_movk_i32 s25, 0xf8
	v_subrev_u32_e32 v98, 31, v0
	s_movk_i32 s26, 0x268
	s_mov_b64 s[2:3], 0
.LBB45_143:                             ; =>This Inner Loop Header: Depth=1
	scratch_load_dwordx2 v[100:101], off, s25
	v_mov_b32_e32 v99, s26
	ds_read_b64 v[102:103], v99
	v_add_u32_e32 v98, -1, v98
	s_add_i32 s26, s26, 8
	s_add_i32 s25, s25, 8
	v_cmp_eq_u32_e32 vcc, 0, v98
	s_or_b64 s[2:3], vcc, s[2:3]
	s_waitcnt vmcnt(0) lgkmcnt(0)
	v_fmac_f64_e32 v[96:97], v[100:101], v[102:103]
	s_andn2_b64 exec, exec, s[2:3]
	s_cbranch_execnz .LBB45_143
; %bb.144:
	s_or_b64 exec, exec, s[2:3]
.LBB45_145:
	s_or_b64 exec, exec, s[8:9]
	v_mov_b32_e32 v98, 0
	ds_read_b64 v[98:99], v98 offset:240
	s_waitcnt lgkmcnt(0)
	v_mul_f64 v[96:97], v[96:97], v[98:99]
	scratch_store_dwordx2 off, v[96:97], off offset:240
.LBB45_146:
	s_or_b64 exec, exec, s[4:5]
	scratch_load_dwordx2 v[96:97], off, off offset:232
	v_cmp_lt_u32_e64 s[2:3], 29, v0
	s_waitcnt vmcnt(0)
	ds_write_b64 v1, v[96:97]
	s_waitcnt lgkmcnt(0)
	; wave barrier
	s_and_saveexec_b64 s[4:5], s[2:3]
	s_cbranch_execz .LBB45_156
; %bb.147:
	s_andn2_b64 vcc, exec, s[6:7]
	s_cbranch_vccnz .LBB45_149
; %bb.148:
	scratch_load_dwordx2 v[96:97], v17, off
	ds_read_b64 v[98:99], v1
	s_waitcnt vmcnt(0) lgkmcnt(0)
	v_mul_f64 v[96:97], v[96:97], v[98:99]
	s_cbranch_execz .LBB45_150
	s_branch .LBB45_151
.LBB45_149:
                                        ; implicit-def: $vgpr96_vgpr97
.LBB45_150:
	ds_read_b64 v[96:97], v1
.LBB45_151:
	s_and_saveexec_b64 s[8:9], s[0:1]
	s_cbranch_execz .LBB45_155
; %bb.152:
	v_subrev_u32_e32 v98, 30, v0
	s_movk_i32 s25, 0x260
	s_mov_b64 s[0:1], 0
.LBB45_153:                             ; =>This Inner Loop Header: Depth=1
	scratch_load_dwordx2 v[100:101], off, s24
	v_mov_b32_e32 v99, s25
	ds_read_b64 v[102:103], v99
	v_add_u32_e32 v98, -1, v98
	s_add_i32 s25, s25, 8
	s_add_i32 s24, s24, 8
	v_cmp_eq_u32_e32 vcc, 0, v98
	s_or_b64 s[0:1], vcc, s[0:1]
	s_waitcnt vmcnt(0) lgkmcnt(0)
	v_fmac_f64_e32 v[96:97], v[100:101], v[102:103]
	s_andn2_b64 exec, exec, s[0:1]
	s_cbranch_execnz .LBB45_153
; %bb.154:
	s_or_b64 exec, exec, s[0:1]
.LBB45_155:
	s_or_b64 exec, exec, s[8:9]
	v_mov_b32_e32 v98, 0
	ds_read_b64 v[98:99], v98 offset:232
	s_waitcnt lgkmcnt(0)
	v_mul_f64 v[96:97], v[96:97], v[98:99]
	scratch_store_dwordx2 off, v[96:97], off offset:232
.LBB45_156:
	s_or_b64 exec, exec, s[4:5]
	scratch_load_dwordx2 v[96:97], off, off offset:224
	v_cmp_lt_u32_e64 s[0:1], 28, v0
	s_waitcnt vmcnt(0)
	ds_write_b64 v1, v[96:97]
	s_waitcnt lgkmcnt(0)
	; wave barrier
	s_and_saveexec_b64 s[4:5], s[0:1]
	s_cbranch_execz .LBB45_166
; %bb.157:
	s_andn2_b64 vcc, exec, s[6:7]
	s_cbranch_vccnz .LBB45_159
; %bb.158:
	scratch_load_dwordx2 v[96:97], v17, off
	ds_read_b64 v[98:99], v1
	s_waitcnt vmcnt(0) lgkmcnt(0)
	v_mul_f64 v[96:97], v[96:97], v[98:99]
	s_cbranch_execz .LBB45_160
	s_branch .LBB45_161
.LBB45_159:
                                        ; implicit-def: $vgpr96_vgpr97
.LBB45_160:
	ds_read_b64 v[96:97], v1
.LBB45_161:
	s_and_saveexec_b64 s[8:9], s[2:3]
	s_cbranch_execz .LBB45_165
; %bb.162:
	s_movk_i32 s24, 0xe8
	v_subrev_u32_e32 v98, 29, v0
	s_movk_i32 s25, 0x258
	s_mov_b64 s[2:3], 0
.LBB45_163:                             ; =>This Inner Loop Header: Depth=1
	scratch_load_dwordx2 v[100:101], off, s24
	v_mov_b32_e32 v99, s25
	ds_read_b64 v[102:103], v99
	v_add_u32_e32 v98, -1, v98
	s_add_i32 s25, s25, 8
	s_add_i32 s24, s24, 8
	v_cmp_eq_u32_e32 vcc, 0, v98
	s_or_b64 s[2:3], vcc, s[2:3]
	s_waitcnt vmcnt(0) lgkmcnt(0)
	v_fmac_f64_e32 v[96:97], v[100:101], v[102:103]
	s_andn2_b64 exec, exec, s[2:3]
	s_cbranch_execnz .LBB45_163
; %bb.164:
	s_or_b64 exec, exec, s[2:3]
.LBB45_165:
	s_or_b64 exec, exec, s[8:9]
	v_mov_b32_e32 v98, 0
	ds_read_b64 v[98:99], v98 offset:224
	s_waitcnt lgkmcnt(0)
	v_mul_f64 v[96:97], v[96:97], v[98:99]
	scratch_store_dwordx2 off, v[96:97], off offset:224
.LBB45_166:
	s_or_b64 exec, exec, s[4:5]
	scratch_load_dwordx2 v[96:97], off, off offset:216
	v_cmp_lt_u32_e64 s[2:3], 27, v0
	s_waitcnt vmcnt(0)
	ds_write_b64 v1, v[96:97]
	s_waitcnt lgkmcnt(0)
	; wave barrier
	s_and_saveexec_b64 s[4:5], s[2:3]
	s_cbranch_execz .LBB45_176
; %bb.167:
	s_andn2_b64 vcc, exec, s[6:7]
	s_cbranch_vccnz .LBB45_169
; %bb.168:
	scratch_load_dwordx2 v[96:97], v17, off
	ds_read_b64 v[98:99], v1
	s_waitcnt vmcnt(0) lgkmcnt(0)
	v_mul_f64 v[96:97], v[96:97], v[98:99]
	s_cbranch_execz .LBB45_170
	s_branch .LBB45_171
.LBB45_169:
                                        ; implicit-def: $vgpr96_vgpr97
.LBB45_170:
	ds_read_b64 v[96:97], v1
.LBB45_171:
	s_and_saveexec_b64 s[8:9], s[0:1]
	s_cbranch_execz .LBB45_175
; %bb.172:
	v_subrev_u32_e32 v98, 28, v0
	s_movk_i32 s24, 0x250
	s_mov_b64 s[0:1], 0
.LBB45_173:                             ; =>This Inner Loop Header: Depth=1
	scratch_load_dwordx2 v[100:101], off, s23
	v_mov_b32_e32 v99, s24
	ds_read_b64 v[102:103], v99
	v_add_u32_e32 v98, -1, v98
	s_add_i32 s24, s24, 8
	s_add_i32 s23, s23, 8
	v_cmp_eq_u32_e32 vcc, 0, v98
	s_or_b64 s[0:1], vcc, s[0:1]
	s_waitcnt vmcnt(0) lgkmcnt(0)
	v_fmac_f64_e32 v[96:97], v[100:101], v[102:103]
	s_andn2_b64 exec, exec, s[0:1]
	s_cbranch_execnz .LBB45_173
; %bb.174:
	s_or_b64 exec, exec, s[0:1]
.LBB45_175:
	s_or_b64 exec, exec, s[8:9]
	v_mov_b32_e32 v98, 0
	ds_read_b64 v[98:99], v98 offset:216
	s_waitcnt lgkmcnt(0)
	v_mul_f64 v[96:97], v[96:97], v[98:99]
	scratch_store_dwordx2 off, v[96:97], off offset:216
.LBB45_176:
	s_or_b64 exec, exec, s[4:5]
	scratch_load_dwordx2 v[96:97], off, off offset:208
	v_cmp_lt_u32_e64 s[0:1], 26, v0
	s_waitcnt vmcnt(0)
	ds_write_b64 v1, v[96:97]
	s_waitcnt lgkmcnt(0)
	; wave barrier
	s_and_saveexec_b64 s[4:5], s[0:1]
	s_cbranch_execz .LBB45_186
; %bb.177:
	s_andn2_b64 vcc, exec, s[6:7]
	s_cbranch_vccnz .LBB45_179
; %bb.178:
	scratch_load_dwordx2 v[96:97], v17, off
	ds_read_b64 v[98:99], v1
	s_waitcnt vmcnt(0) lgkmcnt(0)
	v_mul_f64 v[96:97], v[96:97], v[98:99]
	s_cbranch_execz .LBB45_180
	s_branch .LBB45_181
.LBB45_179:
                                        ; implicit-def: $vgpr96_vgpr97
.LBB45_180:
	ds_read_b64 v[96:97], v1
.LBB45_181:
	s_and_saveexec_b64 s[8:9], s[2:3]
	s_cbranch_execz .LBB45_185
; %bb.182:
	s_movk_i32 s23, 0xd8
	v_subrev_u32_e32 v98, 27, v0
	s_movk_i32 s24, 0x248
	s_mov_b64 s[2:3], 0
.LBB45_183:                             ; =>This Inner Loop Header: Depth=1
	scratch_load_dwordx2 v[100:101], off, s23
	v_mov_b32_e32 v99, s24
	ds_read_b64 v[102:103], v99
	v_add_u32_e32 v98, -1, v98
	s_add_i32 s24, s24, 8
	s_add_i32 s23, s23, 8
	v_cmp_eq_u32_e32 vcc, 0, v98
	s_or_b64 s[2:3], vcc, s[2:3]
	s_waitcnt vmcnt(0) lgkmcnt(0)
	v_fmac_f64_e32 v[96:97], v[100:101], v[102:103]
	s_andn2_b64 exec, exec, s[2:3]
	s_cbranch_execnz .LBB45_183
; %bb.184:
	s_or_b64 exec, exec, s[2:3]
.LBB45_185:
	s_or_b64 exec, exec, s[8:9]
	v_mov_b32_e32 v98, 0
	ds_read_b64 v[98:99], v98 offset:208
	s_waitcnt lgkmcnt(0)
	v_mul_f64 v[96:97], v[96:97], v[98:99]
	scratch_store_dwordx2 off, v[96:97], off offset:208
.LBB45_186:
	s_or_b64 exec, exec, s[4:5]
	scratch_load_dwordx2 v[96:97], off, off offset:200
	v_cmp_lt_u32_e64 s[2:3], 25, v0
	s_waitcnt vmcnt(0)
	ds_write_b64 v1, v[96:97]
	s_waitcnt lgkmcnt(0)
	; wave barrier
	s_and_saveexec_b64 s[4:5], s[2:3]
	s_cbranch_execz .LBB45_196
; %bb.187:
	s_andn2_b64 vcc, exec, s[6:7]
	s_cbranch_vccnz .LBB45_189
; %bb.188:
	scratch_load_dwordx2 v[96:97], v17, off
	ds_read_b64 v[98:99], v1
	s_waitcnt vmcnt(0) lgkmcnt(0)
	v_mul_f64 v[96:97], v[96:97], v[98:99]
	s_cbranch_execz .LBB45_190
	s_branch .LBB45_191
.LBB45_189:
                                        ; implicit-def: $vgpr96_vgpr97
.LBB45_190:
	ds_read_b64 v[96:97], v1
.LBB45_191:
	s_and_saveexec_b64 s[8:9], s[0:1]
	s_cbranch_execz .LBB45_195
; %bb.192:
	v_subrev_u32_e32 v98, 26, v0
	s_movk_i32 s23, 0x240
	s_mov_b64 s[0:1], 0
.LBB45_193:                             ; =>This Inner Loop Header: Depth=1
	scratch_load_dwordx2 v[100:101], off, s22
	v_mov_b32_e32 v99, s23
	ds_read_b64 v[102:103], v99
	v_add_u32_e32 v98, -1, v98
	s_add_i32 s23, s23, 8
	s_add_i32 s22, s22, 8
	v_cmp_eq_u32_e32 vcc, 0, v98
	s_or_b64 s[0:1], vcc, s[0:1]
	s_waitcnt vmcnt(0) lgkmcnt(0)
	v_fmac_f64_e32 v[96:97], v[100:101], v[102:103]
	s_andn2_b64 exec, exec, s[0:1]
	s_cbranch_execnz .LBB45_193
; %bb.194:
	s_or_b64 exec, exec, s[0:1]
.LBB45_195:
	s_or_b64 exec, exec, s[8:9]
	v_mov_b32_e32 v98, 0
	ds_read_b64 v[98:99], v98 offset:200
	s_waitcnt lgkmcnt(0)
	v_mul_f64 v[96:97], v[96:97], v[98:99]
	scratch_store_dwordx2 off, v[96:97], off offset:200
.LBB45_196:
	s_or_b64 exec, exec, s[4:5]
	scratch_load_dwordx2 v[96:97], off, off offset:192
	v_cmp_lt_u32_e64 s[0:1], 24, v0
	s_waitcnt vmcnt(0)
	ds_write_b64 v1, v[96:97]
	s_waitcnt lgkmcnt(0)
	; wave barrier
	s_and_saveexec_b64 s[4:5], s[0:1]
	s_cbranch_execz .LBB45_206
; %bb.197:
	s_andn2_b64 vcc, exec, s[6:7]
	s_cbranch_vccnz .LBB45_199
; %bb.198:
	scratch_load_dwordx2 v[96:97], v17, off
	ds_read_b64 v[98:99], v1
	s_waitcnt vmcnt(0) lgkmcnt(0)
	v_mul_f64 v[96:97], v[96:97], v[98:99]
	s_cbranch_execz .LBB45_200
	s_branch .LBB45_201
.LBB45_199:
                                        ; implicit-def: $vgpr96_vgpr97
.LBB45_200:
	ds_read_b64 v[96:97], v1
.LBB45_201:
	s_and_saveexec_b64 s[8:9], s[2:3]
	s_cbranch_execz .LBB45_205
; %bb.202:
	s_movk_i32 s22, 0xc8
	v_subrev_u32_e32 v98, 25, v0
	s_movk_i32 s23, 0x238
	s_mov_b64 s[2:3], 0
.LBB45_203:                             ; =>This Inner Loop Header: Depth=1
	scratch_load_dwordx2 v[100:101], off, s22
	v_mov_b32_e32 v99, s23
	ds_read_b64 v[102:103], v99
	v_add_u32_e32 v98, -1, v98
	s_add_i32 s23, s23, 8
	s_add_i32 s22, s22, 8
	v_cmp_eq_u32_e32 vcc, 0, v98
	s_or_b64 s[2:3], vcc, s[2:3]
	s_waitcnt vmcnt(0) lgkmcnt(0)
	v_fmac_f64_e32 v[96:97], v[100:101], v[102:103]
	s_andn2_b64 exec, exec, s[2:3]
	s_cbranch_execnz .LBB45_203
; %bb.204:
	s_or_b64 exec, exec, s[2:3]
.LBB45_205:
	s_or_b64 exec, exec, s[8:9]
	v_mov_b32_e32 v98, 0
	ds_read_b64 v[98:99], v98 offset:192
	s_waitcnt lgkmcnt(0)
	v_mul_f64 v[96:97], v[96:97], v[98:99]
	scratch_store_dwordx2 off, v[96:97], off offset:192
.LBB45_206:
	s_or_b64 exec, exec, s[4:5]
	scratch_load_dwordx2 v[96:97], off, off offset:184
	v_cmp_lt_u32_e64 s[2:3], 23, v0
	s_waitcnt vmcnt(0)
	ds_write_b64 v1, v[96:97]
	s_waitcnt lgkmcnt(0)
	; wave barrier
	s_and_saveexec_b64 s[4:5], s[2:3]
	s_cbranch_execz .LBB45_216
; %bb.207:
	s_andn2_b64 vcc, exec, s[6:7]
	s_cbranch_vccnz .LBB45_209
; %bb.208:
	scratch_load_dwordx2 v[96:97], v17, off
	ds_read_b64 v[98:99], v1
	s_waitcnt vmcnt(0) lgkmcnt(0)
	v_mul_f64 v[96:97], v[96:97], v[98:99]
	s_cbranch_execz .LBB45_210
	s_branch .LBB45_211
.LBB45_209:
                                        ; implicit-def: $vgpr96_vgpr97
.LBB45_210:
	ds_read_b64 v[96:97], v1
.LBB45_211:
	s_and_saveexec_b64 s[8:9], s[0:1]
	s_cbranch_execz .LBB45_215
; %bb.212:
	v_subrev_u32_e32 v98, 24, v0
	s_movk_i32 s22, 0x230
	s_mov_b64 s[0:1], 0
.LBB45_213:                             ; =>This Inner Loop Header: Depth=1
	scratch_load_dwordx2 v[100:101], off, s21
	v_mov_b32_e32 v99, s22
	ds_read_b64 v[102:103], v99
	v_add_u32_e32 v98, -1, v98
	s_add_i32 s22, s22, 8
	s_add_i32 s21, s21, 8
	v_cmp_eq_u32_e32 vcc, 0, v98
	s_or_b64 s[0:1], vcc, s[0:1]
	s_waitcnt vmcnt(0) lgkmcnt(0)
	v_fmac_f64_e32 v[96:97], v[100:101], v[102:103]
	s_andn2_b64 exec, exec, s[0:1]
	s_cbranch_execnz .LBB45_213
; %bb.214:
	s_or_b64 exec, exec, s[0:1]
.LBB45_215:
	s_or_b64 exec, exec, s[8:9]
	v_mov_b32_e32 v98, 0
	ds_read_b64 v[98:99], v98 offset:184
	s_waitcnt lgkmcnt(0)
	v_mul_f64 v[96:97], v[96:97], v[98:99]
	scratch_store_dwordx2 off, v[96:97], off offset:184
.LBB45_216:
	s_or_b64 exec, exec, s[4:5]
	scratch_load_dwordx2 v[96:97], off, off offset:176
	v_cmp_lt_u32_e64 s[0:1], 22, v0
	s_waitcnt vmcnt(0)
	ds_write_b64 v1, v[96:97]
	s_waitcnt lgkmcnt(0)
	; wave barrier
	s_and_saveexec_b64 s[4:5], s[0:1]
	s_cbranch_execz .LBB45_226
; %bb.217:
	s_andn2_b64 vcc, exec, s[6:7]
	s_cbranch_vccnz .LBB45_219
; %bb.218:
	scratch_load_dwordx2 v[96:97], v17, off
	ds_read_b64 v[98:99], v1
	s_waitcnt vmcnt(0) lgkmcnt(0)
	v_mul_f64 v[96:97], v[96:97], v[98:99]
	s_cbranch_execz .LBB45_220
	s_branch .LBB45_221
.LBB45_219:
                                        ; implicit-def: $vgpr96_vgpr97
.LBB45_220:
	ds_read_b64 v[96:97], v1
.LBB45_221:
	s_and_saveexec_b64 s[8:9], s[2:3]
	s_cbranch_execz .LBB45_225
; %bb.222:
	s_movk_i32 s21, 0xb8
	v_subrev_u32_e32 v98, 23, v0
	s_movk_i32 s22, 0x228
	s_mov_b64 s[2:3], 0
.LBB45_223:                             ; =>This Inner Loop Header: Depth=1
	scratch_load_dwordx2 v[100:101], off, s21
	v_mov_b32_e32 v99, s22
	ds_read_b64 v[102:103], v99
	v_add_u32_e32 v98, -1, v98
	s_add_i32 s22, s22, 8
	s_add_i32 s21, s21, 8
	v_cmp_eq_u32_e32 vcc, 0, v98
	s_or_b64 s[2:3], vcc, s[2:3]
	s_waitcnt vmcnt(0) lgkmcnt(0)
	v_fmac_f64_e32 v[96:97], v[100:101], v[102:103]
	s_andn2_b64 exec, exec, s[2:3]
	s_cbranch_execnz .LBB45_223
; %bb.224:
	s_or_b64 exec, exec, s[2:3]
.LBB45_225:
	s_or_b64 exec, exec, s[8:9]
	v_mov_b32_e32 v98, 0
	ds_read_b64 v[98:99], v98 offset:176
	s_waitcnt lgkmcnt(0)
	v_mul_f64 v[96:97], v[96:97], v[98:99]
	scratch_store_dwordx2 off, v[96:97], off offset:176
.LBB45_226:
	s_or_b64 exec, exec, s[4:5]
	scratch_load_dwordx2 v[96:97], off, off offset:168
	v_cmp_lt_u32_e64 s[2:3], 21, v0
	s_waitcnt vmcnt(0)
	ds_write_b64 v1, v[96:97]
	s_waitcnt lgkmcnt(0)
	; wave barrier
	s_and_saveexec_b64 s[4:5], s[2:3]
	s_cbranch_execz .LBB45_236
; %bb.227:
	s_andn2_b64 vcc, exec, s[6:7]
	s_cbranch_vccnz .LBB45_229
; %bb.228:
	scratch_load_dwordx2 v[96:97], v17, off
	ds_read_b64 v[98:99], v1
	s_waitcnt vmcnt(0) lgkmcnt(0)
	v_mul_f64 v[96:97], v[96:97], v[98:99]
	s_cbranch_execz .LBB45_230
	s_branch .LBB45_231
.LBB45_229:
                                        ; implicit-def: $vgpr96_vgpr97
.LBB45_230:
	ds_read_b64 v[96:97], v1
.LBB45_231:
	s_and_saveexec_b64 s[8:9], s[0:1]
	s_cbranch_execz .LBB45_235
; %bb.232:
	v_subrev_u32_e32 v98, 22, v0
	s_movk_i32 s21, 0x220
	s_mov_b64 s[0:1], 0
.LBB45_233:                             ; =>This Inner Loop Header: Depth=1
	scratch_load_dwordx2 v[100:101], off, s20
	v_mov_b32_e32 v99, s21
	ds_read_b64 v[102:103], v99
	v_add_u32_e32 v98, -1, v98
	s_add_i32 s21, s21, 8
	s_add_i32 s20, s20, 8
	v_cmp_eq_u32_e32 vcc, 0, v98
	s_or_b64 s[0:1], vcc, s[0:1]
	s_waitcnt vmcnt(0) lgkmcnt(0)
	v_fmac_f64_e32 v[96:97], v[100:101], v[102:103]
	s_andn2_b64 exec, exec, s[0:1]
	s_cbranch_execnz .LBB45_233
; %bb.234:
	s_or_b64 exec, exec, s[0:1]
.LBB45_235:
	s_or_b64 exec, exec, s[8:9]
	v_mov_b32_e32 v98, 0
	ds_read_b64 v[98:99], v98 offset:168
	s_waitcnt lgkmcnt(0)
	v_mul_f64 v[96:97], v[96:97], v[98:99]
	scratch_store_dwordx2 off, v[96:97], off offset:168
.LBB45_236:
	s_or_b64 exec, exec, s[4:5]
	scratch_load_dwordx2 v[96:97], off, off offset:160
	v_cmp_lt_u32_e64 s[0:1], 20, v0
	s_waitcnt vmcnt(0)
	ds_write_b64 v1, v[96:97]
	s_waitcnt lgkmcnt(0)
	; wave barrier
	s_and_saveexec_b64 s[4:5], s[0:1]
	s_cbranch_execz .LBB45_246
; %bb.237:
	s_andn2_b64 vcc, exec, s[6:7]
	s_cbranch_vccnz .LBB45_239
; %bb.238:
	scratch_load_dwordx2 v[96:97], v17, off
	ds_read_b64 v[98:99], v1
	s_waitcnt vmcnt(0) lgkmcnt(0)
	v_mul_f64 v[96:97], v[96:97], v[98:99]
	s_cbranch_execz .LBB45_240
	s_branch .LBB45_241
.LBB45_239:
                                        ; implicit-def: $vgpr96_vgpr97
.LBB45_240:
	ds_read_b64 v[96:97], v1
.LBB45_241:
	s_and_saveexec_b64 s[8:9], s[2:3]
	s_cbranch_execz .LBB45_245
; %bb.242:
	s_movk_i32 s20, 0xa8
	v_subrev_u32_e32 v98, 21, v0
	s_movk_i32 s21, 0x218
	s_mov_b64 s[2:3], 0
.LBB45_243:                             ; =>This Inner Loop Header: Depth=1
	scratch_load_dwordx2 v[100:101], off, s20
	v_mov_b32_e32 v99, s21
	ds_read_b64 v[102:103], v99
	v_add_u32_e32 v98, -1, v98
	s_add_i32 s21, s21, 8
	s_add_i32 s20, s20, 8
	v_cmp_eq_u32_e32 vcc, 0, v98
	s_or_b64 s[2:3], vcc, s[2:3]
	s_waitcnt vmcnt(0) lgkmcnt(0)
	v_fmac_f64_e32 v[96:97], v[100:101], v[102:103]
	s_andn2_b64 exec, exec, s[2:3]
	s_cbranch_execnz .LBB45_243
; %bb.244:
	s_or_b64 exec, exec, s[2:3]
.LBB45_245:
	s_or_b64 exec, exec, s[8:9]
	v_mov_b32_e32 v98, 0
	ds_read_b64 v[98:99], v98 offset:160
	s_waitcnt lgkmcnt(0)
	v_mul_f64 v[96:97], v[96:97], v[98:99]
	scratch_store_dwordx2 off, v[96:97], off offset:160
.LBB45_246:
	s_or_b64 exec, exec, s[4:5]
	scratch_load_dwordx2 v[96:97], off, off offset:152
	v_cmp_lt_u32_e64 s[2:3], 19, v0
	s_waitcnt vmcnt(0)
	ds_write_b64 v1, v[96:97]
	s_waitcnt lgkmcnt(0)
	; wave barrier
	s_and_saveexec_b64 s[4:5], s[2:3]
	s_cbranch_execz .LBB45_256
; %bb.247:
	s_andn2_b64 vcc, exec, s[6:7]
	s_cbranch_vccnz .LBB45_249
; %bb.248:
	scratch_load_dwordx2 v[96:97], v17, off
	ds_read_b64 v[98:99], v1
	s_waitcnt vmcnt(0) lgkmcnt(0)
	v_mul_f64 v[96:97], v[96:97], v[98:99]
	s_cbranch_execz .LBB45_250
	s_branch .LBB45_251
.LBB45_249:
                                        ; implicit-def: $vgpr96_vgpr97
.LBB45_250:
	ds_read_b64 v[96:97], v1
.LBB45_251:
	s_and_saveexec_b64 s[8:9], s[0:1]
	s_cbranch_execz .LBB45_255
; %bb.252:
	v_subrev_u32_e32 v98, 20, v0
	s_movk_i32 s20, 0x210
	s_mov_b64 s[0:1], 0
.LBB45_253:                             ; =>This Inner Loop Header: Depth=1
	scratch_load_dwordx2 v[100:101], off, s19
	v_mov_b32_e32 v99, s20
	ds_read_b64 v[102:103], v99
	v_add_u32_e32 v98, -1, v98
	s_add_i32 s20, s20, 8
	s_add_i32 s19, s19, 8
	v_cmp_eq_u32_e32 vcc, 0, v98
	s_or_b64 s[0:1], vcc, s[0:1]
	s_waitcnt vmcnt(0) lgkmcnt(0)
	v_fmac_f64_e32 v[96:97], v[100:101], v[102:103]
	s_andn2_b64 exec, exec, s[0:1]
	s_cbranch_execnz .LBB45_253
; %bb.254:
	s_or_b64 exec, exec, s[0:1]
.LBB45_255:
	s_or_b64 exec, exec, s[8:9]
	v_mov_b32_e32 v98, 0
	ds_read_b64 v[98:99], v98 offset:152
	s_waitcnt lgkmcnt(0)
	v_mul_f64 v[96:97], v[96:97], v[98:99]
	scratch_store_dwordx2 off, v[96:97], off offset:152
.LBB45_256:
	s_or_b64 exec, exec, s[4:5]
	scratch_load_dwordx2 v[96:97], off, off offset:144
	v_cmp_lt_u32_e64 s[0:1], 18, v0
	s_waitcnt vmcnt(0)
	ds_write_b64 v1, v[96:97]
	s_waitcnt lgkmcnt(0)
	; wave barrier
	s_and_saveexec_b64 s[4:5], s[0:1]
	s_cbranch_execz .LBB45_266
; %bb.257:
	s_andn2_b64 vcc, exec, s[6:7]
	s_cbranch_vccnz .LBB45_259
; %bb.258:
	scratch_load_dwordx2 v[96:97], v17, off
	ds_read_b64 v[98:99], v1
	s_waitcnt vmcnt(0) lgkmcnt(0)
	v_mul_f64 v[96:97], v[96:97], v[98:99]
	s_cbranch_execz .LBB45_260
	s_branch .LBB45_261
.LBB45_259:
                                        ; implicit-def: $vgpr96_vgpr97
.LBB45_260:
	ds_read_b64 v[96:97], v1
.LBB45_261:
	s_and_saveexec_b64 s[8:9], s[2:3]
	s_cbranch_execz .LBB45_265
; %bb.262:
	s_movk_i32 s19, 0x98
	v_subrev_u32_e32 v98, 19, v0
	s_movk_i32 s20, 0x208
	s_mov_b64 s[2:3], 0
.LBB45_263:                             ; =>This Inner Loop Header: Depth=1
	scratch_load_dwordx2 v[100:101], off, s19
	v_mov_b32_e32 v99, s20
	ds_read_b64 v[102:103], v99
	v_add_u32_e32 v98, -1, v98
	s_add_i32 s20, s20, 8
	s_add_i32 s19, s19, 8
	v_cmp_eq_u32_e32 vcc, 0, v98
	s_or_b64 s[2:3], vcc, s[2:3]
	s_waitcnt vmcnt(0) lgkmcnt(0)
	v_fmac_f64_e32 v[96:97], v[100:101], v[102:103]
	s_andn2_b64 exec, exec, s[2:3]
	s_cbranch_execnz .LBB45_263
; %bb.264:
	s_or_b64 exec, exec, s[2:3]
.LBB45_265:
	s_or_b64 exec, exec, s[8:9]
	v_mov_b32_e32 v98, 0
	ds_read_b64 v[98:99], v98 offset:144
	s_waitcnt lgkmcnt(0)
	v_mul_f64 v[96:97], v[96:97], v[98:99]
	scratch_store_dwordx2 off, v[96:97], off offset:144
.LBB45_266:
	s_or_b64 exec, exec, s[4:5]
	scratch_load_dwordx2 v[96:97], off, off offset:136
	v_cmp_lt_u32_e64 s[2:3], 17, v0
	s_waitcnt vmcnt(0)
	ds_write_b64 v1, v[96:97]
	s_waitcnt lgkmcnt(0)
	; wave barrier
	s_and_saveexec_b64 s[4:5], s[2:3]
	s_cbranch_execz .LBB45_276
; %bb.267:
	s_andn2_b64 vcc, exec, s[6:7]
	s_cbranch_vccnz .LBB45_269
; %bb.268:
	scratch_load_dwordx2 v[96:97], v17, off
	ds_read_b64 v[98:99], v1
	s_waitcnt vmcnt(0) lgkmcnt(0)
	v_mul_f64 v[96:97], v[96:97], v[98:99]
	s_cbranch_execz .LBB45_270
	s_branch .LBB45_271
.LBB45_269:
                                        ; implicit-def: $vgpr96_vgpr97
.LBB45_270:
	ds_read_b64 v[96:97], v1
.LBB45_271:
	s_and_saveexec_b64 s[8:9], s[0:1]
	s_cbranch_execz .LBB45_275
; %bb.272:
	v_subrev_u32_e32 v98, 18, v0
	s_movk_i32 s19, 0x200
	s_mov_b64 s[0:1], 0
.LBB45_273:                             ; =>This Inner Loop Header: Depth=1
	scratch_load_dwordx2 v[100:101], off, s18
	v_mov_b32_e32 v99, s19
	ds_read_b64 v[102:103], v99
	v_add_u32_e32 v98, -1, v98
	s_add_i32 s19, s19, 8
	s_add_i32 s18, s18, 8
	v_cmp_eq_u32_e32 vcc, 0, v98
	s_or_b64 s[0:1], vcc, s[0:1]
	s_waitcnt vmcnt(0) lgkmcnt(0)
	v_fmac_f64_e32 v[96:97], v[100:101], v[102:103]
	s_andn2_b64 exec, exec, s[0:1]
	s_cbranch_execnz .LBB45_273
; %bb.274:
	s_or_b64 exec, exec, s[0:1]
.LBB45_275:
	s_or_b64 exec, exec, s[8:9]
	v_mov_b32_e32 v98, 0
	ds_read_b64 v[98:99], v98 offset:136
	s_waitcnt lgkmcnt(0)
	v_mul_f64 v[96:97], v[96:97], v[98:99]
	scratch_store_dwordx2 off, v[96:97], off offset:136
.LBB45_276:
	s_or_b64 exec, exec, s[4:5]
	scratch_load_dwordx2 v[96:97], off, off offset:128
	v_cmp_lt_u32_e64 s[0:1], 16, v0
	s_waitcnt vmcnt(0)
	ds_write_b64 v1, v[96:97]
	s_waitcnt lgkmcnt(0)
	; wave barrier
	s_and_saveexec_b64 s[4:5], s[0:1]
	s_cbranch_execz .LBB45_286
; %bb.277:
	s_andn2_b64 vcc, exec, s[6:7]
	s_cbranch_vccnz .LBB45_279
; %bb.278:
	scratch_load_dwordx2 v[96:97], v17, off
	ds_read_b64 v[98:99], v1
	s_waitcnt vmcnt(0) lgkmcnt(0)
	v_mul_f64 v[96:97], v[96:97], v[98:99]
	s_cbranch_execz .LBB45_280
	s_branch .LBB45_281
.LBB45_279:
                                        ; implicit-def: $vgpr96_vgpr97
.LBB45_280:
	ds_read_b64 v[96:97], v1
.LBB45_281:
	s_and_saveexec_b64 s[8:9], s[2:3]
	s_cbranch_execz .LBB45_285
; %bb.282:
	s_movk_i32 s18, 0x88
	v_subrev_u32_e32 v98, 17, v0
	s_movk_i32 s19, 0x1f8
	s_mov_b64 s[2:3], 0
.LBB45_283:                             ; =>This Inner Loop Header: Depth=1
	scratch_load_dwordx2 v[100:101], off, s18
	v_mov_b32_e32 v99, s19
	ds_read_b64 v[102:103], v99
	v_add_u32_e32 v98, -1, v98
	s_add_i32 s19, s19, 8
	s_add_i32 s18, s18, 8
	v_cmp_eq_u32_e32 vcc, 0, v98
	s_or_b64 s[2:3], vcc, s[2:3]
	s_waitcnt vmcnt(0) lgkmcnt(0)
	v_fmac_f64_e32 v[96:97], v[100:101], v[102:103]
	s_andn2_b64 exec, exec, s[2:3]
	s_cbranch_execnz .LBB45_283
; %bb.284:
	s_or_b64 exec, exec, s[2:3]
.LBB45_285:
	s_or_b64 exec, exec, s[8:9]
	v_mov_b32_e32 v98, 0
	ds_read_b64 v[98:99], v98 offset:128
	s_waitcnt lgkmcnt(0)
	v_mul_f64 v[96:97], v[96:97], v[98:99]
	scratch_store_dwordx2 off, v[96:97], off offset:128
.LBB45_286:
	s_or_b64 exec, exec, s[4:5]
	scratch_load_dwordx2 v[96:97], off, off offset:120
	v_cmp_lt_u32_e64 s[2:3], 15, v0
	s_waitcnt vmcnt(0)
	ds_write_b64 v1, v[96:97]
	s_waitcnt lgkmcnt(0)
	; wave barrier
	s_and_saveexec_b64 s[4:5], s[2:3]
	s_cbranch_execz .LBB45_296
; %bb.287:
	s_andn2_b64 vcc, exec, s[6:7]
	s_cbranch_vccnz .LBB45_289
; %bb.288:
	scratch_load_dwordx2 v[96:97], v17, off
	ds_read_b64 v[98:99], v1
	s_waitcnt vmcnt(0) lgkmcnt(0)
	v_mul_f64 v[96:97], v[96:97], v[98:99]
	s_cbranch_execz .LBB45_290
	s_branch .LBB45_291
.LBB45_289:
                                        ; implicit-def: $vgpr96_vgpr97
.LBB45_290:
	ds_read_b64 v[96:97], v1
.LBB45_291:
	s_and_saveexec_b64 s[8:9], s[0:1]
	s_cbranch_execz .LBB45_295
; %bb.292:
	v_add_u32_e32 v98, -16, v0
	s_movk_i32 s18, 0x1f0
	s_mov_b64 s[0:1], 0
.LBB45_293:                             ; =>This Inner Loop Header: Depth=1
	scratch_load_dwordx2 v[100:101], off, s17
	v_mov_b32_e32 v99, s18
	ds_read_b64 v[102:103], v99
	v_add_u32_e32 v98, -1, v98
	s_add_i32 s18, s18, 8
	s_add_i32 s17, s17, 8
	v_cmp_eq_u32_e32 vcc, 0, v98
	s_or_b64 s[0:1], vcc, s[0:1]
	s_waitcnt vmcnt(0) lgkmcnt(0)
	v_fmac_f64_e32 v[96:97], v[100:101], v[102:103]
	s_andn2_b64 exec, exec, s[0:1]
	s_cbranch_execnz .LBB45_293
; %bb.294:
	s_or_b64 exec, exec, s[0:1]
.LBB45_295:
	s_or_b64 exec, exec, s[8:9]
	v_mov_b32_e32 v98, 0
	ds_read_b64 v[98:99], v98 offset:120
	s_waitcnt lgkmcnt(0)
	v_mul_f64 v[96:97], v[96:97], v[98:99]
	scratch_store_dwordx2 off, v[96:97], off offset:120
.LBB45_296:
	s_or_b64 exec, exec, s[4:5]
	scratch_load_dwordx2 v[96:97], off, off offset:112
	v_cmp_lt_u32_e64 s[0:1], 14, v0
	s_waitcnt vmcnt(0)
	ds_write_b64 v1, v[96:97]
	s_waitcnt lgkmcnt(0)
	; wave barrier
	s_and_saveexec_b64 s[4:5], s[0:1]
	s_cbranch_execz .LBB45_306
; %bb.297:
	s_andn2_b64 vcc, exec, s[6:7]
	s_cbranch_vccnz .LBB45_299
; %bb.298:
	scratch_load_dwordx2 v[96:97], v17, off
	ds_read_b64 v[98:99], v1
	s_waitcnt vmcnt(0) lgkmcnt(0)
	v_mul_f64 v[96:97], v[96:97], v[98:99]
	s_cbranch_execz .LBB45_300
	s_branch .LBB45_301
.LBB45_299:
                                        ; implicit-def: $vgpr96_vgpr97
.LBB45_300:
	ds_read_b64 v[96:97], v1
.LBB45_301:
	s_and_saveexec_b64 s[8:9], s[2:3]
	s_cbranch_execz .LBB45_305
; %bb.302:
	s_movk_i32 s17, 0x78
	v_add_u32_e32 v98, -15, v0
	s_movk_i32 s18, 0x1e8
	s_mov_b64 s[2:3], 0
.LBB45_303:                             ; =>This Inner Loop Header: Depth=1
	scratch_load_dwordx2 v[100:101], off, s17
	v_mov_b32_e32 v99, s18
	ds_read_b64 v[102:103], v99
	v_add_u32_e32 v98, -1, v98
	s_add_i32 s18, s18, 8
	s_add_i32 s17, s17, 8
	v_cmp_eq_u32_e32 vcc, 0, v98
	s_or_b64 s[2:3], vcc, s[2:3]
	s_waitcnt vmcnt(0) lgkmcnt(0)
	v_fmac_f64_e32 v[96:97], v[100:101], v[102:103]
	s_andn2_b64 exec, exec, s[2:3]
	s_cbranch_execnz .LBB45_303
; %bb.304:
	s_or_b64 exec, exec, s[2:3]
.LBB45_305:
	s_or_b64 exec, exec, s[8:9]
	v_mov_b32_e32 v98, 0
	ds_read_b64 v[98:99], v98 offset:112
	s_waitcnt lgkmcnt(0)
	v_mul_f64 v[96:97], v[96:97], v[98:99]
	scratch_store_dwordx2 off, v[96:97], off offset:112
.LBB45_306:
	s_or_b64 exec, exec, s[4:5]
	scratch_load_dwordx2 v[96:97], off, off offset:104
	v_cmp_lt_u32_e64 s[2:3], 13, v0
	s_waitcnt vmcnt(0)
	ds_write_b64 v1, v[96:97]
	s_waitcnt lgkmcnt(0)
	; wave barrier
	s_and_saveexec_b64 s[4:5], s[2:3]
	s_cbranch_execz .LBB45_316
; %bb.307:
	s_andn2_b64 vcc, exec, s[6:7]
	s_cbranch_vccnz .LBB45_309
; %bb.308:
	scratch_load_dwordx2 v[96:97], v17, off
	ds_read_b64 v[98:99], v1
	s_waitcnt vmcnt(0) lgkmcnt(0)
	v_mul_f64 v[96:97], v[96:97], v[98:99]
	s_cbranch_execz .LBB45_310
	s_branch .LBB45_311
.LBB45_309:
                                        ; implicit-def: $vgpr96_vgpr97
.LBB45_310:
	ds_read_b64 v[96:97], v1
.LBB45_311:
	s_and_saveexec_b64 s[8:9], s[0:1]
	s_cbranch_execz .LBB45_315
; %bb.312:
	v_add_u32_e32 v98, -14, v0
	s_movk_i32 s17, 0x1e0
	s_mov_b64 s[0:1], 0
.LBB45_313:                             ; =>This Inner Loop Header: Depth=1
	scratch_load_dwordx2 v[100:101], off, s16
	v_mov_b32_e32 v99, s17
	ds_read_b64 v[102:103], v99
	v_add_u32_e32 v98, -1, v98
	s_add_i32 s17, s17, 8
	s_add_i32 s16, s16, 8
	v_cmp_eq_u32_e32 vcc, 0, v98
	s_or_b64 s[0:1], vcc, s[0:1]
	s_waitcnt vmcnt(0) lgkmcnt(0)
	v_fmac_f64_e32 v[96:97], v[100:101], v[102:103]
	s_andn2_b64 exec, exec, s[0:1]
	s_cbranch_execnz .LBB45_313
; %bb.314:
	s_or_b64 exec, exec, s[0:1]
.LBB45_315:
	s_or_b64 exec, exec, s[8:9]
	v_mov_b32_e32 v98, 0
	ds_read_b64 v[98:99], v98 offset:104
	s_waitcnt lgkmcnt(0)
	v_mul_f64 v[96:97], v[96:97], v[98:99]
	scratch_store_dwordx2 off, v[96:97], off offset:104
.LBB45_316:
	s_or_b64 exec, exec, s[4:5]
	scratch_load_dwordx2 v[96:97], off, off offset:96
	v_cmp_lt_u32_e64 s[0:1], 12, v0
	s_waitcnt vmcnt(0)
	ds_write_b64 v1, v[96:97]
	s_waitcnt lgkmcnt(0)
	; wave barrier
	s_and_saveexec_b64 s[4:5], s[0:1]
	s_cbranch_execz .LBB45_326
; %bb.317:
	s_andn2_b64 vcc, exec, s[6:7]
	s_cbranch_vccnz .LBB45_319
; %bb.318:
	scratch_load_dwordx2 v[96:97], v17, off
	ds_read_b64 v[98:99], v1
	s_waitcnt vmcnt(0) lgkmcnt(0)
	v_mul_f64 v[96:97], v[96:97], v[98:99]
	s_cbranch_execz .LBB45_320
	s_branch .LBB45_321
.LBB45_319:
                                        ; implicit-def: $vgpr96_vgpr97
.LBB45_320:
	ds_read_b64 v[96:97], v1
.LBB45_321:
	s_and_saveexec_b64 s[8:9], s[2:3]
	s_cbranch_execz .LBB45_325
; %bb.322:
	s_movk_i32 s16, 0x68
	v_add_u32_e32 v98, -13, v0
	s_movk_i32 s17, 0x1d8
	s_mov_b64 s[2:3], 0
.LBB45_323:                             ; =>This Inner Loop Header: Depth=1
	scratch_load_dwordx2 v[100:101], off, s16
	v_mov_b32_e32 v99, s17
	ds_read_b64 v[102:103], v99
	v_add_u32_e32 v98, -1, v98
	s_add_i32 s17, s17, 8
	s_add_i32 s16, s16, 8
	v_cmp_eq_u32_e32 vcc, 0, v98
	s_or_b64 s[2:3], vcc, s[2:3]
	s_waitcnt vmcnt(0) lgkmcnt(0)
	v_fmac_f64_e32 v[96:97], v[100:101], v[102:103]
	s_andn2_b64 exec, exec, s[2:3]
	s_cbranch_execnz .LBB45_323
; %bb.324:
	s_or_b64 exec, exec, s[2:3]
.LBB45_325:
	s_or_b64 exec, exec, s[8:9]
	v_mov_b32_e32 v98, 0
	ds_read_b64 v[98:99], v98 offset:96
	s_waitcnt lgkmcnt(0)
	v_mul_f64 v[96:97], v[96:97], v[98:99]
	scratch_store_dwordx2 off, v[96:97], off offset:96
.LBB45_326:
	s_or_b64 exec, exec, s[4:5]
	scratch_load_dwordx2 v[96:97], off, off offset:88
	v_cmp_lt_u32_e64 s[2:3], 11, v0
	s_waitcnt vmcnt(0)
	ds_write_b64 v1, v[96:97]
	s_waitcnt lgkmcnt(0)
	; wave barrier
	s_and_saveexec_b64 s[4:5], s[2:3]
	s_cbranch_execz .LBB45_336
; %bb.327:
	s_andn2_b64 vcc, exec, s[6:7]
	s_cbranch_vccnz .LBB45_329
; %bb.328:
	scratch_load_dwordx2 v[96:97], v17, off
	ds_read_b64 v[98:99], v1
	s_waitcnt vmcnt(0) lgkmcnt(0)
	v_mul_f64 v[96:97], v[96:97], v[98:99]
	s_cbranch_execz .LBB45_330
	s_branch .LBB45_331
.LBB45_329:
                                        ; implicit-def: $vgpr96_vgpr97
.LBB45_330:
	ds_read_b64 v[96:97], v1
.LBB45_331:
	s_and_saveexec_b64 s[8:9], s[0:1]
	s_cbranch_execz .LBB45_335
; %bb.332:
	v_add_u32_e32 v98, -12, v0
	s_movk_i32 s16, 0x1d0
	s_mov_b64 s[0:1], 0
.LBB45_333:                             ; =>This Inner Loop Header: Depth=1
	scratch_load_dwordx2 v[100:101], off, s15
	v_mov_b32_e32 v99, s16
	ds_read_b64 v[102:103], v99
	v_add_u32_e32 v98, -1, v98
	s_add_i32 s16, s16, 8
	s_add_i32 s15, s15, 8
	v_cmp_eq_u32_e32 vcc, 0, v98
	s_or_b64 s[0:1], vcc, s[0:1]
	s_waitcnt vmcnt(0) lgkmcnt(0)
	v_fmac_f64_e32 v[96:97], v[100:101], v[102:103]
	s_andn2_b64 exec, exec, s[0:1]
	s_cbranch_execnz .LBB45_333
; %bb.334:
	s_or_b64 exec, exec, s[0:1]
.LBB45_335:
	s_or_b64 exec, exec, s[8:9]
	v_mov_b32_e32 v98, 0
	ds_read_b64 v[98:99], v98 offset:88
	s_waitcnt lgkmcnt(0)
	v_mul_f64 v[96:97], v[96:97], v[98:99]
	scratch_store_dwordx2 off, v[96:97], off offset:88
.LBB45_336:
	s_or_b64 exec, exec, s[4:5]
	scratch_load_dwordx2 v[96:97], off, off offset:80
	v_cmp_lt_u32_e64 s[0:1], 10, v0
	s_waitcnt vmcnt(0)
	ds_write_b64 v1, v[96:97]
	s_waitcnt lgkmcnt(0)
	; wave barrier
	s_and_saveexec_b64 s[4:5], s[0:1]
	s_cbranch_execz .LBB45_346
; %bb.337:
	s_andn2_b64 vcc, exec, s[6:7]
	s_cbranch_vccnz .LBB45_339
; %bb.338:
	scratch_load_dwordx2 v[96:97], v17, off
	ds_read_b64 v[98:99], v1
	s_waitcnt vmcnt(0) lgkmcnt(0)
	v_mul_f64 v[96:97], v[96:97], v[98:99]
	s_cbranch_execz .LBB45_340
	s_branch .LBB45_341
.LBB45_339:
                                        ; implicit-def: $vgpr96_vgpr97
.LBB45_340:
	ds_read_b64 v[96:97], v1
.LBB45_341:
	s_and_saveexec_b64 s[8:9], s[2:3]
	s_cbranch_execz .LBB45_345
; %bb.342:
	s_movk_i32 s15, 0x58
	v_add_u32_e32 v98, -11, v0
	s_movk_i32 s16, 0x1c8
	s_mov_b64 s[2:3], 0
.LBB45_343:                             ; =>This Inner Loop Header: Depth=1
	scratch_load_dwordx2 v[100:101], off, s15
	v_mov_b32_e32 v99, s16
	ds_read_b64 v[102:103], v99
	v_add_u32_e32 v98, -1, v98
	s_add_i32 s16, s16, 8
	s_add_i32 s15, s15, 8
	v_cmp_eq_u32_e32 vcc, 0, v98
	s_or_b64 s[2:3], vcc, s[2:3]
	s_waitcnt vmcnt(0) lgkmcnt(0)
	v_fmac_f64_e32 v[96:97], v[100:101], v[102:103]
	s_andn2_b64 exec, exec, s[2:3]
	s_cbranch_execnz .LBB45_343
; %bb.344:
	s_or_b64 exec, exec, s[2:3]
.LBB45_345:
	s_or_b64 exec, exec, s[8:9]
	v_mov_b32_e32 v98, 0
	ds_read_b64 v[98:99], v98 offset:80
	s_waitcnt lgkmcnt(0)
	v_mul_f64 v[96:97], v[96:97], v[98:99]
	scratch_store_dwordx2 off, v[96:97], off offset:80
.LBB45_346:
	s_or_b64 exec, exec, s[4:5]
	scratch_load_dwordx2 v[96:97], off, off offset:72
	v_cmp_lt_u32_e64 s[2:3], 9, v0
	s_waitcnt vmcnt(0)
	ds_write_b64 v1, v[96:97]
	s_waitcnt lgkmcnt(0)
	; wave barrier
	s_and_saveexec_b64 s[4:5], s[2:3]
	s_cbranch_execz .LBB45_356
; %bb.347:
	s_andn2_b64 vcc, exec, s[6:7]
	s_cbranch_vccnz .LBB45_349
; %bb.348:
	scratch_load_dwordx2 v[96:97], v17, off
	ds_read_b64 v[98:99], v1
	s_waitcnt vmcnt(0) lgkmcnt(0)
	v_mul_f64 v[96:97], v[96:97], v[98:99]
	s_cbranch_execz .LBB45_350
	s_branch .LBB45_351
.LBB45_349:
                                        ; implicit-def: $vgpr96_vgpr97
.LBB45_350:
	ds_read_b64 v[96:97], v1
.LBB45_351:
	s_and_saveexec_b64 s[8:9], s[0:1]
	s_cbranch_execz .LBB45_355
; %bb.352:
	v_add_u32_e32 v98, -10, v0
	s_movk_i32 s15, 0x1c0
	s_mov_b64 s[0:1], 0
.LBB45_353:                             ; =>This Inner Loop Header: Depth=1
	scratch_load_dwordx2 v[100:101], off, s14
	v_mov_b32_e32 v99, s15
	ds_read_b64 v[102:103], v99
	v_add_u32_e32 v98, -1, v98
	s_add_i32 s15, s15, 8
	s_add_i32 s14, s14, 8
	v_cmp_eq_u32_e32 vcc, 0, v98
	s_or_b64 s[0:1], vcc, s[0:1]
	s_waitcnt vmcnt(0) lgkmcnt(0)
	v_fmac_f64_e32 v[96:97], v[100:101], v[102:103]
	s_andn2_b64 exec, exec, s[0:1]
	s_cbranch_execnz .LBB45_353
; %bb.354:
	s_or_b64 exec, exec, s[0:1]
.LBB45_355:
	s_or_b64 exec, exec, s[8:9]
	v_mov_b32_e32 v98, 0
	ds_read_b64 v[98:99], v98 offset:72
	s_waitcnt lgkmcnt(0)
	v_mul_f64 v[96:97], v[96:97], v[98:99]
	scratch_store_dwordx2 off, v[96:97], off offset:72
.LBB45_356:
	s_or_b64 exec, exec, s[4:5]
	scratch_load_dwordx2 v[96:97], off, off offset:64
	v_cmp_lt_u32_e64 s[0:1], 8, v0
	s_waitcnt vmcnt(0)
	ds_write_b64 v1, v[96:97]
	s_waitcnt lgkmcnt(0)
	; wave barrier
	s_and_saveexec_b64 s[4:5], s[0:1]
	s_cbranch_execz .LBB45_366
; %bb.357:
	s_andn2_b64 vcc, exec, s[6:7]
	s_cbranch_vccnz .LBB45_359
; %bb.358:
	scratch_load_dwordx2 v[96:97], v17, off
	ds_read_b64 v[98:99], v1
	s_waitcnt vmcnt(0) lgkmcnt(0)
	v_mul_f64 v[96:97], v[96:97], v[98:99]
	s_cbranch_execz .LBB45_360
	s_branch .LBB45_361
.LBB45_359:
                                        ; implicit-def: $vgpr96_vgpr97
.LBB45_360:
	ds_read_b64 v[96:97], v1
.LBB45_361:
	s_and_saveexec_b64 s[8:9], s[2:3]
	s_cbranch_execz .LBB45_365
; %bb.362:
	s_movk_i32 s14, 0x48
	v_add_u32_e32 v98, -9, v0
	s_movk_i32 s15, 0x1b8
	s_mov_b64 s[2:3], 0
.LBB45_363:                             ; =>This Inner Loop Header: Depth=1
	scratch_load_dwordx2 v[100:101], off, s14
	v_mov_b32_e32 v99, s15
	ds_read_b64 v[102:103], v99
	v_add_u32_e32 v98, -1, v98
	s_add_i32 s15, s15, 8
	s_add_i32 s14, s14, 8
	v_cmp_eq_u32_e32 vcc, 0, v98
	s_or_b64 s[2:3], vcc, s[2:3]
	s_waitcnt vmcnt(0) lgkmcnt(0)
	v_fmac_f64_e32 v[96:97], v[100:101], v[102:103]
	s_andn2_b64 exec, exec, s[2:3]
	s_cbranch_execnz .LBB45_363
; %bb.364:
	s_or_b64 exec, exec, s[2:3]
.LBB45_365:
	s_or_b64 exec, exec, s[8:9]
	v_mov_b32_e32 v98, 0
	ds_read_b64 v[98:99], v98 offset:64
	s_waitcnt lgkmcnt(0)
	v_mul_f64 v[96:97], v[96:97], v[98:99]
	scratch_store_dwordx2 off, v[96:97], off offset:64
.LBB45_366:
	s_or_b64 exec, exec, s[4:5]
	scratch_load_dwordx2 v[96:97], off, off offset:56
	v_cmp_lt_u32_e64 s[2:3], 7, v0
	s_waitcnt vmcnt(0)
	ds_write_b64 v1, v[96:97]
	s_waitcnt lgkmcnt(0)
	; wave barrier
	s_and_saveexec_b64 s[4:5], s[2:3]
	s_cbranch_execz .LBB45_376
; %bb.367:
	s_andn2_b64 vcc, exec, s[6:7]
	s_cbranch_vccnz .LBB45_369
; %bb.368:
	scratch_load_dwordx2 v[96:97], v17, off
	ds_read_b64 v[98:99], v1
	s_waitcnt vmcnt(0) lgkmcnt(0)
	v_mul_f64 v[96:97], v[96:97], v[98:99]
	s_cbranch_execz .LBB45_370
	s_branch .LBB45_371
.LBB45_369:
                                        ; implicit-def: $vgpr96_vgpr97
.LBB45_370:
	ds_read_b64 v[96:97], v1
.LBB45_371:
	s_and_saveexec_b64 s[8:9], s[0:1]
	s_cbranch_execz .LBB45_375
; %bb.372:
	v_add_u32_e32 v98, -8, v0
	s_movk_i32 s14, 0x1b0
	s_mov_b64 s[0:1], 0
.LBB45_373:                             ; =>This Inner Loop Header: Depth=1
	scratch_load_dwordx2 v[100:101], off, s13
	v_mov_b32_e32 v99, s14
	ds_read_b64 v[102:103], v99
	v_add_u32_e32 v98, -1, v98
	s_add_i32 s14, s14, 8
	s_add_i32 s13, s13, 8
	v_cmp_eq_u32_e32 vcc, 0, v98
	s_or_b64 s[0:1], vcc, s[0:1]
	s_waitcnt vmcnt(0) lgkmcnt(0)
	v_fmac_f64_e32 v[96:97], v[100:101], v[102:103]
	s_andn2_b64 exec, exec, s[0:1]
	s_cbranch_execnz .LBB45_373
; %bb.374:
	s_or_b64 exec, exec, s[0:1]
.LBB45_375:
	s_or_b64 exec, exec, s[8:9]
	v_mov_b32_e32 v98, 0
	ds_read_b64 v[98:99], v98 offset:56
	s_waitcnt lgkmcnt(0)
	v_mul_f64 v[96:97], v[96:97], v[98:99]
	scratch_store_dwordx2 off, v[96:97], off offset:56
.LBB45_376:
	s_or_b64 exec, exec, s[4:5]
	scratch_load_dwordx2 v[96:97], off, off offset:48
	v_cmp_lt_u32_e64 s[0:1], 6, v0
	s_waitcnt vmcnt(0)
	ds_write_b64 v1, v[96:97]
	s_waitcnt lgkmcnt(0)
	; wave barrier
	s_and_saveexec_b64 s[4:5], s[0:1]
	s_cbranch_execz .LBB45_386
; %bb.377:
	s_andn2_b64 vcc, exec, s[6:7]
	s_cbranch_vccnz .LBB45_379
; %bb.378:
	scratch_load_dwordx2 v[96:97], v17, off
	ds_read_b64 v[98:99], v1
	s_waitcnt vmcnt(0) lgkmcnt(0)
	v_mul_f64 v[96:97], v[96:97], v[98:99]
	s_cbranch_execz .LBB45_380
	s_branch .LBB45_381
.LBB45_379:
                                        ; implicit-def: $vgpr96_vgpr97
.LBB45_380:
	ds_read_b64 v[96:97], v1
.LBB45_381:
	s_and_saveexec_b64 s[8:9], s[2:3]
	s_cbranch_execz .LBB45_385
; %bb.382:
	s_mov_b32 s13, 56
	v_add_u32_e32 v98, -7, v0
	s_movk_i32 s14, 0x1a8
	s_mov_b64 s[2:3], 0
.LBB45_383:                             ; =>This Inner Loop Header: Depth=1
	scratch_load_dwordx2 v[100:101], off, s13
	v_mov_b32_e32 v99, s14
	ds_read_b64 v[102:103], v99
	v_add_u32_e32 v98, -1, v98
	s_add_i32 s14, s14, 8
	s_add_i32 s13, s13, 8
	v_cmp_eq_u32_e32 vcc, 0, v98
	s_or_b64 s[2:3], vcc, s[2:3]
	s_waitcnt vmcnt(0) lgkmcnt(0)
	v_fmac_f64_e32 v[96:97], v[100:101], v[102:103]
	s_andn2_b64 exec, exec, s[2:3]
	s_cbranch_execnz .LBB45_383
; %bb.384:
	s_or_b64 exec, exec, s[2:3]
.LBB45_385:
	s_or_b64 exec, exec, s[8:9]
	v_mov_b32_e32 v98, 0
	ds_read_b64 v[98:99], v98 offset:48
	s_waitcnt lgkmcnt(0)
	v_mul_f64 v[96:97], v[96:97], v[98:99]
	scratch_store_dwordx2 off, v[96:97], off offset:48
.LBB45_386:
	s_or_b64 exec, exec, s[4:5]
	scratch_load_dwordx2 v[96:97], off, off offset:40
	v_cmp_lt_u32_e64 s[2:3], 5, v0
	s_waitcnt vmcnt(0)
	ds_write_b64 v1, v[96:97]
	s_waitcnt lgkmcnt(0)
	; wave barrier
	s_and_saveexec_b64 s[4:5], s[2:3]
	s_cbranch_execz .LBB45_396
; %bb.387:
	s_andn2_b64 vcc, exec, s[6:7]
	s_cbranch_vccnz .LBB45_389
; %bb.388:
	scratch_load_dwordx2 v[96:97], v17, off
	ds_read_b64 v[98:99], v1
	s_waitcnt vmcnt(0) lgkmcnt(0)
	v_mul_f64 v[96:97], v[96:97], v[98:99]
	s_cbranch_execz .LBB45_390
	s_branch .LBB45_391
.LBB45_389:
                                        ; implicit-def: $vgpr96_vgpr97
.LBB45_390:
	ds_read_b64 v[96:97], v1
.LBB45_391:
	s_and_saveexec_b64 s[8:9], s[0:1]
	s_cbranch_execz .LBB45_395
; %bb.392:
	v_add_u32_e32 v98, -6, v0
	s_movk_i32 s13, 0x1a0
	s_mov_b64 s[0:1], 0
.LBB45_393:                             ; =>This Inner Loop Header: Depth=1
	scratch_load_dwordx2 v[100:101], off, s12
	v_mov_b32_e32 v99, s13
	ds_read_b64 v[102:103], v99
	v_add_u32_e32 v98, -1, v98
	s_add_i32 s13, s13, 8
	s_add_i32 s12, s12, 8
	v_cmp_eq_u32_e32 vcc, 0, v98
	s_or_b64 s[0:1], vcc, s[0:1]
	s_waitcnt vmcnt(0) lgkmcnt(0)
	v_fmac_f64_e32 v[96:97], v[100:101], v[102:103]
	s_andn2_b64 exec, exec, s[0:1]
	s_cbranch_execnz .LBB45_393
; %bb.394:
	s_or_b64 exec, exec, s[0:1]
.LBB45_395:
	s_or_b64 exec, exec, s[8:9]
	v_mov_b32_e32 v98, 0
	ds_read_b64 v[98:99], v98 offset:40
	s_waitcnt lgkmcnt(0)
	v_mul_f64 v[96:97], v[96:97], v[98:99]
	scratch_store_dwordx2 off, v[96:97], off offset:40
.LBB45_396:
	s_or_b64 exec, exec, s[4:5]
	scratch_load_dwordx2 v[96:97], off, off offset:32
	v_cmp_lt_u32_e64 s[0:1], 4, v0
	s_waitcnt vmcnt(0)
	ds_write_b64 v1, v[96:97]
	s_waitcnt lgkmcnt(0)
	; wave barrier
	s_and_saveexec_b64 s[4:5], s[0:1]
	s_cbranch_execz .LBB45_406
; %bb.397:
	s_andn2_b64 vcc, exec, s[6:7]
	s_cbranch_vccnz .LBB45_399
; %bb.398:
	scratch_load_dwordx2 v[96:97], v17, off
	ds_read_b64 v[98:99], v1
	s_waitcnt vmcnt(0) lgkmcnt(0)
	v_mul_f64 v[96:97], v[96:97], v[98:99]
	s_cbranch_execz .LBB45_400
	s_branch .LBB45_401
.LBB45_399:
                                        ; implicit-def: $vgpr96_vgpr97
.LBB45_400:
	ds_read_b64 v[96:97], v1
.LBB45_401:
	s_and_saveexec_b64 s[8:9], s[2:3]
	s_cbranch_execz .LBB45_405
; %bb.402:
	s_mov_b32 s12, 40
	v_add_u32_e32 v98, -5, v0
	s_movk_i32 s13, 0x198
	s_mov_b64 s[2:3], 0
.LBB45_403:                             ; =>This Inner Loop Header: Depth=1
	scratch_load_dwordx2 v[100:101], off, s12
	v_mov_b32_e32 v99, s13
	ds_read_b64 v[102:103], v99
	v_add_u32_e32 v98, -1, v98
	s_add_i32 s13, s13, 8
	s_add_i32 s12, s12, 8
	v_cmp_eq_u32_e32 vcc, 0, v98
	s_or_b64 s[2:3], vcc, s[2:3]
	s_waitcnt vmcnt(0) lgkmcnt(0)
	v_fmac_f64_e32 v[96:97], v[100:101], v[102:103]
	s_andn2_b64 exec, exec, s[2:3]
	s_cbranch_execnz .LBB45_403
; %bb.404:
	s_or_b64 exec, exec, s[2:3]
.LBB45_405:
	s_or_b64 exec, exec, s[8:9]
	v_mov_b32_e32 v98, 0
	ds_read_b64 v[98:99], v98 offset:32
	s_waitcnt lgkmcnt(0)
	v_mul_f64 v[96:97], v[96:97], v[98:99]
	scratch_store_dwordx2 off, v[96:97], off offset:32
.LBB45_406:
	s_or_b64 exec, exec, s[4:5]
	scratch_load_dwordx2 v[96:97], off, off offset:24
	v_cmp_lt_u32_e64 s[2:3], 3, v0
	s_waitcnt vmcnt(0)
	ds_write_b64 v1, v[96:97]
	s_waitcnt lgkmcnt(0)
	; wave barrier
	s_and_saveexec_b64 s[4:5], s[2:3]
	s_cbranch_execz .LBB45_416
; %bb.407:
	s_andn2_b64 vcc, exec, s[6:7]
	s_cbranch_vccnz .LBB45_409
; %bb.408:
	scratch_load_dwordx2 v[96:97], v17, off
	ds_read_b64 v[98:99], v1
	s_waitcnt vmcnt(0) lgkmcnt(0)
	v_mul_f64 v[96:97], v[96:97], v[98:99]
	s_cbranch_execz .LBB45_410
	s_branch .LBB45_411
.LBB45_409:
                                        ; implicit-def: $vgpr96_vgpr97
.LBB45_410:
	ds_read_b64 v[96:97], v1
.LBB45_411:
	s_and_saveexec_b64 s[8:9], s[0:1]
	s_cbranch_execz .LBB45_415
; %bb.412:
	v_add_u32_e32 v98, -4, v0
	s_movk_i32 s12, 0x190
	s_mov_b64 s[0:1], 0
.LBB45_413:                             ; =>This Inner Loop Header: Depth=1
	scratch_load_dwordx2 v[100:101], off, s11
	v_mov_b32_e32 v99, s12
	ds_read_b64 v[102:103], v99
	v_add_u32_e32 v98, -1, v98
	s_add_i32 s12, s12, 8
	s_add_i32 s11, s11, 8
	v_cmp_eq_u32_e32 vcc, 0, v98
	s_or_b64 s[0:1], vcc, s[0:1]
	s_waitcnt vmcnt(0) lgkmcnt(0)
	v_fmac_f64_e32 v[96:97], v[100:101], v[102:103]
	s_andn2_b64 exec, exec, s[0:1]
	s_cbranch_execnz .LBB45_413
; %bb.414:
	s_or_b64 exec, exec, s[0:1]
.LBB45_415:
	s_or_b64 exec, exec, s[8:9]
	v_mov_b32_e32 v98, 0
	ds_read_b64 v[98:99], v98 offset:24
	s_waitcnt lgkmcnt(0)
	v_mul_f64 v[96:97], v[96:97], v[98:99]
	scratch_store_dwordx2 off, v[96:97], off offset:24
.LBB45_416:
	s_or_b64 exec, exec, s[4:5]
	scratch_load_dwordx2 v[96:97], off, off offset:16
	v_cmp_lt_u32_e64 s[0:1], 2, v0
	s_waitcnt vmcnt(0)
	ds_write_b64 v1, v[96:97]
	s_waitcnt lgkmcnt(0)
	; wave barrier
	s_and_saveexec_b64 s[4:5], s[0:1]
	s_cbranch_execz .LBB45_426
; %bb.417:
	s_andn2_b64 vcc, exec, s[6:7]
	s_cbranch_vccnz .LBB45_419
; %bb.418:
	scratch_load_dwordx2 v[96:97], v17, off
	ds_read_b64 v[98:99], v1
	s_waitcnt vmcnt(0) lgkmcnt(0)
	v_mul_f64 v[96:97], v[96:97], v[98:99]
	s_cbranch_execz .LBB45_420
	s_branch .LBB45_421
.LBB45_419:
                                        ; implicit-def: $vgpr96_vgpr97
.LBB45_420:
	ds_read_b64 v[96:97], v1
.LBB45_421:
	s_and_saveexec_b64 s[8:9], s[2:3]
	s_cbranch_execz .LBB45_425
; %bb.422:
	s_mov_b32 s11, 24
	v_add_u32_e32 v98, -3, v0
	s_movk_i32 s12, 0x188
	s_mov_b64 s[2:3], 0
.LBB45_423:                             ; =>This Inner Loop Header: Depth=1
	scratch_load_dwordx2 v[100:101], off, s11
	v_mov_b32_e32 v99, s12
	ds_read_b64 v[102:103], v99
	v_add_u32_e32 v98, -1, v98
	s_add_i32 s12, s12, 8
	s_add_i32 s11, s11, 8
	v_cmp_eq_u32_e32 vcc, 0, v98
	s_or_b64 s[2:3], vcc, s[2:3]
	s_waitcnt vmcnt(0) lgkmcnt(0)
	v_fmac_f64_e32 v[96:97], v[100:101], v[102:103]
	s_andn2_b64 exec, exec, s[2:3]
	s_cbranch_execnz .LBB45_423
; %bb.424:
	s_or_b64 exec, exec, s[2:3]
.LBB45_425:
	s_or_b64 exec, exec, s[8:9]
	v_mov_b32_e32 v98, 0
	ds_read_b64 v[98:99], v98 offset:16
	s_waitcnt lgkmcnt(0)
	v_mul_f64 v[96:97], v[96:97], v[98:99]
	scratch_store_dwordx2 off, v[96:97], off offset:16
.LBB45_426:
	s_or_b64 exec, exec, s[4:5]
	scratch_load_dwordx2 v[96:97], off, off offset:8
	v_cmp_lt_u32_e64 s[2:3], 1, v0
	s_waitcnt vmcnt(0)
	ds_write_b64 v1, v[96:97]
	s_waitcnt lgkmcnt(0)
	; wave barrier
	s_and_saveexec_b64 s[4:5], s[2:3]
	s_cbranch_execz .LBB45_436
; %bb.427:
	s_andn2_b64 vcc, exec, s[6:7]
	s_cbranch_vccnz .LBB45_429
; %bb.428:
	scratch_load_dwordx2 v[96:97], v17, off
	ds_read_b64 v[98:99], v1
	s_waitcnt vmcnt(0) lgkmcnt(0)
	v_mul_f64 v[96:97], v[96:97], v[98:99]
	s_cbranch_execz .LBB45_430
	s_branch .LBB45_431
.LBB45_429:
                                        ; implicit-def: $vgpr96_vgpr97
.LBB45_430:
	ds_read_b64 v[96:97], v1
.LBB45_431:
	s_and_saveexec_b64 s[8:9], s[0:1]
	s_cbranch_execz .LBB45_435
; %bb.432:
	v_add_u32_e32 v98, -2, v0
	s_movk_i32 s11, 0x180
	s_mov_b64 s[0:1], 0
.LBB45_433:                             ; =>This Inner Loop Header: Depth=1
	scratch_load_dwordx2 v[100:101], off, s10
	v_mov_b32_e32 v99, s11
	ds_read_b64 v[102:103], v99
	v_add_u32_e32 v98, -1, v98
	s_add_i32 s11, s11, 8
	s_add_i32 s10, s10, 8
	v_cmp_eq_u32_e32 vcc, 0, v98
	s_or_b64 s[0:1], vcc, s[0:1]
	s_waitcnt vmcnt(0) lgkmcnt(0)
	v_fmac_f64_e32 v[96:97], v[100:101], v[102:103]
	s_andn2_b64 exec, exec, s[0:1]
	s_cbranch_execnz .LBB45_433
; %bb.434:
	s_or_b64 exec, exec, s[0:1]
.LBB45_435:
	s_or_b64 exec, exec, s[8:9]
	v_mov_b32_e32 v98, 0
	ds_read_b64 v[98:99], v98 offset:8
	s_waitcnt lgkmcnt(0)
	v_mul_f64 v[96:97], v[96:97], v[98:99]
	scratch_store_dwordx2 off, v[96:97], off offset:8
.LBB45_436:
	s_or_b64 exec, exec, s[4:5]
	scratch_load_dwordx2 v[96:97], off, off
	v_cmp_ne_u32_e32 vcc, 0, v0
	s_waitcnt vmcnt(0)
	ds_write_b64 v1, v[96:97]
	s_waitcnt lgkmcnt(0)
	; wave barrier
	s_and_saveexec_b64 s[0:1], vcc
	s_cbranch_execz .LBB45_446
; %bb.437:
	s_andn2_b64 vcc, exec, s[6:7]
	s_cbranch_vccnz .LBB45_439
; %bb.438:
	scratch_load_dwordx2 v[96:97], v17, off
	ds_read_b64 v[98:99], v1
	s_waitcnt vmcnt(0) lgkmcnt(0)
	v_mul_f64 v[96:97], v[96:97], v[98:99]
	s_cbranch_execz .LBB45_440
	s_branch .LBB45_441
.LBB45_439:
                                        ; implicit-def: $vgpr96_vgpr97
.LBB45_440:
	ds_read_b64 v[96:97], v1
.LBB45_441:
	s_and_saveexec_b64 s[4:5], s[2:3]
	s_cbranch_execz .LBB45_445
; %bb.442:
	s_or_b32 s8, 0, 8
	v_add_u32_e32 v98, -1, v0
	s_movk_i32 s9, 0x178
	s_mov_b64 s[2:3], 0
.LBB45_443:                             ; =>This Inner Loop Header: Depth=1
	scratch_load_dwordx2 v[100:101], off, s8
	v_mov_b32_e32 v99, s9
	ds_read_b64 v[102:103], v99
	v_add_u32_e32 v98, -1, v98
	s_add_i32 s9, s9, 8
	s_add_i32 s8, s8, 8
	v_cmp_eq_u32_e32 vcc, 0, v98
	s_or_b64 s[2:3], vcc, s[2:3]
	s_waitcnt vmcnt(0) lgkmcnt(0)
	v_fmac_f64_e32 v[96:97], v[100:101], v[102:103]
	s_andn2_b64 exec, exec, s[2:3]
	s_cbranch_execnz .LBB45_443
; %bb.444:
	s_or_b64 exec, exec, s[2:3]
.LBB45_445:
	s_or_b64 exec, exec, s[4:5]
	v_mov_b32_e32 v98, 0
	ds_read_b64 v[98:99], v98
	s_waitcnt lgkmcnt(0)
	v_mul_f64 v[96:97], v[96:97], v[98:99]
	scratch_store_dwordx2 off, v[96:97], off
.LBB45_446:
	s_or_b64 exec, exec, s[0:1]
	s_mov_b64 s[0:1], 0
.LBB45_447:
	s_and_b64 vcc, exec, s[0:1]
	s_cbranch_vccz .LBB45_889
; %bb.448:
	scratch_load_dwordx2 v[96:97], off, off offset:8
	v_cmp_eq_u32_e64 s[2:3], 0, v0
	s_waitcnt vmcnt(0)
	ds_write_b64 v1, v[96:97]
	s_waitcnt lgkmcnt(0)
	; wave barrier
	s_and_saveexec_b64 s[0:1], s[2:3]
	s_cbranch_execz .LBB45_454
; %bb.449:
	s_and_b64 vcc, exec, s[6:7]
	s_cbranch_vccz .LBB45_451
; %bb.450:
	scratch_load_dwordx2 v[96:97], v17, off
	ds_read_b64 v[98:99], v1
	s_waitcnt vmcnt(0) lgkmcnt(0)
	v_mul_f64 v[96:97], v[96:97], v[98:99]
	s_cbranch_execz .LBB45_452
	s_branch .LBB45_453
.LBB45_451:
                                        ; implicit-def: $vgpr96_vgpr97
.LBB45_452:
	ds_read_b64 v[96:97], v1
.LBB45_453:
	v_mov_b32_e32 v98, 0
	ds_read_b64 v[98:99], v98 offset:8
	s_waitcnt lgkmcnt(0)
	v_mul_f64 v[96:97], v[96:97], v[98:99]
	scratch_store_dwordx2 off, v[96:97], off offset:8
.LBB45_454:
	s_or_b64 exec, exec, s[0:1]
	scratch_load_dwordx2 v[96:97], off, off offset:16
	v_cndmask_b32_e64 v98, 0, 1, s[6:7]
	v_cmp_gt_u32_e32 vcc, 2, v0
	v_cmp_ne_u32_e64 s[0:1], 1, v98
	s_waitcnt vmcnt(0)
	ds_write_b64 v1, v[96:97]
	s_waitcnt lgkmcnt(0)
	; wave barrier
	s_and_saveexec_b64 s[4:5], vcc
	s_cbranch_execz .LBB45_460
; %bb.455:
	s_and_b64 vcc, exec, s[0:1]
	s_cbranch_vccnz .LBB45_457
; %bb.456:
	scratch_load_dwordx2 v[96:97], v17, off
	ds_read_b64 v[98:99], v1
	s_waitcnt vmcnt(0) lgkmcnt(0)
	v_mul_f64 v[96:97], v[96:97], v[98:99]
	s_cbranch_execz .LBB45_458
	s_branch .LBB45_459
.LBB45_457:
                                        ; implicit-def: $vgpr96_vgpr97
.LBB45_458:
	ds_read_b64 v[96:97], v1
.LBB45_459:
	scratch_load_dwordx2 v[102:103], off, off offset:8
	v_mov_b32_e32 v98, 0
	ds_read2_b64 v[98:101], v98 offset0:2 offset1:47
	s_waitcnt vmcnt(0) lgkmcnt(0)
	v_fma_f64 v[100:101], v[102:103], v[100:101], v[96:97]
	v_cndmask_b32_e64 v97, v97, v101, s[2:3]
	v_cndmask_b32_e64 v96, v96, v100, s[2:3]
	v_mul_f64 v[96:97], v[96:97], v[98:99]
	scratch_store_dwordx2 off, v[96:97], off offset:16
.LBB45_460:
	s_or_b64 exec, exec, s[4:5]
	scratch_load_dwordx2 v[96:97], off, off offset:24
	v_cmp_gt_u32_e32 vcc, 3, v0
	s_waitcnt vmcnt(0)
	ds_write_b64 v1, v[96:97]
	s_waitcnt lgkmcnt(0)
	; wave barrier
	s_and_saveexec_b64 s[4:5], vcc
	s_cbranch_execz .LBB45_468
; %bb.461:
	s_and_b64 vcc, exec, s[0:1]
	s_cbranch_vccnz .LBB45_463
; %bb.462:
	scratch_load_dwordx2 v[96:97], v17, off
	ds_read_b64 v[98:99], v1
	s_waitcnt vmcnt(0) lgkmcnt(0)
	v_mul_f64 v[96:97], v[96:97], v[98:99]
	s_cbranch_execz .LBB45_464
	s_branch .LBB45_465
.LBB45_463:
                                        ; implicit-def: $vgpr96_vgpr97
.LBB45_464:
	ds_read_b64 v[96:97], v1
.LBB45_465:
	v_cmp_ne_u32_e32 vcc, 2, v0
	s_and_saveexec_b64 s[6:7], vcc
	s_cbranch_execz .LBB45_467
; %bb.466:
	scratch_load_dwordx2 v[98:99], v17, off offset:8
	scratch_load_dwordx2 v[100:101], off, off offset:16
	ds_read_b64 v[102:103], v1 offset:8
	v_mov_b32_e32 v104, 0
	ds_read_b64 v[104:105], v104 offset:384
	s_waitcnt vmcnt(1) lgkmcnt(1)
	v_fmac_f64_e32 v[96:97], v[98:99], v[102:103]
	s_waitcnt vmcnt(0) lgkmcnt(0)
	v_fma_f64 v[98:99], v[100:101], v[104:105], v[96:97]
	v_cndmask_b32_e64 v97, v97, v99, s[2:3]
	v_cndmask_b32_e64 v96, v96, v98, s[2:3]
.LBB45_467:
	s_or_b64 exec, exec, s[6:7]
	v_mov_b32_e32 v98, 0
	ds_read_b64 v[98:99], v98 offset:24
	s_waitcnt lgkmcnt(0)
	v_mul_f64 v[96:97], v[96:97], v[98:99]
	scratch_store_dwordx2 off, v[96:97], off offset:24
.LBB45_468:
	s_or_b64 exec, exec, s[4:5]
	scratch_load_dwordx2 v[96:97], off, off offset:32
	v_cmp_gt_u32_e32 vcc, 4, v0
	s_waitcnt vmcnt(0)
	ds_write_b64 v1, v[96:97]
	s_waitcnt lgkmcnt(0)
	; wave barrier
	s_and_saveexec_b64 s[2:3], vcc
	s_cbranch_execz .LBB45_478
; %bb.469:
	s_and_b64 vcc, exec, s[0:1]
	s_cbranch_vccnz .LBB45_471
; %bb.470:
	scratch_load_dwordx2 v[96:97], v17, off
	ds_read_b64 v[98:99], v1
	s_waitcnt vmcnt(0) lgkmcnt(0)
	v_mul_f64 v[96:97], v[96:97], v[98:99]
	s_cbranch_execz .LBB45_472
	s_branch .LBB45_473
.LBB45_471:
                                        ; implicit-def: $vgpr96_vgpr97
.LBB45_472:
	ds_read_b64 v[96:97], v1
.LBB45_473:
	v_cmp_ne_u32_e32 vcc, 3, v0
	s_and_saveexec_b64 s[4:5], vcc
	s_cbranch_execz .LBB45_477
; %bb.474:
	s_mov_b32 s6, 0
	v_add_u32_e32 v98, 0x178, v16
	v_add3_u32 v99, v16, s6, 8
	s_mov_b64 s[6:7], 0
	v_mov_b32_e32 v100, v0
.LBB45_475:                             ; =>This Inner Loop Header: Depth=1
	scratch_load_dwordx2 v[102:103], v99, off
	ds_read_b64 v[104:105], v98
	v_add_u32_e32 v100, 1, v100
	v_cmp_lt_u32_e32 vcc, 2, v100
	v_add_u32_e32 v98, 8, v98
	v_add_u32_e32 v99, 8, v99
	s_or_b64 s[6:7], vcc, s[6:7]
	s_waitcnt vmcnt(0) lgkmcnt(0)
	v_fmac_f64_e32 v[96:97], v[102:103], v[104:105]
	s_andn2_b64 exec, exec, s[6:7]
	s_cbranch_execnz .LBB45_475
; %bb.476:
	s_or_b64 exec, exec, s[6:7]
.LBB45_477:
	s_or_b64 exec, exec, s[4:5]
	v_mov_b32_e32 v98, 0
	ds_read_b64 v[98:99], v98 offset:32
	s_waitcnt lgkmcnt(0)
	v_mul_f64 v[96:97], v[96:97], v[98:99]
	scratch_store_dwordx2 off, v[96:97], off offset:32
.LBB45_478:
	s_or_b64 exec, exec, s[2:3]
	scratch_load_dwordx2 v[96:97], off, off offset:40
	v_cmp_gt_u32_e32 vcc, 5, v0
	s_waitcnt vmcnt(0)
	ds_write_b64 v1, v[96:97]
	s_waitcnt lgkmcnt(0)
	; wave barrier
	s_and_saveexec_b64 s[2:3], vcc
	s_cbranch_execz .LBB45_488
; %bb.479:
	s_and_b64 vcc, exec, s[0:1]
	s_cbranch_vccnz .LBB45_481
; %bb.480:
	scratch_load_dwordx2 v[96:97], v17, off
	ds_read_b64 v[98:99], v1
	s_waitcnt vmcnt(0) lgkmcnt(0)
	v_mul_f64 v[96:97], v[96:97], v[98:99]
	s_cbranch_execz .LBB45_482
	s_branch .LBB45_483
.LBB45_481:
                                        ; implicit-def: $vgpr96_vgpr97
.LBB45_482:
	ds_read_b64 v[96:97], v1
.LBB45_483:
	v_cmp_ne_u32_e32 vcc, 4, v0
	s_and_saveexec_b64 s[4:5], vcc
	s_cbranch_execz .LBB45_487
; %bb.484:
	s_mov_b32 s6, 0
	v_add_u32_e32 v98, 0x178, v16
	v_add3_u32 v99, v16, s6, 8
	s_mov_b64 s[6:7], 0
	v_mov_b32_e32 v100, v0
.LBB45_485:                             ; =>This Inner Loop Header: Depth=1
	scratch_load_dwordx2 v[102:103], v99, off
	ds_read_b64 v[104:105], v98
	v_add_u32_e32 v100, 1, v100
	v_cmp_lt_u32_e32 vcc, 3, v100
	v_add_u32_e32 v98, 8, v98
	v_add_u32_e32 v99, 8, v99
	s_or_b64 s[6:7], vcc, s[6:7]
	s_waitcnt vmcnt(0) lgkmcnt(0)
	v_fmac_f64_e32 v[96:97], v[102:103], v[104:105]
	s_andn2_b64 exec, exec, s[6:7]
	s_cbranch_execnz .LBB45_485
; %bb.486:
	s_or_b64 exec, exec, s[6:7]
.LBB45_487:
	s_or_b64 exec, exec, s[4:5]
	v_mov_b32_e32 v98, 0
	ds_read_b64 v[98:99], v98 offset:40
	s_waitcnt lgkmcnt(0)
	v_mul_f64 v[96:97], v[96:97], v[98:99]
	scratch_store_dwordx2 off, v[96:97], off offset:40
.LBB45_488:
	;; [unrolled: 55-line block ×40, first 2 shown]
	s_or_b64 exec, exec, s[2:3]
	scratch_load_dwordx2 v[96:97], off, off offset:352
	v_cmp_gt_u32_e64 s[2:3], 44, v0
	s_waitcnt vmcnt(0)
	ds_write_b64 v1, v[96:97]
	s_waitcnt lgkmcnt(0)
	; wave barrier
	s_and_saveexec_b64 s[4:5], s[2:3]
	s_cbranch_execz .LBB45_878
; %bb.869:
	s_and_b64 vcc, exec, s[0:1]
	s_cbranch_vccnz .LBB45_871
; %bb.870:
	scratch_load_dwordx2 v[96:97], v17, off
	ds_read_b64 v[98:99], v1
	s_waitcnt vmcnt(0) lgkmcnt(0)
	v_mul_f64 v[96:97], v[96:97], v[98:99]
	s_cbranch_execz .LBB45_872
	s_branch .LBB45_873
.LBB45_871:
                                        ; implicit-def: $vgpr96_vgpr97
.LBB45_872:
	ds_read_b64 v[96:97], v1
.LBB45_873:
	v_cmp_ne_u32_e32 vcc, 43, v0
	s_and_saveexec_b64 s[6:7], vcc
	s_cbranch_execz .LBB45_877
; %bb.874:
	s_mov_b32 s8, 0
	v_add_u32_e32 v98, 0x178, v16
	v_add3_u32 v99, v16, s8, 8
	s_mov_b64 s[8:9], 0
	v_mov_b32_e32 v100, v0
.LBB45_875:                             ; =>This Inner Loop Header: Depth=1
	scratch_load_dwordx2 v[102:103], v99, off
	ds_read_b64 v[104:105], v98
	v_add_u32_e32 v100, 1, v100
	v_cmp_lt_u32_e32 vcc, 42, v100
	v_add_u32_e32 v98, 8, v98
	v_add_u32_e32 v99, 8, v99
	s_or_b64 s[8:9], vcc, s[8:9]
	s_waitcnt vmcnt(0) lgkmcnt(0)
	v_fmac_f64_e32 v[96:97], v[102:103], v[104:105]
	s_andn2_b64 exec, exec, s[8:9]
	s_cbranch_execnz .LBB45_875
; %bb.876:
	s_or_b64 exec, exec, s[8:9]
.LBB45_877:
	s_or_b64 exec, exec, s[6:7]
	v_mov_b32_e32 v98, 0
	ds_read_b64 v[98:99], v98 offset:352
	s_waitcnt lgkmcnt(0)
	v_mul_f64 v[96:97], v[96:97], v[98:99]
	scratch_store_dwordx2 off, v[96:97], off offset:352
.LBB45_878:
	s_or_b64 exec, exec, s[4:5]
	scratch_load_dwordx2 v[96:97], off, off offset:360
	v_cmp_ne_u32_e32 vcc, 45, v0
	s_waitcnt vmcnt(0)
	ds_write_b64 v1, v[96:97]
	s_waitcnt lgkmcnt(0)
	; wave barrier
	s_and_saveexec_b64 s[4:5], vcc
	s_cbranch_execz .LBB45_888
; %bb.879:
	s_and_b64 vcc, exec, s[0:1]
	s_cbranch_vccnz .LBB45_881
; %bb.880:
	scratch_load_dwordx2 v[96:97], v17, off
	ds_read_b64 v[98:99], v1
	s_waitcnt vmcnt(0) lgkmcnt(0)
	v_mul_f64 v[96:97], v[96:97], v[98:99]
	s_cbranch_execz .LBB45_882
	s_branch .LBB45_883
.LBB45_881:
                                        ; implicit-def: $vgpr96_vgpr97
.LBB45_882:
	ds_read_b64 v[96:97], v1
.LBB45_883:
	s_and_saveexec_b64 s[0:1], s[2:3]
	s_cbranch_execz .LBB45_887
; %bb.884:
	s_mov_b32 s2, 0
	v_add_u32_e32 v1, 0x178, v16
	v_add3_u32 v16, v16, s2, 8
	s_mov_b64 s[2:3], 0
.LBB45_885:                             ; =>This Inner Loop Header: Depth=1
	scratch_load_dwordx2 v[98:99], v16, off
	ds_read_b64 v[100:101], v1
	v_add_u32_e32 v0, 1, v0
	v_cmp_lt_u32_e32 vcc, 43, v0
	v_add_u32_e32 v1, 8, v1
	v_add_u32_e32 v16, 8, v16
	s_or_b64 s[2:3], vcc, s[2:3]
	s_waitcnt vmcnt(0) lgkmcnt(0)
	v_fmac_f64_e32 v[96:97], v[98:99], v[100:101]
	s_andn2_b64 exec, exec, s[2:3]
	s_cbranch_execnz .LBB45_885
; %bb.886:
	s_or_b64 exec, exec, s[2:3]
.LBB45_887:
	s_or_b64 exec, exec, s[0:1]
	v_mov_b32_e32 v0, 0
	ds_read_b64 v[0:1], v0 offset:360
	s_waitcnt lgkmcnt(0)
	v_mul_f64 v[0:1], v[96:97], v[0:1]
	scratch_store_dwordx2 off, v[0:1], off offset:360
.LBB45_888:
	s_or_b64 exec, exec, s[4:5]
.LBB45_889:
	scratch_load_dwordx4 v[96:99], off, off
	s_waitcnt vmcnt(0)
	global_store_dwordx2 v[2:3], v[96:97], off
	global_store_dwordx2 v[4:5], v[98:99], off
	scratch_load_dwordx4 v[0:3], off, off offset:16
	s_waitcnt vmcnt(0)
	global_store_dwordx2 v[6:7], v[0:1], off
	global_store_dwordx2 v[8:9], v[2:3], off
	scratch_load_dwordx4 v[0:3], off, off offset:32
	;; [unrolled: 4-line block ×22, first 2 shown]
	s_waitcnt vmcnt(0)
	global_store_dwordx2 v[80:81], v[0:1], off
	global_store_dwordx2 v[84:85], v[2:3], off
.LBB45_890:
	s_endpgm
	.section	.rodata,"a",@progbits
	.p2align	6, 0x0
	.amdhsa_kernel _ZN9rocsolver6v33100L18trti2_kernel_smallILi46EdPdEEv13rocblas_fill_17rocblas_diagonal_T1_iil
		.amdhsa_group_segment_fixed_size 736
		.amdhsa_private_segment_fixed_size 384
		.amdhsa_kernarg_size 32
		.amdhsa_user_sgpr_count 2
		.amdhsa_user_sgpr_dispatch_ptr 0
		.amdhsa_user_sgpr_queue_ptr 0
		.amdhsa_user_sgpr_kernarg_segment_ptr 1
		.amdhsa_user_sgpr_dispatch_id 0
		.amdhsa_user_sgpr_kernarg_preload_length 0
		.amdhsa_user_sgpr_kernarg_preload_offset 0
		.amdhsa_user_sgpr_private_segment_size 0
		.amdhsa_uses_dynamic_stack 0
		.amdhsa_enable_private_segment 1
		.amdhsa_system_sgpr_workgroup_id_x 1
		.amdhsa_system_sgpr_workgroup_id_y 0
		.amdhsa_system_sgpr_workgroup_id_z 0
		.amdhsa_system_sgpr_workgroup_info 0
		.amdhsa_system_vgpr_workitem_id 0
		.amdhsa_next_free_vgpr 106
		.amdhsa_next_free_sgpr 34
		.amdhsa_accum_offset 108
		.amdhsa_reserve_vcc 1
		.amdhsa_float_round_mode_32 0
		.amdhsa_float_round_mode_16_64 0
		.amdhsa_float_denorm_mode_32 3
		.amdhsa_float_denorm_mode_16_64 3
		.amdhsa_dx10_clamp 1
		.amdhsa_ieee_mode 1
		.amdhsa_fp16_overflow 0
		.amdhsa_tg_split 0
		.amdhsa_exception_fp_ieee_invalid_op 0
		.amdhsa_exception_fp_denorm_src 0
		.amdhsa_exception_fp_ieee_div_zero 0
		.amdhsa_exception_fp_ieee_overflow 0
		.amdhsa_exception_fp_ieee_underflow 0
		.amdhsa_exception_fp_ieee_inexact 0
		.amdhsa_exception_int_div_zero 0
	.end_amdhsa_kernel
	.section	.text._ZN9rocsolver6v33100L18trti2_kernel_smallILi46EdPdEEv13rocblas_fill_17rocblas_diagonal_T1_iil,"axG",@progbits,_ZN9rocsolver6v33100L18trti2_kernel_smallILi46EdPdEEv13rocblas_fill_17rocblas_diagonal_T1_iil,comdat
.Lfunc_end45:
	.size	_ZN9rocsolver6v33100L18trti2_kernel_smallILi46EdPdEEv13rocblas_fill_17rocblas_diagonal_T1_iil, .Lfunc_end45-_ZN9rocsolver6v33100L18trti2_kernel_smallILi46EdPdEEv13rocblas_fill_17rocblas_diagonal_T1_iil
                                        ; -- End function
	.set _ZN9rocsolver6v33100L18trti2_kernel_smallILi46EdPdEEv13rocblas_fill_17rocblas_diagonal_T1_iil.num_vgpr, 106
	.set _ZN9rocsolver6v33100L18trti2_kernel_smallILi46EdPdEEv13rocblas_fill_17rocblas_diagonal_T1_iil.num_agpr, 0
	.set _ZN9rocsolver6v33100L18trti2_kernel_smallILi46EdPdEEv13rocblas_fill_17rocblas_diagonal_T1_iil.numbered_sgpr, 34
	.set _ZN9rocsolver6v33100L18trti2_kernel_smallILi46EdPdEEv13rocblas_fill_17rocblas_diagonal_T1_iil.num_named_barrier, 0
	.set _ZN9rocsolver6v33100L18trti2_kernel_smallILi46EdPdEEv13rocblas_fill_17rocblas_diagonal_T1_iil.private_seg_size, 384
	.set _ZN9rocsolver6v33100L18trti2_kernel_smallILi46EdPdEEv13rocblas_fill_17rocblas_diagonal_T1_iil.uses_vcc, 1
	.set _ZN9rocsolver6v33100L18trti2_kernel_smallILi46EdPdEEv13rocblas_fill_17rocblas_diagonal_T1_iil.uses_flat_scratch, 0
	.set _ZN9rocsolver6v33100L18trti2_kernel_smallILi46EdPdEEv13rocblas_fill_17rocblas_diagonal_T1_iil.has_dyn_sized_stack, 0
	.set _ZN9rocsolver6v33100L18trti2_kernel_smallILi46EdPdEEv13rocblas_fill_17rocblas_diagonal_T1_iil.has_recursion, 0
	.set _ZN9rocsolver6v33100L18trti2_kernel_smallILi46EdPdEEv13rocblas_fill_17rocblas_diagonal_T1_iil.has_indirect_call, 0
	.section	.AMDGPU.csdata,"",@progbits
; Kernel info:
; codeLenInByte = 21872
; TotalNumSgprs: 40
; NumVgprs: 106
; NumAgprs: 0
; TotalNumVgprs: 106
; ScratchSize: 384
; MemoryBound: 0
; FloatMode: 240
; IeeeMode: 1
; LDSByteSize: 736 bytes/workgroup (compile time only)
; SGPRBlocks: 4
; VGPRBlocks: 13
; NumSGPRsForWavesPerEU: 40
; NumVGPRsForWavesPerEU: 106
; AccumOffset: 108
; Occupancy: 4
; WaveLimiterHint : 0
; COMPUTE_PGM_RSRC2:SCRATCH_EN: 1
; COMPUTE_PGM_RSRC2:USER_SGPR: 2
; COMPUTE_PGM_RSRC2:TRAP_HANDLER: 0
; COMPUTE_PGM_RSRC2:TGID_X_EN: 1
; COMPUTE_PGM_RSRC2:TGID_Y_EN: 0
; COMPUTE_PGM_RSRC2:TGID_Z_EN: 0
; COMPUTE_PGM_RSRC2:TIDIG_COMP_CNT: 0
; COMPUTE_PGM_RSRC3_GFX90A:ACCUM_OFFSET: 26
; COMPUTE_PGM_RSRC3_GFX90A:TG_SPLIT: 0
	.section	.text._ZN9rocsolver6v33100L18trti2_kernel_smallILi47EdPdEEv13rocblas_fill_17rocblas_diagonal_T1_iil,"axG",@progbits,_ZN9rocsolver6v33100L18trti2_kernel_smallILi47EdPdEEv13rocblas_fill_17rocblas_diagonal_T1_iil,comdat
	.globl	_ZN9rocsolver6v33100L18trti2_kernel_smallILi47EdPdEEv13rocblas_fill_17rocblas_diagonal_T1_iil ; -- Begin function _ZN9rocsolver6v33100L18trti2_kernel_smallILi47EdPdEEv13rocblas_fill_17rocblas_diagonal_T1_iil
	.p2align	8
	.type	_ZN9rocsolver6v33100L18trti2_kernel_smallILi47EdPdEEv13rocblas_fill_17rocblas_diagonal_T1_iil,@function
_ZN9rocsolver6v33100L18trti2_kernel_smallILi47EdPdEEv13rocblas_fill_17rocblas_diagonal_T1_iil: ; @_ZN9rocsolver6v33100L18trti2_kernel_smallILi47EdPdEEv13rocblas_fill_17rocblas_diagonal_T1_iil
; %bb.0:
	v_cmp_gt_u32_e32 vcc, 47, v0
	s_and_saveexec_b64 s[4:5], vcc
	s_cbranch_execz .LBB46_910
; %bb.1:
	s_load_dwordx8 s[4:11], s[0:1], 0x0
	s_ashr_i32 s3, s2, 31
	v_lshlrev_b32_e32 v10, 3, v0
	v_mov_b32_e32 v11, 0
	s_waitcnt lgkmcnt(0)
	s_ashr_i32 s1, s8, 31
	s_mov_b32 s0, s8
	s_mul_hi_u32 s8, s10, s2
	s_mul_i32 s3, s10, s3
	s_add_i32 s3, s8, s3
	s_mul_i32 s8, s11, s2
	s_add_i32 s3, s3, s8
	s_mul_i32 s2, s10, s2
	s_lshl_b64 s[2:3], s[2:3], 3
	s_add_u32 s2, s6, s2
	s_addc_u32 s3, s7, s3
	s_lshl_b64 s[0:1], s[0:1], 3
	s_add_u32 s0, s2, s0
	s_addc_u32 s1, s3, s1
	v_lshl_add_u64 v[2:3], s[0:1], 0, v[10:11]
	s_ashr_i32 s3, s9, 31
	s_mov_b32 s2, s9
	v_lshl_add_u64 v[4:5], s[2:3], 3, v[2:3]
	global_load_dwordx2 v[6:7], v10, s[0:1]
	global_load_dwordx2 v[8:9], v[4:5], off
	s_add_i32 s2, s9, s9
	s_cmpk_lg_i32 s5, 0x84
	s_cselect_b64 s[6:7], -1, 0
	s_cmpk_eq_i32 s5, 0x84
	s_waitcnt vmcnt(0)
	scratch_store_dwordx4 off, v[6:9], off
	s_nop 1
	v_add_u32_e32 v8, s2, v0
	v_add_u32_e32 v12, s9, v8
	v_ashrrev_i32_e32 v9, 31, v8
	v_ashrrev_i32_e32 v13, 31, v12
	v_lshl_add_u64 v[6:7], v[8:9], 3, s[0:1]
	v_lshl_add_u64 v[8:9], v[12:13], 3, s[0:1]
	global_load_dwordx2 v[14:15], v[6:7], off
	global_load_dwordx2 v[16:17], v[8:9], off
	s_waitcnt vmcnt(0)
	scratch_store_dwordx4 off, v[14:17], off offset:16
	s_nop 1
	v_add_u32_e32 v14, s9, v12
	v_add_u32_e32 v16, s9, v14
	v_ashrrev_i32_e32 v15, 31, v14
	v_ashrrev_i32_e32 v17, 31, v16
	v_lshl_add_u64 v[12:13], v[14:15], 3, s[0:1]
	v_lshl_add_u64 v[14:15], v[16:17], 3, s[0:1]
	global_load_dwordx2 v[18:19], v[12:13], off
	global_load_dwordx2 v[20:21], v[14:15], off
	s_waitcnt vmcnt(0)
	scratch_store_dwordx4 off, v[18:21], off offset:32
	s_nop 1
	v_add_u32_e32 v18, s9, v16
	v_add_u32_e32 v20, s9, v18
	v_ashrrev_i32_e32 v19, 31, v18
	v_ashrrev_i32_e32 v21, 31, v20
	v_lshl_add_u64 v[16:17], v[18:19], 3, s[0:1]
	v_lshl_add_u64 v[18:19], v[20:21], 3, s[0:1]
	global_load_dwordx2 v[22:23], v[16:17], off
	global_load_dwordx2 v[24:25], v[18:19], off
	s_waitcnt vmcnt(0)
	scratch_store_dwordx4 off, v[22:25], off offset:48
	s_nop 1
	v_add_u32_e32 v22, s9, v20
	v_add_u32_e32 v24, s9, v22
	v_ashrrev_i32_e32 v23, 31, v22
	v_ashrrev_i32_e32 v25, 31, v24
	v_lshl_add_u64 v[20:21], v[22:23], 3, s[0:1]
	v_lshl_add_u64 v[22:23], v[24:25], 3, s[0:1]
	global_load_dwordx2 v[26:27], v[20:21], off
	global_load_dwordx2 v[28:29], v[22:23], off
	s_waitcnt vmcnt(0)
	scratch_store_dwordx4 off, v[26:29], off offset:64
	s_nop 1
	v_add_u32_e32 v26, s9, v24
	v_add_u32_e32 v28, s9, v26
	v_ashrrev_i32_e32 v27, 31, v26
	v_ashrrev_i32_e32 v29, 31, v28
	v_lshl_add_u64 v[24:25], v[26:27], 3, s[0:1]
	v_lshl_add_u64 v[26:27], v[28:29], 3, s[0:1]
	global_load_dwordx2 v[30:31], v[24:25], off
	global_load_dwordx2 v[32:33], v[26:27], off
	s_waitcnt vmcnt(0)
	scratch_store_dwordx4 off, v[30:33], off offset:80
	s_nop 1
	v_add_u32_e32 v30, s9, v28
	v_add_u32_e32 v32, s9, v30
	v_ashrrev_i32_e32 v31, 31, v30
	v_ashrrev_i32_e32 v33, 31, v32
	v_lshl_add_u64 v[28:29], v[30:31], 3, s[0:1]
	v_lshl_add_u64 v[30:31], v[32:33], 3, s[0:1]
	global_load_dwordx2 v[34:35], v[28:29], off
	global_load_dwordx2 v[36:37], v[30:31], off
	s_waitcnt vmcnt(0)
	scratch_store_dwordx4 off, v[34:37], off offset:96
	s_nop 1
	v_add_u32_e32 v34, s9, v32
	v_add_u32_e32 v36, s9, v34
	v_ashrrev_i32_e32 v35, 31, v34
	v_ashrrev_i32_e32 v37, 31, v36
	v_lshl_add_u64 v[32:33], v[34:35], 3, s[0:1]
	v_lshl_add_u64 v[34:35], v[36:37], 3, s[0:1]
	global_load_dwordx2 v[38:39], v[32:33], off
	global_load_dwordx2 v[40:41], v[34:35], off
	s_waitcnt vmcnt(0)
	scratch_store_dwordx4 off, v[38:41], off offset:112
	s_nop 1
	v_add_u32_e32 v38, s9, v36
	v_add_u32_e32 v40, s9, v38
	v_ashrrev_i32_e32 v39, 31, v38
	v_ashrrev_i32_e32 v41, 31, v40
	v_lshl_add_u64 v[36:37], v[38:39], 3, s[0:1]
	v_lshl_add_u64 v[38:39], v[40:41], 3, s[0:1]
	global_load_dwordx2 v[42:43], v[36:37], off
	global_load_dwordx2 v[44:45], v[38:39], off
	s_waitcnt vmcnt(0)
	scratch_store_dwordx4 off, v[42:45], off offset:128
	s_nop 1
	v_add_u32_e32 v42, s9, v40
	v_add_u32_e32 v44, s9, v42
	v_ashrrev_i32_e32 v43, 31, v42
	v_ashrrev_i32_e32 v45, 31, v44
	v_lshl_add_u64 v[40:41], v[42:43], 3, s[0:1]
	v_lshl_add_u64 v[42:43], v[44:45], 3, s[0:1]
	global_load_dwordx2 v[46:47], v[40:41], off
	global_load_dwordx2 v[48:49], v[42:43], off
	s_waitcnt vmcnt(0)
	scratch_store_dwordx4 off, v[46:49], off offset:144
	s_nop 1
	v_add_u32_e32 v46, s9, v44
	v_add_u32_e32 v48, s9, v46
	v_ashrrev_i32_e32 v47, 31, v46
	v_ashrrev_i32_e32 v49, 31, v48
	v_lshl_add_u64 v[44:45], v[46:47], 3, s[0:1]
	v_lshl_add_u64 v[46:47], v[48:49], 3, s[0:1]
	global_load_dwordx2 v[50:51], v[44:45], off
	global_load_dwordx2 v[52:53], v[46:47], off
	s_waitcnt vmcnt(0)
	scratch_store_dwordx4 off, v[50:53], off offset:160
	s_nop 1
	v_add_u32_e32 v50, s9, v48
	v_add_u32_e32 v52, s9, v50
	v_ashrrev_i32_e32 v51, 31, v50
	v_ashrrev_i32_e32 v53, 31, v52
	v_lshl_add_u64 v[48:49], v[50:51], 3, s[0:1]
	v_lshl_add_u64 v[50:51], v[52:53], 3, s[0:1]
	global_load_dwordx2 v[54:55], v[48:49], off
	global_load_dwordx2 v[56:57], v[50:51], off
	s_waitcnt vmcnt(0)
	scratch_store_dwordx4 off, v[54:57], off offset:176
	s_nop 1
	v_add_u32_e32 v54, s9, v52
	v_add_u32_e32 v56, s9, v54
	v_ashrrev_i32_e32 v55, 31, v54
	v_ashrrev_i32_e32 v57, 31, v56
	v_lshl_add_u64 v[52:53], v[54:55], 3, s[0:1]
	v_lshl_add_u64 v[54:55], v[56:57], 3, s[0:1]
	global_load_dwordx2 v[58:59], v[52:53], off
	global_load_dwordx2 v[60:61], v[54:55], off
	s_waitcnt vmcnt(0)
	scratch_store_dwordx4 off, v[58:61], off offset:192
	s_nop 1
	v_add_u32_e32 v58, s9, v56
	v_add_u32_e32 v60, s9, v58
	v_ashrrev_i32_e32 v59, 31, v58
	v_ashrrev_i32_e32 v61, 31, v60
	v_lshl_add_u64 v[56:57], v[58:59], 3, s[0:1]
	v_lshl_add_u64 v[58:59], v[60:61], 3, s[0:1]
	global_load_dwordx2 v[62:63], v[56:57], off
	global_load_dwordx2 v[64:65], v[58:59], off
	s_waitcnt vmcnt(0)
	scratch_store_dwordx4 off, v[62:65], off offset:208
	s_nop 1
	v_add_u32_e32 v62, s9, v60
	v_add_u32_e32 v64, s9, v62
	v_ashrrev_i32_e32 v63, 31, v62
	v_ashrrev_i32_e32 v65, 31, v64
	v_lshl_add_u64 v[60:61], v[62:63], 3, s[0:1]
	v_lshl_add_u64 v[62:63], v[64:65], 3, s[0:1]
	global_load_dwordx2 v[66:67], v[60:61], off
	global_load_dwordx2 v[68:69], v[62:63], off
	s_waitcnt vmcnt(0)
	scratch_store_dwordx4 off, v[66:69], off offset:224
	s_nop 1
	v_add_u32_e32 v66, s9, v64
	v_add_u32_e32 v68, s9, v66
	v_ashrrev_i32_e32 v67, 31, v66
	v_ashrrev_i32_e32 v69, 31, v68
	v_lshl_add_u64 v[64:65], v[66:67], 3, s[0:1]
	v_lshl_add_u64 v[66:67], v[68:69], 3, s[0:1]
	global_load_dwordx2 v[70:71], v[64:65], off
	global_load_dwordx2 v[72:73], v[66:67], off
	s_waitcnt vmcnt(0)
	scratch_store_dwordx4 off, v[70:73], off offset:240
	s_nop 1
	v_add_u32_e32 v70, s9, v68
	v_add_u32_e32 v72, s9, v70
	v_ashrrev_i32_e32 v71, 31, v70
	v_ashrrev_i32_e32 v73, 31, v72
	v_lshl_add_u64 v[68:69], v[70:71], 3, s[0:1]
	v_lshl_add_u64 v[70:71], v[72:73], 3, s[0:1]
	global_load_dwordx2 v[74:75], v[68:69], off
	global_load_dwordx2 v[76:77], v[70:71], off
	s_waitcnt vmcnt(0)
	scratch_store_dwordx4 off, v[74:77], off offset:256
	s_nop 1
	v_add_u32_e32 v74, s9, v72
	v_add_u32_e32 v76, s9, v74
	v_ashrrev_i32_e32 v75, 31, v74
	v_ashrrev_i32_e32 v77, 31, v76
	v_lshl_add_u64 v[72:73], v[74:75], 3, s[0:1]
	v_lshl_add_u64 v[74:75], v[76:77], 3, s[0:1]
	global_load_dwordx2 v[78:79], v[72:73], off
	global_load_dwordx2 v[80:81], v[74:75], off
	s_waitcnt vmcnt(0)
	scratch_store_dwordx4 off, v[78:81], off offset:272
	s_nop 1
	v_add_u32_e32 v78, s9, v76
	v_add_u32_e32 v80, s9, v78
	v_ashrrev_i32_e32 v79, 31, v78
	v_ashrrev_i32_e32 v81, 31, v80
	v_lshl_add_u64 v[76:77], v[78:79], 3, s[0:1]
	v_lshl_add_u64 v[78:79], v[80:81], 3, s[0:1]
	global_load_dwordx2 v[82:83], v[76:77], off
	global_load_dwordx2 v[84:85], v[78:79], off
	s_waitcnt vmcnt(0)
	scratch_store_dwordx4 off, v[82:85], off offset:288
	s_nop 1
	v_add_u32_e32 v82, s9, v80
	v_add_u32_e32 v84, s9, v82
	v_ashrrev_i32_e32 v83, 31, v82
	v_ashrrev_i32_e32 v85, 31, v84
	v_lshl_add_u64 v[80:81], v[82:83], 3, s[0:1]
	v_lshl_add_u64 v[82:83], v[84:85], 3, s[0:1]
	global_load_dwordx2 v[86:87], v[80:81], off
	global_load_dwordx2 v[88:89], v[82:83], off
	s_waitcnt vmcnt(0)
	scratch_store_dwordx4 off, v[86:89], off offset:304
	s_nop 1
	v_add_u32_e32 v86, s9, v84
	v_add_u32_e32 v88, s9, v86
	v_ashrrev_i32_e32 v87, 31, v86
	v_ashrrev_i32_e32 v89, 31, v88
	v_lshl_add_u64 v[84:85], v[86:87], 3, s[0:1]
	v_lshl_add_u64 v[86:87], v[88:89], 3, s[0:1]
	global_load_dwordx2 v[90:91], v[84:85], off
	global_load_dwordx2 v[92:93], v[86:87], off
	s_waitcnt vmcnt(0)
	scratch_store_dwordx4 off, v[90:93], off offset:320
	s_nop 1
	v_add_u32_e32 v90, s9, v88
	v_ashrrev_i32_e32 v91, 31, v90
	v_lshl_add_u64 v[88:89], v[90:91], 3, s[0:1]
	v_add_u32_e32 v90, s9, v90
	v_ashrrev_i32_e32 v91, 31, v90
	v_lshl_add_u64 v[92:93], v[90:91], 3, s[0:1]
	global_load_dwordx2 v[94:95], v[88:89], off
	global_load_dwordx2 v[96:97], v[92:93], off
	v_add_u32_e32 v90, s9, v90
	v_ashrrev_i32_e32 v91, 31, v90
	s_waitcnt vmcnt(0)
	scratch_store_dwordx4 off, v[94:97], off offset:336
	s_nop 1
	v_lshl_add_u64 v[94:95], v[90:91], 3, s[0:1]
	v_add_u32_e32 v90, s9, v90
	v_ashrrev_i32_e32 v91, 31, v90
	v_lshl_add_u64 v[96:97], v[90:91], 3, s[0:1]
	global_load_dwordx2 v[98:99], v[94:95], off
	global_load_dwordx2 v[100:101], v[96:97], off
	v_add_u32_e32 v90, s9, v90
	v_ashrrev_i32_e32 v91, 31, v90
	v_lshl_add_u64 v[90:91], v[90:91], 3, s[0:1]
	s_waitcnt vmcnt(0)
	scratch_store_dwordx4 off, v[98:101], off offset:352
	global_load_dwordx2 v[98:99], v[90:91], off
	s_waitcnt vmcnt(0)
	scratch_store_dwordx2 off, v[98:99], off offset:368
	v_mov_b64_e32 v[98:99], -1.0
	s_cbranch_scc1 .LBB46_3
; %bb.2:
	scratch_load_dwordx2 v[98:99], v10, off
	s_waitcnt vmcnt(0)
	v_div_scale_f64 v[100:101], s[0:1], v[98:99], v[98:99], 1.0
	v_rcp_f64_e32 v[102:103], v[100:101]
	v_div_scale_f64 v[104:105], vcc, 1.0, v[98:99], 1.0
	v_fma_f64 v[106:107], -v[100:101], v[102:103], 1.0
	v_fmac_f64_e32 v[102:103], v[102:103], v[106:107]
	v_fma_f64 v[106:107], -v[100:101], v[102:103], 1.0
	v_fmac_f64_e32 v[102:103], v[102:103], v[106:107]
	v_mul_f64 v[106:107], v[104:105], v[102:103]
	v_fma_f64 v[100:101], -v[100:101], v[106:107], v[104:105]
	v_div_fmas_f64 v[100:101], v[100:101], v[102:103], v[106:107]
	v_div_fixup_f64 v[98:99], v[100:101], v[98:99], 1.0
	scratch_store_dwordx2 v10, v[98:99], off
	v_xor_b32_e32 v99, 0x80000000, v99
.LBB46_3:
	s_cmpk_eq_i32 s4, 0x79
	v_add_u32_e32 v1, 0x180, v10
	v_mov_b32_e32 v11, v10
	s_mov_b64 s[0:1], -1
	ds_write_b64 v10, v[98:99]
	s_cbranch_scc1 .LBB46_457
; %bb.4:
	scratch_load_dwordx2 v[98:99], off, off offset:360
	s_movk_i32 s8, 0x50
	s_movk_i32 s9, 0x60
	;; [unrolled: 1-line block ×18, first 2 shown]
	v_cmp_eq_u32_e64 s[0:1], 46, v0
	s_waitcnt vmcnt(0)
	ds_write_b64 v1, v[98:99]
	s_waitcnt lgkmcnt(0)
	; wave barrier
	s_and_saveexec_b64 s[2:3], s[0:1]
	s_cbranch_execz .LBB46_10
; %bb.5:
	s_and_b64 vcc, exec, s[6:7]
	s_cbranch_vccz .LBB46_7
; %bb.6:
	scratch_load_dwordx2 v[98:99], v11, off
	ds_read_b64 v[100:101], v1
	s_waitcnt vmcnt(0) lgkmcnt(0)
	v_mul_f64 v[98:99], v[98:99], v[100:101]
	s_cbranch_execz .LBB46_8
	s_branch .LBB46_9
.LBB46_7:
                                        ; implicit-def: $vgpr98_vgpr99
.LBB46_8:
	ds_read_b64 v[98:99], v1
.LBB46_9:
	v_mov_b32_e32 v100, 0
	ds_read_b64 v[100:101], v100 offset:360
	s_waitcnt lgkmcnt(0)
	v_mul_f64 v[98:99], v[98:99], v[100:101]
	scratch_store_dwordx2 off, v[98:99], off offset:360
.LBB46_10:
	s_or_b64 exec, exec, s[2:3]
	scratch_load_dwordx2 v[98:99], off, off offset:352
	s_mov_b32 s10, 16
	s_mov_b32 s11, 32
	;; [unrolled: 1-line block ×6, first 2 shown]
	v_cmp_lt_u32_e64 s[4:5], 44, v0
	s_waitcnt vmcnt(0)
	ds_write_b64 v1, v[98:99]
	s_waitcnt lgkmcnt(0)
	; wave barrier
	s_and_saveexec_b64 s[2:3], s[4:5]
	s_cbranch_execz .LBB46_16
; %bb.11:
	s_andn2_b64 vcc, exec, s[6:7]
	s_cbranch_vccnz .LBB46_13
; %bb.12:
	scratch_load_dwordx2 v[98:99], v11, off
	ds_read_b64 v[100:101], v1
	s_waitcnt vmcnt(0) lgkmcnt(0)
	v_mul_f64 v[98:99], v[98:99], v[100:101]
	s_cbranch_execz .LBB46_14
	s_branch .LBB46_15
.LBB46_13:
                                        ; implicit-def: $vgpr98_vgpr99
.LBB46_14:
	ds_read_b64 v[98:99], v1
.LBB46_15:
	scratch_load_dwordx2 v[104:105], off, off offset:360
	v_mov_b32_e32 v100, 0
	ds_read2_b64 v[100:103], v100 offset0:44 offset1:93
	s_waitcnt vmcnt(0) lgkmcnt(0)
	v_fma_f64 v[102:103], v[104:105], v[102:103], v[98:99]
	v_cndmask_b32_e64 v99, v99, v103, s[0:1]
	v_cndmask_b32_e64 v98, v98, v102, s[0:1]
	v_mul_f64 v[98:99], v[98:99], v[100:101]
	scratch_store_dwordx2 off, v[98:99], off offset:352
.LBB46_16:
	s_or_b64 exec, exec, s[2:3]
	scratch_load_dwordx2 v[98:99], off, off offset:344
	v_cmp_lt_u32_e64 s[2:3], 43, v0
	s_waitcnt vmcnt(0)
	ds_write_b64 v1, v[98:99]
	s_waitcnt lgkmcnt(0)
	; wave barrier
	s_and_saveexec_b64 s[0:1], s[2:3]
	s_cbranch_execz .LBB46_26
; %bb.17:
	s_andn2_b64 vcc, exec, s[6:7]
	s_cbranch_vccnz .LBB46_19
; %bb.18:
	scratch_load_dwordx2 v[98:99], v11, off
	ds_read_b64 v[100:101], v1
	s_waitcnt vmcnt(0) lgkmcnt(0)
	v_mul_f64 v[98:99], v[98:99], v[100:101]
	s_cbranch_execz .LBB46_20
	s_branch .LBB46_21
.LBB46_19:
                                        ; implicit-def: $vgpr98_vgpr99
.LBB46_20:
	ds_read_b64 v[98:99], v1
.LBB46_21:
	s_and_saveexec_b64 s[8:9], s[4:5]
	s_cbranch_execz .LBB46_25
; %bb.22:
	v_subrev_u32_e32 v100, 44, v0
	s_movk_i32 s33, 0x2e0
	s_mov_b64 s[4:5], 0
.LBB46_23:                              ; =>This Inner Loop Header: Depth=1
	scratch_load_dwordx2 v[102:103], off, s31
	v_mov_b32_e32 v101, s33
	ds_read_b64 v[104:105], v101
	v_add_u32_e32 v100, -1, v100
	s_add_i32 s33, s33, 8
	s_add_i32 s31, s31, 8
	v_cmp_eq_u32_e32 vcc, 0, v100
	s_or_b64 s[4:5], vcc, s[4:5]
	s_waitcnt vmcnt(0) lgkmcnt(0)
	v_fmac_f64_e32 v[98:99], v[102:103], v[104:105]
	s_andn2_b64 exec, exec, s[4:5]
	s_cbranch_execnz .LBB46_23
; %bb.24:
	s_or_b64 exec, exec, s[4:5]
.LBB46_25:
	s_or_b64 exec, exec, s[8:9]
	v_mov_b32_e32 v100, 0
	ds_read_b64 v[100:101], v100 offset:344
	s_waitcnt lgkmcnt(0)
	v_mul_f64 v[98:99], v[98:99], v[100:101]
	scratch_store_dwordx2 off, v[98:99], off offset:344
.LBB46_26:
	s_or_b64 exec, exec, s[0:1]
	scratch_load_dwordx2 v[98:99], off, off offset:336
	v_cmp_lt_u32_e64 s[0:1], 42, v0
	s_waitcnt vmcnt(0)
	ds_write_b64 v1, v[98:99]
	s_waitcnt lgkmcnt(0)
	; wave barrier
	s_and_saveexec_b64 s[4:5], s[0:1]
	s_cbranch_execz .LBB46_36
; %bb.27:
	s_andn2_b64 vcc, exec, s[6:7]
	s_cbranch_vccnz .LBB46_29
; %bb.28:
	scratch_load_dwordx2 v[98:99], v11, off
	ds_read_b64 v[100:101], v1
	s_waitcnt vmcnt(0) lgkmcnt(0)
	v_mul_f64 v[98:99], v[98:99], v[100:101]
	s_cbranch_execz .LBB46_30
	s_branch .LBB46_31
.LBB46_29:
                                        ; implicit-def: $vgpr98_vgpr99
.LBB46_30:
	ds_read_b64 v[98:99], v1
.LBB46_31:
	s_and_saveexec_b64 s[8:9], s[2:3]
	s_cbranch_execz .LBB46_35
; %bb.32:
	s_movk_i32 s31, 0x158
	v_subrev_u32_e32 v100, 43, v0
	s_movk_i32 s33, 0x2d8
	s_mov_b64 s[2:3], 0
.LBB46_33:                              ; =>This Inner Loop Header: Depth=1
	scratch_load_dwordx2 v[102:103], off, s31
	v_mov_b32_e32 v101, s33
	ds_read_b64 v[104:105], v101
	v_add_u32_e32 v100, -1, v100
	s_add_i32 s33, s33, 8
	s_add_i32 s31, s31, 8
	v_cmp_eq_u32_e32 vcc, 0, v100
	s_or_b64 s[2:3], vcc, s[2:3]
	s_waitcnt vmcnt(0) lgkmcnt(0)
	v_fmac_f64_e32 v[98:99], v[102:103], v[104:105]
	s_andn2_b64 exec, exec, s[2:3]
	s_cbranch_execnz .LBB46_33
; %bb.34:
	s_or_b64 exec, exec, s[2:3]
.LBB46_35:
	s_or_b64 exec, exec, s[8:9]
	v_mov_b32_e32 v100, 0
	ds_read_b64 v[100:101], v100 offset:336
	s_waitcnt lgkmcnt(0)
	v_mul_f64 v[98:99], v[98:99], v[100:101]
	scratch_store_dwordx2 off, v[98:99], off offset:336
.LBB46_36:
	s_or_b64 exec, exec, s[4:5]
	scratch_load_dwordx2 v[98:99], off, off offset:328
	v_cmp_lt_u32_e64 s[2:3], 41, v0
	s_waitcnt vmcnt(0)
	ds_write_b64 v1, v[98:99]
	s_waitcnt lgkmcnt(0)
	; wave barrier
	s_and_saveexec_b64 s[4:5], s[2:3]
	s_cbranch_execz .LBB46_46
; %bb.37:
	s_andn2_b64 vcc, exec, s[6:7]
	s_cbranch_vccnz .LBB46_39
; %bb.38:
	scratch_load_dwordx2 v[98:99], v11, off
	ds_read_b64 v[100:101], v1
	s_waitcnt vmcnt(0) lgkmcnt(0)
	v_mul_f64 v[98:99], v[98:99], v[100:101]
	s_cbranch_execz .LBB46_40
	s_branch .LBB46_41
.LBB46_39:
                                        ; implicit-def: $vgpr98_vgpr99
.LBB46_40:
	ds_read_b64 v[98:99], v1
.LBB46_41:
	s_and_saveexec_b64 s[8:9], s[0:1]
	s_cbranch_execz .LBB46_45
; %bb.42:
	v_subrev_u32_e32 v100, 42, v0
	s_movk_i32 s31, 0x2d0
	s_mov_b64 s[0:1], 0
.LBB46_43:                              ; =>This Inner Loop Header: Depth=1
	scratch_load_dwordx2 v[102:103], off, s30
	v_mov_b32_e32 v101, s31
	ds_read_b64 v[104:105], v101
	v_add_u32_e32 v100, -1, v100
	s_add_i32 s31, s31, 8
	s_add_i32 s30, s30, 8
	v_cmp_eq_u32_e32 vcc, 0, v100
	s_or_b64 s[0:1], vcc, s[0:1]
	s_waitcnt vmcnt(0) lgkmcnt(0)
	v_fmac_f64_e32 v[98:99], v[102:103], v[104:105]
	s_andn2_b64 exec, exec, s[0:1]
	s_cbranch_execnz .LBB46_43
; %bb.44:
	s_or_b64 exec, exec, s[0:1]
.LBB46_45:
	s_or_b64 exec, exec, s[8:9]
	v_mov_b32_e32 v100, 0
	ds_read_b64 v[100:101], v100 offset:328
	s_waitcnt lgkmcnt(0)
	v_mul_f64 v[98:99], v[98:99], v[100:101]
	scratch_store_dwordx2 off, v[98:99], off offset:328
.LBB46_46:
	s_or_b64 exec, exec, s[4:5]
	scratch_load_dwordx2 v[98:99], off, off offset:320
	v_cmp_lt_u32_e64 s[0:1], 40, v0
	s_waitcnt vmcnt(0)
	ds_write_b64 v1, v[98:99]
	s_waitcnt lgkmcnt(0)
	; wave barrier
	s_and_saveexec_b64 s[4:5], s[0:1]
	s_cbranch_execz .LBB46_56
; %bb.47:
	s_andn2_b64 vcc, exec, s[6:7]
	s_cbranch_vccnz .LBB46_49
; %bb.48:
	scratch_load_dwordx2 v[98:99], v11, off
	ds_read_b64 v[100:101], v1
	s_waitcnt vmcnt(0) lgkmcnt(0)
	v_mul_f64 v[98:99], v[98:99], v[100:101]
	s_cbranch_execz .LBB46_50
	s_branch .LBB46_51
.LBB46_49:
                                        ; implicit-def: $vgpr98_vgpr99
.LBB46_50:
	ds_read_b64 v[98:99], v1
.LBB46_51:
	s_and_saveexec_b64 s[8:9], s[2:3]
	s_cbranch_execz .LBB46_55
; %bb.52:
	s_movk_i32 s30, 0x148
	v_subrev_u32_e32 v100, 41, v0
	s_movk_i32 s31, 0x2c8
	s_mov_b64 s[2:3], 0
.LBB46_53:                              ; =>This Inner Loop Header: Depth=1
	scratch_load_dwordx2 v[102:103], off, s30
	v_mov_b32_e32 v101, s31
	ds_read_b64 v[104:105], v101
	v_add_u32_e32 v100, -1, v100
	s_add_i32 s31, s31, 8
	s_add_i32 s30, s30, 8
	v_cmp_eq_u32_e32 vcc, 0, v100
	s_or_b64 s[2:3], vcc, s[2:3]
	s_waitcnt vmcnt(0) lgkmcnt(0)
	v_fmac_f64_e32 v[98:99], v[102:103], v[104:105]
	s_andn2_b64 exec, exec, s[2:3]
	s_cbranch_execnz .LBB46_53
; %bb.54:
	s_or_b64 exec, exec, s[2:3]
.LBB46_55:
	s_or_b64 exec, exec, s[8:9]
	v_mov_b32_e32 v100, 0
	ds_read_b64 v[100:101], v100 offset:320
	s_waitcnt lgkmcnt(0)
	v_mul_f64 v[98:99], v[98:99], v[100:101]
	scratch_store_dwordx2 off, v[98:99], off offset:320
.LBB46_56:
	s_or_b64 exec, exec, s[4:5]
	scratch_load_dwordx2 v[98:99], off, off offset:312
	v_cmp_lt_u32_e64 s[2:3], 39, v0
	s_waitcnt vmcnt(0)
	ds_write_b64 v1, v[98:99]
	s_waitcnt lgkmcnt(0)
	; wave barrier
	s_and_saveexec_b64 s[4:5], s[2:3]
	s_cbranch_execz .LBB46_66
; %bb.57:
	s_andn2_b64 vcc, exec, s[6:7]
	s_cbranch_vccnz .LBB46_59
; %bb.58:
	scratch_load_dwordx2 v[98:99], v11, off
	ds_read_b64 v[100:101], v1
	s_waitcnt vmcnt(0) lgkmcnt(0)
	v_mul_f64 v[98:99], v[98:99], v[100:101]
	s_cbranch_execz .LBB46_60
	s_branch .LBB46_61
.LBB46_59:
                                        ; implicit-def: $vgpr98_vgpr99
.LBB46_60:
	ds_read_b64 v[98:99], v1
.LBB46_61:
	s_and_saveexec_b64 s[8:9], s[0:1]
	s_cbranch_execz .LBB46_65
; %bb.62:
	v_subrev_u32_e32 v100, 40, v0
	s_movk_i32 s30, 0x2c0
	s_mov_b64 s[0:1], 0
.LBB46_63:                              ; =>This Inner Loop Header: Depth=1
	scratch_load_dwordx2 v[102:103], off, s29
	v_mov_b32_e32 v101, s30
	ds_read_b64 v[104:105], v101
	v_add_u32_e32 v100, -1, v100
	s_add_i32 s30, s30, 8
	s_add_i32 s29, s29, 8
	v_cmp_eq_u32_e32 vcc, 0, v100
	s_or_b64 s[0:1], vcc, s[0:1]
	s_waitcnt vmcnt(0) lgkmcnt(0)
	v_fmac_f64_e32 v[98:99], v[102:103], v[104:105]
	s_andn2_b64 exec, exec, s[0:1]
	s_cbranch_execnz .LBB46_63
; %bb.64:
	s_or_b64 exec, exec, s[0:1]
.LBB46_65:
	s_or_b64 exec, exec, s[8:9]
	v_mov_b32_e32 v100, 0
	ds_read_b64 v[100:101], v100 offset:312
	s_waitcnt lgkmcnt(0)
	v_mul_f64 v[98:99], v[98:99], v[100:101]
	scratch_store_dwordx2 off, v[98:99], off offset:312
.LBB46_66:
	s_or_b64 exec, exec, s[4:5]
	scratch_load_dwordx2 v[98:99], off, off offset:304
	v_cmp_lt_u32_e64 s[0:1], 38, v0
	s_waitcnt vmcnt(0)
	ds_write_b64 v1, v[98:99]
	s_waitcnt lgkmcnt(0)
	; wave barrier
	s_and_saveexec_b64 s[4:5], s[0:1]
	s_cbranch_execz .LBB46_76
; %bb.67:
	s_andn2_b64 vcc, exec, s[6:7]
	s_cbranch_vccnz .LBB46_69
; %bb.68:
	scratch_load_dwordx2 v[98:99], v11, off
	ds_read_b64 v[100:101], v1
	s_waitcnt vmcnt(0) lgkmcnt(0)
	v_mul_f64 v[98:99], v[98:99], v[100:101]
	s_cbranch_execz .LBB46_70
	s_branch .LBB46_71
.LBB46_69:
                                        ; implicit-def: $vgpr98_vgpr99
.LBB46_70:
	ds_read_b64 v[98:99], v1
.LBB46_71:
	s_and_saveexec_b64 s[8:9], s[2:3]
	s_cbranch_execz .LBB46_75
; %bb.72:
	s_movk_i32 s29, 0x138
	v_subrev_u32_e32 v100, 39, v0
	s_movk_i32 s30, 0x2b8
	s_mov_b64 s[2:3], 0
.LBB46_73:                              ; =>This Inner Loop Header: Depth=1
	scratch_load_dwordx2 v[102:103], off, s29
	v_mov_b32_e32 v101, s30
	ds_read_b64 v[104:105], v101
	v_add_u32_e32 v100, -1, v100
	s_add_i32 s30, s30, 8
	s_add_i32 s29, s29, 8
	v_cmp_eq_u32_e32 vcc, 0, v100
	s_or_b64 s[2:3], vcc, s[2:3]
	s_waitcnt vmcnt(0) lgkmcnt(0)
	v_fmac_f64_e32 v[98:99], v[102:103], v[104:105]
	s_andn2_b64 exec, exec, s[2:3]
	s_cbranch_execnz .LBB46_73
; %bb.74:
	s_or_b64 exec, exec, s[2:3]
.LBB46_75:
	s_or_b64 exec, exec, s[8:9]
	v_mov_b32_e32 v100, 0
	ds_read_b64 v[100:101], v100 offset:304
	s_waitcnt lgkmcnt(0)
	v_mul_f64 v[98:99], v[98:99], v[100:101]
	scratch_store_dwordx2 off, v[98:99], off offset:304
.LBB46_76:
	s_or_b64 exec, exec, s[4:5]
	scratch_load_dwordx2 v[98:99], off, off offset:296
	v_cmp_lt_u32_e64 s[2:3], 37, v0
	s_waitcnt vmcnt(0)
	ds_write_b64 v1, v[98:99]
	s_waitcnt lgkmcnt(0)
	; wave barrier
	s_and_saveexec_b64 s[4:5], s[2:3]
	s_cbranch_execz .LBB46_86
; %bb.77:
	s_andn2_b64 vcc, exec, s[6:7]
	s_cbranch_vccnz .LBB46_79
; %bb.78:
	scratch_load_dwordx2 v[98:99], v11, off
	ds_read_b64 v[100:101], v1
	s_waitcnt vmcnt(0) lgkmcnt(0)
	v_mul_f64 v[98:99], v[98:99], v[100:101]
	s_cbranch_execz .LBB46_80
	s_branch .LBB46_81
.LBB46_79:
                                        ; implicit-def: $vgpr98_vgpr99
.LBB46_80:
	ds_read_b64 v[98:99], v1
.LBB46_81:
	s_and_saveexec_b64 s[8:9], s[0:1]
	s_cbranch_execz .LBB46_85
; %bb.82:
	v_subrev_u32_e32 v100, 38, v0
	s_movk_i32 s29, 0x2b0
	s_mov_b64 s[0:1], 0
.LBB46_83:                              ; =>This Inner Loop Header: Depth=1
	scratch_load_dwordx2 v[102:103], off, s28
	v_mov_b32_e32 v101, s29
	ds_read_b64 v[104:105], v101
	v_add_u32_e32 v100, -1, v100
	s_add_i32 s29, s29, 8
	s_add_i32 s28, s28, 8
	v_cmp_eq_u32_e32 vcc, 0, v100
	s_or_b64 s[0:1], vcc, s[0:1]
	s_waitcnt vmcnt(0) lgkmcnt(0)
	v_fmac_f64_e32 v[98:99], v[102:103], v[104:105]
	s_andn2_b64 exec, exec, s[0:1]
	s_cbranch_execnz .LBB46_83
; %bb.84:
	s_or_b64 exec, exec, s[0:1]
.LBB46_85:
	s_or_b64 exec, exec, s[8:9]
	v_mov_b32_e32 v100, 0
	ds_read_b64 v[100:101], v100 offset:296
	s_waitcnt lgkmcnt(0)
	v_mul_f64 v[98:99], v[98:99], v[100:101]
	scratch_store_dwordx2 off, v[98:99], off offset:296
.LBB46_86:
	s_or_b64 exec, exec, s[4:5]
	scratch_load_dwordx2 v[98:99], off, off offset:288
	v_cmp_lt_u32_e64 s[0:1], 36, v0
	s_waitcnt vmcnt(0)
	ds_write_b64 v1, v[98:99]
	s_waitcnt lgkmcnt(0)
	; wave barrier
	s_and_saveexec_b64 s[4:5], s[0:1]
	s_cbranch_execz .LBB46_96
; %bb.87:
	s_andn2_b64 vcc, exec, s[6:7]
	s_cbranch_vccnz .LBB46_89
; %bb.88:
	scratch_load_dwordx2 v[98:99], v11, off
	ds_read_b64 v[100:101], v1
	s_waitcnt vmcnt(0) lgkmcnt(0)
	v_mul_f64 v[98:99], v[98:99], v[100:101]
	s_cbranch_execz .LBB46_90
	s_branch .LBB46_91
.LBB46_89:
                                        ; implicit-def: $vgpr98_vgpr99
.LBB46_90:
	ds_read_b64 v[98:99], v1
.LBB46_91:
	s_and_saveexec_b64 s[8:9], s[2:3]
	s_cbranch_execz .LBB46_95
; %bb.92:
	s_movk_i32 s28, 0x128
	v_subrev_u32_e32 v100, 37, v0
	s_movk_i32 s29, 0x2a8
	s_mov_b64 s[2:3], 0
.LBB46_93:                              ; =>This Inner Loop Header: Depth=1
	scratch_load_dwordx2 v[102:103], off, s28
	v_mov_b32_e32 v101, s29
	ds_read_b64 v[104:105], v101
	v_add_u32_e32 v100, -1, v100
	s_add_i32 s29, s29, 8
	s_add_i32 s28, s28, 8
	v_cmp_eq_u32_e32 vcc, 0, v100
	s_or_b64 s[2:3], vcc, s[2:3]
	s_waitcnt vmcnt(0) lgkmcnt(0)
	v_fmac_f64_e32 v[98:99], v[102:103], v[104:105]
	s_andn2_b64 exec, exec, s[2:3]
	s_cbranch_execnz .LBB46_93
; %bb.94:
	s_or_b64 exec, exec, s[2:3]
.LBB46_95:
	s_or_b64 exec, exec, s[8:9]
	v_mov_b32_e32 v100, 0
	ds_read_b64 v[100:101], v100 offset:288
	s_waitcnt lgkmcnt(0)
	v_mul_f64 v[98:99], v[98:99], v[100:101]
	scratch_store_dwordx2 off, v[98:99], off offset:288
.LBB46_96:
	s_or_b64 exec, exec, s[4:5]
	scratch_load_dwordx2 v[98:99], off, off offset:280
	v_cmp_lt_u32_e64 s[2:3], 35, v0
	s_waitcnt vmcnt(0)
	ds_write_b64 v1, v[98:99]
	s_waitcnt lgkmcnt(0)
	; wave barrier
	s_and_saveexec_b64 s[4:5], s[2:3]
	s_cbranch_execz .LBB46_106
; %bb.97:
	s_andn2_b64 vcc, exec, s[6:7]
	s_cbranch_vccnz .LBB46_99
; %bb.98:
	scratch_load_dwordx2 v[98:99], v11, off
	ds_read_b64 v[100:101], v1
	s_waitcnt vmcnt(0) lgkmcnt(0)
	v_mul_f64 v[98:99], v[98:99], v[100:101]
	s_cbranch_execz .LBB46_100
	s_branch .LBB46_101
.LBB46_99:
                                        ; implicit-def: $vgpr98_vgpr99
.LBB46_100:
	ds_read_b64 v[98:99], v1
.LBB46_101:
	s_and_saveexec_b64 s[8:9], s[0:1]
	s_cbranch_execz .LBB46_105
; %bb.102:
	v_subrev_u32_e32 v100, 36, v0
	s_movk_i32 s28, 0x2a0
	s_mov_b64 s[0:1], 0
.LBB46_103:                             ; =>This Inner Loop Header: Depth=1
	scratch_load_dwordx2 v[102:103], off, s27
	v_mov_b32_e32 v101, s28
	ds_read_b64 v[104:105], v101
	v_add_u32_e32 v100, -1, v100
	s_add_i32 s28, s28, 8
	s_add_i32 s27, s27, 8
	v_cmp_eq_u32_e32 vcc, 0, v100
	s_or_b64 s[0:1], vcc, s[0:1]
	s_waitcnt vmcnt(0) lgkmcnt(0)
	v_fmac_f64_e32 v[98:99], v[102:103], v[104:105]
	s_andn2_b64 exec, exec, s[0:1]
	s_cbranch_execnz .LBB46_103
; %bb.104:
	s_or_b64 exec, exec, s[0:1]
.LBB46_105:
	s_or_b64 exec, exec, s[8:9]
	v_mov_b32_e32 v100, 0
	ds_read_b64 v[100:101], v100 offset:280
	s_waitcnt lgkmcnt(0)
	v_mul_f64 v[98:99], v[98:99], v[100:101]
	scratch_store_dwordx2 off, v[98:99], off offset:280
.LBB46_106:
	s_or_b64 exec, exec, s[4:5]
	scratch_load_dwordx2 v[98:99], off, off offset:272
	v_cmp_lt_u32_e64 s[0:1], 34, v0
	s_waitcnt vmcnt(0)
	ds_write_b64 v1, v[98:99]
	s_waitcnt lgkmcnt(0)
	; wave barrier
	s_and_saveexec_b64 s[4:5], s[0:1]
	s_cbranch_execz .LBB46_116
; %bb.107:
	s_andn2_b64 vcc, exec, s[6:7]
	s_cbranch_vccnz .LBB46_109
; %bb.108:
	scratch_load_dwordx2 v[98:99], v11, off
	ds_read_b64 v[100:101], v1
	s_waitcnt vmcnt(0) lgkmcnt(0)
	v_mul_f64 v[98:99], v[98:99], v[100:101]
	s_cbranch_execz .LBB46_110
	s_branch .LBB46_111
.LBB46_109:
                                        ; implicit-def: $vgpr98_vgpr99
.LBB46_110:
	ds_read_b64 v[98:99], v1
.LBB46_111:
	s_and_saveexec_b64 s[8:9], s[2:3]
	s_cbranch_execz .LBB46_115
; %bb.112:
	s_movk_i32 s27, 0x118
	v_subrev_u32_e32 v100, 35, v0
	s_movk_i32 s28, 0x298
	s_mov_b64 s[2:3], 0
.LBB46_113:                             ; =>This Inner Loop Header: Depth=1
	scratch_load_dwordx2 v[102:103], off, s27
	v_mov_b32_e32 v101, s28
	ds_read_b64 v[104:105], v101
	v_add_u32_e32 v100, -1, v100
	s_add_i32 s28, s28, 8
	s_add_i32 s27, s27, 8
	v_cmp_eq_u32_e32 vcc, 0, v100
	s_or_b64 s[2:3], vcc, s[2:3]
	s_waitcnt vmcnt(0) lgkmcnt(0)
	v_fmac_f64_e32 v[98:99], v[102:103], v[104:105]
	s_andn2_b64 exec, exec, s[2:3]
	s_cbranch_execnz .LBB46_113
; %bb.114:
	s_or_b64 exec, exec, s[2:3]
.LBB46_115:
	s_or_b64 exec, exec, s[8:9]
	v_mov_b32_e32 v100, 0
	ds_read_b64 v[100:101], v100 offset:272
	s_waitcnt lgkmcnt(0)
	v_mul_f64 v[98:99], v[98:99], v[100:101]
	scratch_store_dwordx2 off, v[98:99], off offset:272
.LBB46_116:
	s_or_b64 exec, exec, s[4:5]
	scratch_load_dwordx2 v[98:99], off, off offset:264
	v_cmp_lt_u32_e64 s[2:3], 33, v0
	s_waitcnt vmcnt(0)
	ds_write_b64 v1, v[98:99]
	s_waitcnt lgkmcnt(0)
	; wave barrier
	s_and_saveexec_b64 s[4:5], s[2:3]
	s_cbranch_execz .LBB46_126
; %bb.117:
	s_andn2_b64 vcc, exec, s[6:7]
	s_cbranch_vccnz .LBB46_119
; %bb.118:
	scratch_load_dwordx2 v[98:99], v11, off
	ds_read_b64 v[100:101], v1
	s_waitcnt vmcnt(0) lgkmcnt(0)
	v_mul_f64 v[98:99], v[98:99], v[100:101]
	s_cbranch_execz .LBB46_120
	s_branch .LBB46_121
.LBB46_119:
                                        ; implicit-def: $vgpr98_vgpr99
.LBB46_120:
	ds_read_b64 v[98:99], v1
.LBB46_121:
	s_and_saveexec_b64 s[8:9], s[0:1]
	s_cbranch_execz .LBB46_125
; %bb.122:
	v_subrev_u32_e32 v100, 34, v0
	s_movk_i32 s27, 0x290
	s_mov_b64 s[0:1], 0
.LBB46_123:                             ; =>This Inner Loop Header: Depth=1
	scratch_load_dwordx2 v[102:103], off, s26
	v_mov_b32_e32 v101, s27
	ds_read_b64 v[104:105], v101
	v_add_u32_e32 v100, -1, v100
	s_add_i32 s27, s27, 8
	s_add_i32 s26, s26, 8
	v_cmp_eq_u32_e32 vcc, 0, v100
	s_or_b64 s[0:1], vcc, s[0:1]
	s_waitcnt vmcnt(0) lgkmcnt(0)
	v_fmac_f64_e32 v[98:99], v[102:103], v[104:105]
	s_andn2_b64 exec, exec, s[0:1]
	s_cbranch_execnz .LBB46_123
; %bb.124:
	s_or_b64 exec, exec, s[0:1]
.LBB46_125:
	s_or_b64 exec, exec, s[8:9]
	v_mov_b32_e32 v100, 0
	ds_read_b64 v[100:101], v100 offset:264
	s_waitcnt lgkmcnt(0)
	v_mul_f64 v[98:99], v[98:99], v[100:101]
	scratch_store_dwordx2 off, v[98:99], off offset:264
.LBB46_126:
	s_or_b64 exec, exec, s[4:5]
	scratch_load_dwordx2 v[98:99], off, off offset:256
	v_cmp_lt_u32_e64 s[0:1], 32, v0
	s_waitcnt vmcnt(0)
	ds_write_b64 v1, v[98:99]
	s_waitcnt lgkmcnt(0)
	; wave barrier
	s_and_saveexec_b64 s[4:5], s[0:1]
	s_cbranch_execz .LBB46_136
; %bb.127:
	s_andn2_b64 vcc, exec, s[6:7]
	s_cbranch_vccnz .LBB46_129
; %bb.128:
	scratch_load_dwordx2 v[98:99], v11, off
	ds_read_b64 v[100:101], v1
	s_waitcnt vmcnt(0) lgkmcnt(0)
	v_mul_f64 v[98:99], v[98:99], v[100:101]
	s_cbranch_execz .LBB46_130
	s_branch .LBB46_131
.LBB46_129:
                                        ; implicit-def: $vgpr98_vgpr99
.LBB46_130:
	ds_read_b64 v[98:99], v1
.LBB46_131:
	s_and_saveexec_b64 s[8:9], s[2:3]
	s_cbranch_execz .LBB46_135
; %bb.132:
	s_movk_i32 s26, 0x108
	v_subrev_u32_e32 v100, 33, v0
	s_movk_i32 s27, 0x288
	s_mov_b64 s[2:3], 0
.LBB46_133:                             ; =>This Inner Loop Header: Depth=1
	scratch_load_dwordx2 v[102:103], off, s26
	v_mov_b32_e32 v101, s27
	ds_read_b64 v[104:105], v101
	v_add_u32_e32 v100, -1, v100
	s_add_i32 s27, s27, 8
	s_add_i32 s26, s26, 8
	v_cmp_eq_u32_e32 vcc, 0, v100
	s_or_b64 s[2:3], vcc, s[2:3]
	s_waitcnt vmcnt(0) lgkmcnt(0)
	v_fmac_f64_e32 v[98:99], v[102:103], v[104:105]
	s_andn2_b64 exec, exec, s[2:3]
	s_cbranch_execnz .LBB46_133
; %bb.134:
	s_or_b64 exec, exec, s[2:3]
.LBB46_135:
	s_or_b64 exec, exec, s[8:9]
	v_mov_b32_e32 v100, 0
	ds_read_b64 v[100:101], v100 offset:256
	s_waitcnt lgkmcnt(0)
	v_mul_f64 v[98:99], v[98:99], v[100:101]
	scratch_store_dwordx2 off, v[98:99], off offset:256
.LBB46_136:
	s_or_b64 exec, exec, s[4:5]
	scratch_load_dwordx2 v[98:99], off, off offset:248
	v_cmp_lt_u32_e64 s[2:3], 31, v0
	s_waitcnt vmcnt(0)
	ds_write_b64 v1, v[98:99]
	s_waitcnt lgkmcnt(0)
	; wave barrier
	s_and_saveexec_b64 s[4:5], s[2:3]
	s_cbranch_execz .LBB46_146
; %bb.137:
	s_andn2_b64 vcc, exec, s[6:7]
	s_cbranch_vccnz .LBB46_139
; %bb.138:
	scratch_load_dwordx2 v[98:99], v11, off
	ds_read_b64 v[100:101], v1
	s_waitcnt vmcnt(0) lgkmcnt(0)
	v_mul_f64 v[98:99], v[98:99], v[100:101]
	s_cbranch_execz .LBB46_140
	s_branch .LBB46_141
.LBB46_139:
                                        ; implicit-def: $vgpr98_vgpr99
.LBB46_140:
	ds_read_b64 v[98:99], v1
.LBB46_141:
	s_and_saveexec_b64 s[8:9], s[0:1]
	s_cbranch_execz .LBB46_145
; %bb.142:
	v_subrev_u32_e32 v100, 32, v0
	s_movk_i32 s26, 0x280
	s_mov_b64 s[0:1], 0
.LBB46_143:                             ; =>This Inner Loop Header: Depth=1
	scratch_load_dwordx2 v[102:103], off, s25
	v_mov_b32_e32 v101, s26
	ds_read_b64 v[104:105], v101
	v_add_u32_e32 v100, -1, v100
	s_add_i32 s26, s26, 8
	s_add_i32 s25, s25, 8
	v_cmp_eq_u32_e32 vcc, 0, v100
	s_or_b64 s[0:1], vcc, s[0:1]
	s_waitcnt vmcnt(0) lgkmcnt(0)
	v_fmac_f64_e32 v[98:99], v[102:103], v[104:105]
	s_andn2_b64 exec, exec, s[0:1]
	s_cbranch_execnz .LBB46_143
; %bb.144:
	s_or_b64 exec, exec, s[0:1]
.LBB46_145:
	s_or_b64 exec, exec, s[8:9]
	v_mov_b32_e32 v100, 0
	ds_read_b64 v[100:101], v100 offset:248
	s_waitcnt lgkmcnt(0)
	v_mul_f64 v[98:99], v[98:99], v[100:101]
	scratch_store_dwordx2 off, v[98:99], off offset:248
.LBB46_146:
	s_or_b64 exec, exec, s[4:5]
	scratch_load_dwordx2 v[98:99], off, off offset:240
	v_cmp_lt_u32_e64 s[0:1], 30, v0
	s_waitcnt vmcnt(0)
	ds_write_b64 v1, v[98:99]
	s_waitcnt lgkmcnt(0)
	; wave barrier
	s_and_saveexec_b64 s[4:5], s[0:1]
	s_cbranch_execz .LBB46_156
; %bb.147:
	s_andn2_b64 vcc, exec, s[6:7]
	s_cbranch_vccnz .LBB46_149
; %bb.148:
	scratch_load_dwordx2 v[98:99], v11, off
	ds_read_b64 v[100:101], v1
	s_waitcnt vmcnt(0) lgkmcnt(0)
	v_mul_f64 v[98:99], v[98:99], v[100:101]
	s_cbranch_execz .LBB46_150
	s_branch .LBB46_151
.LBB46_149:
                                        ; implicit-def: $vgpr98_vgpr99
.LBB46_150:
	ds_read_b64 v[98:99], v1
.LBB46_151:
	s_and_saveexec_b64 s[8:9], s[2:3]
	s_cbranch_execz .LBB46_155
; %bb.152:
	s_movk_i32 s25, 0xf8
	v_subrev_u32_e32 v100, 31, v0
	s_movk_i32 s26, 0x278
	s_mov_b64 s[2:3], 0
.LBB46_153:                             ; =>This Inner Loop Header: Depth=1
	scratch_load_dwordx2 v[102:103], off, s25
	v_mov_b32_e32 v101, s26
	ds_read_b64 v[104:105], v101
	v_add_u32_e32 v100, -1, v100
	s_add_i32 s26, s26, 8
	s_add_i32 s25, s25, 8
	v_cmp_eq_u32_e32 vcc, 0, v100
	s_or_b64 s[2:3], vcc, s[2:3]
	s_waitcnt vmcnt(0) lgkmcnt(0)
	v_fmac_f64_e32 v[98:99], v[102:103], v[104:105]
	s_andn2_b64 exec, exec, s[2:3]
	s_cbranch_execnz .LBB46_153
; %bb.154:
	s_or_b64 exec, exec, s[2:3]
.LBB46_155:
	s_or_b64 exec, exec, s[8:9]
	v_mov_b32_e32 v100, 0
	ds_read_b64 v[100:101], v100 offset:240
	s_waitcnt lgkmcnt(0)
	v_mul_f64 v[98:99], v[98:99], v[100:101]
	scratch_store_dwordx2 off, v[98:99], off offset:240
.LBB46_156:
	s_or_b64 exec, exec, s[4:5]
	scratch_load_dwordx2 v[98:99], off, off offset:232
	v_cmp_lt_u32_e64 s[2:3], 29, v0
	s_waitcnt vmcnt(0)
	ds_write_b64 v1, v[98:99]
	s_waitcnt lgkmcnt(0)
	; wave barrier
	s_and_saveexec_b64 s[4:5], s[2:3]
	s_cbranch_execz .LBB46_166
; %bb.157:
	s_andn2_b64 vcc, exec, s[6:7]
	s_cbranch_vccnz .LBB46_159
; %bb.158:
	scratch_load_dwordx2 v[98:99], v11, off
	ds_read_b64 v[100:101], v1
	s_waitcnt vmcnt(0) lgkmcnt(0)
	v_mul_f64 v[98:99], v[98:99], v[100:101]
	s_cbranch_execz .LBB46_160
	s_branch .LBB46_161
.LBB46_159:
                                        ; implicit-def: $vgpr98_vgpr99
.LBB46_160:
	ds_read_b64 v[98:99], v1
.LBB46_161:
	s_and_saveexec_b64 s[8:9], s[0:1]
	s_cbranch_execz .LBB46_165
; %bb.162:
	v_subrev_u32_e32 v100, 30, v0
	s_movk_i32 s25, 0x270
	s_mov_b64 s[0:1], 0
.LBB46_163:                             ; =>This Inner Loop Header: Depth=1
	scratch_load_dwordx2 v[102:103], off, s24
	v_mov_b32_e32 v101, s25
	ds_read_b64 v[104:105], v101
	v_add_u32_e32 v100, -1, v100
	s_add_i32 s25, s25, 8
	s_add_i32 s24, s24, 8
	v_cmp_eq_u32_e32 vcc, 0, v100
	s_or_b64 s[0:1], vcc, s[0:1]
	s_waitcnt vmcnt(0) lgkmcnt(0)
	v_fmac_f64_e32 v[98:99], v[102:103], v[104:105]
	s_andn2_b64 exec, exec, s[0:1]
	s_cbranch_execnz .LBB46_163
; %bb.164:
	s_or_b64 exec, exec, s[0:1]
.LBB46_165:
	s_or_b64 exec, exec, s[8:9]
	v_mov_b32_e32 v100, 0
	ds_read_b64 v[100:101], v100 offset:232
	s_waitcnt lgkmcnt(0)
	v_mul_f64 v[98:99], v[98:99], v[100:101]
	scratch_store_dwordx2 off, v[98:99], off offset:232
.LBB46_166:
	s_or_b64 exec, exec, s[4:5]
	scratch_load_dwordx2 v[98:99], off, off offset:224
	v_cmp_lt_u32_e64 s[0:1], 28, v0
	s_waitcnt vmcnt(0)
	ds_write_b64 v1, v[98:99]
	s_waitcnt lgkmcnt(0)
	; wave barrier
	s_and_saveexec_b64 s[4:5], s[0:1]
	s_cbranch_execz .LBB46_176
; %bb.167:
	s_andn2_b64 vcc, exec, s[6:7]
	s_cbranch_vccnz .LBB46_169
; %bb.168:
	scratch_load_dwordx2 v[98:99], v11, off
	ds_read_b64 v[100:101], v1
	s_waitcnt vmcnt(0) lgkmcnt(0)
	v_mul_f64 v[98:99], v[98:99], v[100:101]
	s_cbranch_execz .LBB46_170
	s_branch .LBB46_171
.LBB46_169:
                                        ; implicit-def: $vgpr98_vgpr99
.LBB46_170:
	ds_read_b64 v[98:99], v1
.LBB46_171:
	s_and_saveexec_b64 s[8:9], s[2:3]
	s_cbranch_execz .LBB46_175
; %bb.172:
	s_movk_i32 s24, 0xe8
	v_subrev_u32_e32 v100, 29, v0
	s_movk_i32 s25, 0x268
	s_mov_b64 s[2:3], 0
.LBB46_173:                             ; =>This Inner Loop Header: Depth=1
	scratch_load_dwordx2 v[102:103], off, s24
	v_mov_b32_e32 v101, s25
	ds_read_b64 v[104:105], v101
	v_add_u32_e32 v100, -1, v100
	s_add_i32 s25, s25, 8
	s_add_i32 s24, s24, 8
	v_cmp_eq_u32_e32 vcc, 0, v100
	s_or_b64 s[2:3], vcc, s[2:3]
	s_waitcnt vmcnt(0) lgkmcnt(0)
	v_fmac_f64_e32 v[98:99], v[102:103], v[104:105]
	s_andn2_b64 exec, exec, s[2:3]
	s_cbranch_execnz .LBB46_173
; %bb.174:
	s_or_b64 exec, exec, s[2:3]
.LBB46_175:
	s_or_b64 exec, exec, s[8:9]
	v_mov_b32_e32 v100, 0
	ds_read_b64 v[100:101], v100 offset:224
	s_waitcnt lgkmcnt(0)
	v_mul_f64 v[98:99], v[98:99], v[100:101]
	scratch_store_dwordx2 off, v[98:99], off offset:224
.LBB46_176:
	s_or_b64 exec, exec, s[4:5]
	scratch_load_dwordx2 v[98:99], off, off offset:216
	v_cmp_lt_u32_e64 s[2:3], 27, v0
	s_waitcnt vmcnt(0)
	ds_write_b64 v1, v[98:99]
	s_waitcnt lgkmcnt(0)
	; wave barrier
	s_and_saveexec_b64 s[4:5], s[2:3]
	s_cbranch_execz .LBB46_186
; %bb.177:
	s_andn2_b64 vcc, exec, s[6:7]
	s_cbranch_vccnz .LBB46_179
; %bb.178:
	scratch_load_dwordx2 v[98:99], v11, off
	ds_read_b64 v[100:101], v1
	s_waitcnt vmcnt(0) lgkmcnt(0)
	v_mul_f64 v[98:99], v[98:99], v[100:101]
	s_cbranch_execz .LBB46_180
	s_branch .LBB46_181
.LBB46_179:
                                        ; implicit-def: $vgpr98_vgpr99
.LBB46_180:
	ds_read_b64 v[98:99], v1
.LBB46_181:
	s_and_saveexec_b64 s[8:9], s[0:1]
	s_cbranch_execz .LBB46_185
; %bb.182:
	v_subrev_u32_e32 v100, 28, v0
	s_movk_i32 s24, 0x260
	s_mov_b64 s[0:1], 0
.LBB46_183:                             ; =>This Inner Loop Header: Depth=1
	scratch_load_dwordx2 v[102:103], off, s23
	v_mov_b32_e32 v101, s24
	ds_read_b64 v[104:105], v101
	v_add_u32_e32 v100, -1, v100
	s_add_i32 s24, s24, 8
	s_add_i32 s23, s23, 8
	v_cmp_eq_u32_e32 vcc, 0, v100
	s_or_b64 s[0:1], vcc, s[0:1]
	s_waitcnt vmcnt(0) lgkmcnt(0)
	v_fmac_f64_e32 v[98:99], v[102:103], v[104:105]
	s_andn2_b64 exec, exec, s[0:1]
	s_cbranch_execnz .LBB46_183
; %bb.184:
	s_or_b64 exec, exec, s[0:1]
.LBB46_185:
	s_or_b64 exec, exec, s[8:9]
	v_mov_b32_e32 v100, 0
	ds_read_b64 v[100:101], v100 offset:216
	s_waitcnt lgkmcnt(0)
	v_mul_f64 v[98:99], v[98:99], v[100:101]
	scratch_store_dwordx2 off, v[98:99], off offset:216
.LBB46_186:
	s_or_b64 exec, exec, s[4:5]
	scratch_load_dwordx2 v[98:99], off, off offset:208
	v_cmp_lt_u32_e64 s[0:1], 26, v0
	s_waitcnt vmcnt(0)
	ds_write_b64 v1, v[98:99]
	s_waitcnt lgkmcnt(0)
	; wave barrier
	s_and_saveexec_b64 s[4:5], s[0:1]
	s_cbranch_execz .LBB46_196
; %bb.187:
	s_andn2_b64 vcc, exec, s[6:7]
	s_cbranch_vccnz .LBB46_189
; %bb.188:
	scratch_load_dwordx2 v[98:99], v11, off
	ds_read_b64 v[100:101], v1
	s_waitcnt vmcnt(0) lgkmcnt(0)
	v_mul_f64 v[98:99], v[98:99], v[100:101]
	s_cbranch_execz .LBB46_190
	s_branch .LBB46_191
.LBB46_189:
                                        ; implicit-def: $vgpr98_vgpr99
.LBB46_190:
	ds_read_b64 v[98:99], v1
.LBB46_191:
	s_and_saveexec_b64 s[8:9], s[2:3]
	s_cbranch_execz .LBB46_195
; %bb.192:
	s_movk_i32 s23, 0xd8
	v_subrev_u32_e32 v100, 27, v0
	s_movk_i32 s24, 0x258
	s_mov_b64 s[2:3], 0
.LBB46_193:                             ; =>This Inner Loop Header: Depth=1
	scratch_load_dwordx2 v[102:103], off, s23
	v_mov_b32_e32 v101, s24
	ds_read_b64 v[104:105], v101
	v_add_u32_e32 v100, -1, v100
	s_add_i32 s24, s24, 8
	s_add_i32 s23, s23, 8
	v_cmp_eq_u32_e32 vcc, 0, v100
	s_or_b64 s[2:3], vcc, s[2:3]
	s_waitcnt vmcnt(0) lgkmcnt(0)
	v_fmac_f64_e32 v[98:99], v[102:103], v[104:105]
	s_andn2_b64 exec, exec, s[2:3]
	s_cbranch_execnz .LBB46_193
; %bb.194:
	s_or_b64 exec, exec, s[2:3]
.LBB46_195:
	s_or_b64 exec, exec, s[8:9]
	v_mov_b32_e32 v100, 0
	ds_read_b64 v[100:101], v100 offset:208
	s_waitcnt lgkmcnt(0)
	v_mul_f64 v[98:99], v[98:99], v[100:101]
	scratch_store_dwordx2 off, v[98:99], off offset:208
.LBB46_196:
	s_or_b64 exec, exec, s[4:5]
	scratch_load_dwordx2 v[98:99], off, off offset:200
	v_cmp_lt_u32_e64 s[2:3], 25, v0
	s_waitcnt vmcnt(0)
	ds_write_b64 v1, v[98:99]
	s_waitcnt lgkmcnt(0)
	; wave barrier
	s_and_saveexec_b64 s[4:5], s[2:3]
	s_cbranch_execz .LBB46_206
; %bb.197:
	s_andn2_b64 vcc, exec, s[6:7]
	s_cbranch_vccnz .LBB46_199
; %bb.198:
	scratch_load_dwordx2 v[98:99], v11, off
	ds_read_b64 v[100:101], v1
	s_waitcnt vmcnt(0) lgkmcnt(0)
	v_mul_f64 v[98:99], v[98:99], v[100:101]
	s_cbranch_execz .LBB46_200
	s_branch .LBB46_201
.LBB46_199:
                                        ; implicit-def: $vgpr98_vgpr99
.LBB46_200:
	ds_read_b64 v[98:99], v1
.LBB46_201:
	s_and_saveexec_b64 s[8:9], s[0:1]
	s_cbranch_execz .LBB46_205
; %bb.202:
	v_subrev_u32_e32 v100, 26, v0
	s_movk_i32 s23, 0x250
	s_mov_b64 s[0:1], 0
.LBB46_203:                             ; =>This Inner Loop Header: Depth=1
	scratch_load_dwordx2 v[102:103], off, s22
	v_mov_b32_e32 v101, s23
	ds_read_b64 v[104:105], v101
	v_add_u32_e32 v100, -1, v100
	s_add_i32 s23, s23, 8
	s_add_i32 s22, s22, 8
	v_cmp_eq_u32_e32 vcc, 0, v100
	s_or_b64 s[0:1], vcc, s[0:1]
	s_waitcnt vmcnt(0) lgkmcnt(0)
	v_fmac_f64_e32 v[98:99], v[102:103], v[104:105]
	s_andn2_b64 exec, exec, s[0:1]
	s_cbranch_execnz .LBB46_203
; %bb.204:
	s_or_b64 exec, exec, s[0:1]
.LBB46_205:
	s_or_b64 exec, exec, s[8:9]
	v_mov_b32_e32 v100, 0
	ds_read_b64 v[100:101], v100 offset:200
	s_waitcnt lgkmcnt(0)
	v_mul_f64 v[98:99], v[98:99], v[100:101]
	scratch_store_dwordx2 off, v[98:99], off offset:200
.LBB46_206:
	s_or_b64 exec, exec, s[4:5]
	scratch_load_dwordx2 v[98:99], off, off offset:192
	v_cmp_lt_u32_e64 s[0:1], 24, v0
	s_waitcnt vmcnt(0)
	ds_write_b64 v1, v[98:99]
	s_waitcnt lgkmcnt(0)
	; wave barrier
	s_and_saveexec_b64 s[4:5], s[0:1]
	s_cbranch_execz .LBB46_216
; %bb.207:
	s_andn2_b64 vcc, exec, s[6:7]
	s_cbranch_vccnz .LBB46_209
; %bb.208:
	scratch_load_dwordx2 v[98:99], v11, off
	ds_read_b64 v[100:101], v1
	s_waitcnt vmcnt(0) lgkmcnt(0)
	v_mul_f64 v[98:99], v[98:99], v[100:101]
	s_cbranch_execz .LBB46_210
	s_branch .LBB46_211
.LBB46_209:
                                        ; implicit-def: $vgpr98_vgpr99
.LBB46_210:
	ds_read_b64 v[98:99], v1
.LBB46_211:
	s_and_saveexec_b64 s[8:9], s[2:3]
	s_cbranch_execz .LBB46_215
; %bb.212:
	s_movk_i32 s22, 0xc8
	v_subrev_u32_e32 v100, 25, v0
	s_movk_i32 s23, 0x248
	s_mov_b64 s[2:3], 0
.LBB46_213:                             ; =>This Inner Loop Header: Depth=1
	scratch_load_dwordx2 v[102:103], off, s22
	v_mov_b32_e32 v101, s23
	ds_read_b64 v[104:105], v101
	v_add_u32_e32 v100, -1, v100
	s_add_i32 s23, s23, 8
	s_add_i32 s22, s22, 8
	v_cmp_eq_u32_e32 vcc, 0, v100
	s_or_b64 s[2:3], vcc, s[2:3]
	s_waitcnt vmcnt(0) lgkmcnt(0)
	v_fmac_f64_e32 v[98:99], v[102:103], v[104:105]
	s_andn2_b64 exec, exec, s[2:3]
	s_cbranch_execnz .LBB46_213
; %bb.214:
	s_or_b64 exec, exec, s[2:3]
.LBB46_215:
	s_or_b64 exec, exec, s[8:9]
	v_mov_b32_e32 v100, 0
	ds_read_b64 v[100:101], v100 offset:192
	s_waitcnt lgkmcnt(0)
	v_mul_f64 v[98:99], v[98:99], v[100:101]
	scratch_store_dwordx2 off, v[98:99], off offset:192
.LBB46_216:
	s_or_b64 exec, exec, s[4:5]
	scratch_load_dwordx2 v[98:99], off, off offset:184
	v_cmp_lt_u32_e64 s[2:3], 23, v0
	s_waitcnt vmcnt(0)
	ds_write_b64 v1, v[98:99]
	s_waitcnt lgkmcnt(0)
	; wave barrier
	s_and_saveexec_b64 s[4:5], s[2:3]
	s_cbranch_execz .LBB46_226
; %bb.217:
	s_andn2_b64 vcc, exec, s[6:7]
	s_cbranch_vccnz .LBB46_219
; %bb.218:
	scratch_load_dwordx2 v[98:99], v11, off
	ds_read_b64 v[100:101], v1
	s_waitcnt vmcnt(0) lgkmcnt(0)
	v_mul_f64 v[98:99], v[98:99], v[100:101]
	s_cbranch_execz .LBB46_220
	s_branch .LBB46_221
.LBB46_219:
                                        ; implicit-def: $vgpr98_vgpr99
.LBB46_220:
	ds_read_b64 v[98:99], v1
.LBB46_221:
	s_and_saveexec_b64 s[8:9], s[0:1]
	s_cbranch_execz .LBB46_225
; %bb.222:
	v_subrev_u32_e32 v100, 24, v0
	s_movk_i32 s22, 0x240
	s_mov_b64 s[0:1], 0
.LBB46_223:                             ; =>This Inner Loop Header: Depth=1
	scratch_load_dwordx2 v[102:103], off, s21
	v_mov_b32_e32 v101, s22
	ds_read_b64 v[104:105], v101
	v_add_u32_e32 v100, -1, v100
	s_add_i32 s22, s22, 8
	s_add_i32 s21, s21, 8
	v_cmp_eq_u32_e32 vcc, 0, v100
	s_or_b64 s[0:1], vcc, s[0:1]
	s_waitcnt vmcnt(0) lgkmcnt(0)
	v_fmac_f64_e32 v[98:99], v[102:103], v[104:105]
	s_andn2_b64 exec, exec, s[0:1]
	s_cbranch_execnz .LBB46_223
; %bb.224:
	s_or_b64 exec, exec, s[0:1]
.LBB46_225:
	s_or_b64 exec, exec, s[8:9]
	v_mov_b32_e32 v100, 0
	ds_read_b64 v[100:101], v100 offset:184
	s_waitcnt lgkmcnt(0)
	v_mul_f64 v[98:99], v[98:99], v[100:101]
	scratch_store_dwordx2 off, v[98:99], off offset:184
.LBB46_226:
	s_or_b64 exec, exec, s[4:5]
	scratch_load_dwordx2 v[98:99], off, off offset:176
	v_cmp_lt_u32_e64 s[0:1], 22, v0
	s_waitcnt vmcnt(0)
	ds_write_b64 v1, v[98:99]
	s_waitcnt lgkmcnt(0)
	; wave barrier
	s_and_saveexec_b64 s[4:5], s[0:1]
	s_cbranch_execz .LBB46_236
; %bb.227:
	s_andn2_b64 vcc, exec, s[6:7]
	s_cbranch_vccnz .LBB46_229
; %bb.228:
	scratch_load_dwordx2 v[98:99], v11, off
	ds_read_b64 v[100:101], v1
	s_waitcnt vmcnt(0) lgkmcnt(0)
	v_mul_f64 v[98:99], v[98:99], v[100:101]
	s_cbranch_execz .LBB46_230
	s_branch .LBB46_231
.LBB46_229:
                                        ; implicit-def: $vgpr98_vgpr99
.LBB46_230:
	ds_read_b64 v[98:99], v1
.LBB46_231:
	s_and_saveexec_b64 s[8:9], s[2:3]
	s_cbranch_execz .LBB46_235
; %bb.232:
	s_movk_i32 s21, 0xb8
	v_subrev_u32_e32 v100, 23, v0
	s_movk_i32 s22, 0x238
	s_mov_b64 s[2:3], 0
.LBB46_233:                             ; =>This Inner Loop Header: Depth=1
	scratch_load_dwordx2 v[102:103], off, s21
	v_mov_b32_e32 v101, s22
	ds_read_b64 v[104:105], v101
	v_add_u32_e32 v100, -1, v100
	s_add_i32 s22, s22, 8
	s_add_i32 s21, s21, 8
	v_cmp_eq_u32_e32 vcc, 0, v100
	s_or_b64 s[2:3], vcc, s[2:3]
	s_waitcnt vmcnt(0) lgkmcnt(0)
	v_fmac_f64_e32 v[98:99], v[102:103], v[104:105]
	s_andn2_b64 exec, exec, s[2:3]
	s_cbranch_execnz .LBB46_233
; %bb.234:
	s_or_b64 exec, exec, s[2:3]
.LBB46_235:
	s_or_b64 exec, exec, s[8:9]
	v_mov_b32_e32 v100, 0
	ds_read_b64 v[100:101], v100 offset:176
	s_waitcnt lgkmcnt(0)
	v_mul_f64 v[98:99], v[98:99], v[100:101]
	scratch_store_dwordx2 off, v[98:99], off offset:176
.LBB46_236:
	s_or_b64 exec, exec, s[4:5]
	scratch_load_dwordx2 v[98:99], off, off offset:168
	v_cmp_lt_u32_e64 s[2:3], 21, v0
	s_waitcnt vmcnt(0)
	ds_write_b64 v1, v[98:99]
	s_waitcnt lgkmcnt(0)
	; wave barrier
	s_and_saveexec_b64 s[4:5], s[2:3]
	s_cbranch_execz .LBB46_246
; %bb.237:
	s_andn2_b64 vcc, exec, s[6:7]
	s_cbranch_vccnz .LBB46_239
; %bb.238:
	scratch_load_dwordx2 v[98:99], v11, off
	ds_read_b64 v[100:101], v1
	s_waitcnt vmcnt(0) lgkmcnt(0)
	v_mul_f64 v[98:99], v[98:99], v[100:101]
	s_cbranch_execz .LBB46_240
	s_branch .LBB46_241
.LBB46_239:
                                        ; implicit-def: $vgpr98_vgpr99
.LBB46_240:
	ds_read_b64 v[98:99], v1
.LBB46_241:
	s_and_saveexec_b64 s[8:9], s[0:1]
	s_cbranch_execz .LBB46_245
; %bb.242:
	v_subrev_u32_e32 v100, 22, v0
	s_movk_i32 s21, 0x230
	s_mov_b64 s[0:1], 0
.LBB46_243:                             ; =>This Inner Loop Header: Depth=1
	scratch_load_dwordx2 v[102:103], off, s20
	v_mov_b32_e32 v101, s21
	ds_read_b64 v[104:105], v101
	v_add_u32_e32 v100, -1, v100
	s_add_i32 s21, s21, 8
	s_add_i32 s20, s20, 8
	v_cmp_eq_u32_e32 vcc, 0, v100
	s_or_b64 s[0:1], vcc, s[0:1]
	s_waitcnt vmcnt(0) lgkmcnt(0)
	v_fmac_f64_e32 v[98:99], v[102:103], v[104:105]
	s_andn2_b64 exec, exec, s[0:1]
	s_cbranch_execnz .LBB46_243
; %bb.244:
	s_or_b64 exec, exec, s[0:1]
.LBB46_245:
	s_or_b64 exec, exec, s[8:9]
	v_mov_b32_e32 v100, 0
	ds_read_b64 v[100:101], v100 offset:168
	s_waitcnt lgkmcnt(0)
	v_mul_f64 v[98:99], v[98:99], v[100:101]
	scratch_store_dwordx2 off, v[98:99], off offset:168
.LBB46_246:
	s_or_b64 exec, exec, s[4:5]
	scratch_load_dwordx2 v[98:99], off, off offset:160
	v_cmp_lt_u32_e64 s[0:1], 20, v0
	s_waitcnt vmcnt(0)
	ds_write_b64 v1, v[98:99]
	s_waitcnt lgkmcnt(0)
	; wave barrier
	s_and_saveexec_b64 s[4:5], s[0:1]
	s_cbranch_execz .LBB46_256
; %bb.247:
	s_andn2_b64 vcc, exec, s[6:7]
	s_cbranch_vccnz .LBB46_249
; %bb.248:
	scratch_load_dwordx2 v[98:99], v11, off
	ds_read_b64 v[100:101], v1
	s_waitcnt vmcnt(0) lgkmcnt(0)
	v_mul_f64 v[98:99], v[98:99], v[100:101]
	s_cbranch_execz .LBB46_250
	s_branch .LBB46_251
.LBB46_249:
                                        ; implicit-def: $vgpr98_vgpr99
.LBB46_250:
	ds_read_b64 v[98:99], v1
.LBB46_251:
	s_and_saveexec_b64 s[8:9], s[2:3]
	s_cbranch_execz .LBB46_255
; %bb.252:
	s_movk_i32 s20, 0xa8
	v_subrev_u32_e32 v100, 21, v0
	s_movk_i32 s21, 0x228
	s_mov_b64 s[2:3], 0
.LBB46_253:                             ; =>This Inner Loop Header: Depth=1
	scratch_load_dwordx2 v[102:103], off, s20
	v_mov_b32_e32 v101, s21
	ds_read_b64 v[104:105], v101
	v_add_u32_e32 v100, -1, v100
	s_add_i32 s21, s21, 8
	s_add_i32 s20, s20, 8
	v_cmp_eq_u32_e32 vcc, 0, v100
	s_or_b64 s[2:3], vcc, s[2:3]
	s_waitcnt vmcnt(0) lgkmcnt(0)
	v_fmac_f64_e32 v[98:99], v[102:103], v[104:105]
	s_andn2_b64 exec, exec, s[2:3]
	s_cbranch_execnz .LBB46_253
; %bb.254:
	s_or_b64 exec, exec, s[2:3]
.LBB46_255:
	s_or_b64 exec, exec, s[8:9]
	v_mov_b32_e32 v100, 0
	ds_read_b64 v[100:101], v100 offset:160
	s_waitcnt lgkmcnt(0)
	v_mul_f64 v[98:99], v[98:99], v[100:101]
	scratch_store_dwordx2 off, v[98:99], off offset:160
.LBB46_256:
	s_or_b64 exec, exec, s[4:5]
	scratch_load_dwordx2 v[98:99], off, off offset:152
	v_cmp_lt_u32_e64 s[2:3], 19, v0
	s_waitcnt vmcnt(0)
	ds_write_b64 v1, v[98:99]
	s_waitcnt lgkmcnt(0)
	; wave barrier
	s_and_saveexec_b64 s[4:5], s[2:3]
	s_cbranch_execz .LBB46_266
; %bb.257:
	s_andn2_b64 vcc, exec, s[6:7]
	s_cbranch_vccnz .LBB46_259
; %bb.258:
	scratch_load_dwordx2 v[98:99], v11, off
	ds_read_b64 v[100:101], v1
	s_waitcnt vmcnt(0) lgkmcnt(0)
	v_mul_f64 v[98:99], v[98:99], v[100:101]
	s_cbranch_execz .LBB46_260
	s_branch .LBB46_261
.LBB46_259:
                                        ; implicit-def: $vgpr98_vgpr99
.LBB46_260:
	ds_read_b64 v[98:99], v1
.LBB46_261:
	s_and_saveexec_b64 s[8:9], s[0:1]
	s_cbranch_execz .LBB46_265
; %bb.262:
	v_subrev_u32_e32 v100, 20, v0
	s_movk_i32 s20, 0x220
	s_mov_b64 s[0:1], 0
.LBB46_263:                             ; =>This Inner Loop Header: Depth=1
	scratch_load_dwordx2 v[102:103], off, s19
	v_mov_b32_e32 v101, s20
	ds_read_b64 v[104:105], v101
	v_add_u32_e32 v100, -1, v100
	s_add_i32 s20, s20, 8
	s_add_i32 s19, s19, 8
	v_cmp_eq_u32_e32 vcc, 0, v100
	s_or_b64 s[0:1], vcc, s[0:1]
	s_waitcnt vmcnt(0) lgkmcnt(0)
	v_fmac_f64_e32 v[98:99], v[102:103], v[104:105]
	s_andn2_b64 exec, exec, s[0:1]
	s_cbranch_execnz .LBB46_263
; %bb.264:
	s_or_b64 exec, exec, s[0:1]
.LBB46_265:
	s_or_b64 exec, exec, s[8:9]
	v_mov_b32_e32 v100, 0
	ds_read_b64 v[100:101], v100 offset:152
	s_waitcnt lgkmcnt(0)
	v_mul_f64 v[98:99], v[98:99], v[100:101]
	scratch_store_dwordx2 off, v[98:99], off offset:152
.LBB46_266:
	s_or_b64 exec, exec, s[4:5]
	scratch_load_dwordx2 v[98:99], off, off offset:144
	v_cmp_lt_u32_e64 s[0:1], 18, v0
	s_waitcnt vmcnt(0)
	ds_write_b64 v1, v[98:99]
	s_waitcnt lgkmcnt(0)
	; wave barrier
	s_and_saveexec_b64 s[4:5], s[0:1]
	s_cbranch_execz .LBB46_276
; %bb.267:
	s_andn2_b64 vcc, exec, s[6:7]
	s_cbranch_vccnz .LBB46_269
; %bb.268:
	scratch_load_dwordx2 v[98:99], v11, off
	ds_read_b64 v[100:101], v1
	s_waitcnt vmcnt(0) lgkmcnt(0)
	v_mul_f64 v[98:99], v[98:99], v[100:101]
	s_cbranch_execz .LBB46_270
	s_branch .LBB46_271
.LBB46_269:
                                        ; implicit-def: $vgpr98_vgpr99
.LBB46_270:
	ds_read_b64 v[98:99], v1
.LBB46_271:
	s_and_saveexec_b64 s[8:9], s[2:3]
	s_cbranch_execz .LBB46_275
; %bb.272:
	s_movk_i32 s19, 0x98
	v_subrev_u32_e32 v100, 19, v0
	s_movk_i32 s20, 0x218
	s_mov_b64 s[2:3], 0
.LBB46_273:                             ; =>This Inner Loop Header: Depth=1
	scratch_load_dwordx2 v[102:103], off, s19
	v_mov_b32_e32 v101, s20
	ds_read_b64 v[104:105], v101
	v_add_u32_e32 v100, -1, v100
	s_add_i32 s20, s20, 8
	s_add_i32 s19, s19, 8
	v_cmp_eq_u32_e32 vcc, 0, v100
	s_or_b64 s[2:3], vcc, s[2:3]
	s_waitcnt vmcnt(0) lgkmcnt(0)
	v_fmac_f64_e32 v[98:99], v[102:103], v[104:105]
	s_andn2_b64 exec, exec, s[2:3]
	s_cbranch_execnz .LBB46_273
; %bb.274:
	s_or_b64 exec, exec, s[2:3]
.LBB46_275:
	s_or_b64 exec, exec, s[8:9]
	v_mov_b32_e32 v100, 0
	ds_read_b64 v[100:101], v100 offset:144
	s_waitcnt lgkmcnt(0)
	v_mul_f64 v[98:99], v[98:99], v[100:101]
	scratch_store_dwordx2 off, v[98:99], off offset:144
.LBB46_276:
	s_or_b64 exec, exec, s[4:5]
	scratch_load_dwordx2 v[98:99], off, off offset:136
	v_cmp_lt_u32_e64 s[2:3], 17, v0
	s_waitcnt vmcnt(0)
	ds_write_b64 v1, v[98:99]
	s_waitcnt lgkmcnt(0)
	; wave barrier
	s_and_saveexec_b64 s[4:5], s[2:3]
	s_cbranch_execz .LBB46_286
; %bb.277:
	s_andn2_b64 vcc, exec, s[6:7]
	s_cbranch_vccnz .LBB46_279
; %bb.278:
	scratch_load_dwordx2 v[98:99], v11, off
	ds_read_b64 v[100:101], v1
	s_waitcnt vmcnt(0) lgkmcnt(0)
	v_mul_f64 v[98:99], v[98:99], v[100:101]
	s_cbranch_execz .LBB46_280
	s_branch .LBB46_281
.LBB46_279:
                                        ; implicit-def: $vgpr98_vgpr99
.LBB46_280:
	ds_read_b64 v[98:99], v1
.LBB46_281:
	s_and_saveexec_b64 s[8:9], s[0:1]
	s_cbranch_execz .LBB46_285
; %bb.282:
	v_subrev_u32_e32 v100, 18, v0
	s_movk_i32 s19, 0x210
	s_mov_b64 s[0:1], 0
.LBB46_283:                             ; =>This Inner Loop Header: Depth=1
	scratch_load_dwordx2 v[102:103], off, s18
	v_mov_b32_e32 v101, s19
	ds_read_b64 v[104:105], v101
	v_add_u32_e32 v100, -1, v100
	s_add_i32 s19, s19, 8
	s_add_i32 s18, s18, 8
	v_cmp_eq_u32_e32 vcc, 0, v100
	s_or_b64 s[0:1], vcc, s[0:1]
	s_waitcnt vmcnt(0) lgkmcnt(0)
	v_fmac_f64_e32 v[98:99], v[102:103], v[104:105]
	s_andn2_b64 exec, exec, s[0:1]
	s_cbranch_execnz .LBB46_283
; %bb.284:
	s_or_b64 exec, exec, s[0:1]
.LBB46_285:
	s_or_b64 exec, exec, s[8:9]
	v_mov_b32_e32 v100, 0
	ds_read_b64 v[100:101], v100 offset:136
	s_waitcnt lgkmcnt(0)
	v_mul_f64 v[98:99], v[98:99], v[100:101]
	scratch_store_dwordx2 off, v[98:99], off offset:136
.LBB46_286:
	s_or_b64 exec, exec, s[4:5]
	scratch_load_dwordx2 v[98:99], off, off offset:128
	v_cmp_lt_u32_e64 s[0:1], 16, v0
	s_waitcnt vmcnt(0)
	ds_write_b64 v1, v[98:99]
	s_waitcnt lgkmcnt(0)
	; wave barrier
	s_and_saveexec_b64 s[4:5], s[0:1]
	s_cbranch_execz .LBB46_296
; %bb.287:
	s_andn2_b64 vcc, exec, s[6:7]
	s_cbranch_vccnz .LBB46_289
; %bb.288:
	scratch_load_dwordx2 v[98:99], v11, off
	ds_read_b64 v[100:101], v1
	s_waitcnt vmcnt(0) lgkmcnt(0)
	v_mul_f64 v[98:99], v[98:99], v[100:101]
	s_cbranch_execz .LBB46_290
	s_branch .LBB46_291
.LBB46_289:
                                        ; implicit-def: $vgpr98_vgpr99
.LBB46_290:
	ds_read_b64 v[98:99], v1
.LBB46_291:
	s_and_saveexec_b64 s[8:9], s[2:3]
	s_cbranch_execz .LBB46_295
; %bb.292:
	s_movk_i32 s18, 0x88
	v_subrev_u32_e32 v100, 17, v0
	s_movk_i32 s19, 0x208
	s_mov_b64 s[2:3], 0
.LBB46_293:                             ; =>This Inner Loop Header: Depth=1
	scratch_load_dwordx2 v[102:103], off, s18
	v_mov_b32_e32 v101, s19
	ds_read_b64 v[104:105], v101
	v_add_u32_e32 v100, -1, v100
	s_add_i32 s19, s19, 8
	s_add_i32 s18, s18, 8
	v_cmp_eq_u32_e32 vcc, 0, v100
	s_or_b64 s[2:3], vcc, s[2:3]
	s_waitcnt vmcnt(0) lgkmcnt(0)
	v_fmac_f64_e32 v[98:99], v[102:103], v[104:105]
	s_andn2_b64 exec, exec, s[2:3]
	s_cbranch_execnz .LBB46_293
; %bb.294:
	s_or_b64 exec, exec, s[2:3]
.LBB46_295:
	s_or_b64 exec, exec, s[8:9]
	v_mov_b32_e32 v100, 0
	ds_read_b64 v[100:101], v100 offset:128
	s_waitcnt lgkmcnt(0)
	v_mul_f64 v[98:99], v[98:99], v[100:101]
	scratch_store_dwordx2 off, v[98:99], off offset:128
.LBB46_296:
	s_or_b64 exec, exec, s[4:5]
	scratch_load_dwordx2 v[98:99], off, off offset:120
	v_cmp_lt_u32_e64 s[2:3], 15, v0
	s_waitcnt vmcnt(0)
	ds_write_b64 v1, v[98:99]
	s_waitcnt lgkmcnt(0)
	; wave barrier
	s_and_saveexec_b64 s[4:5], s[2:3]
	s_cbranch_execz .LBB46_306
; %bb.297:
	s_andn2_b64 vcc, exec, s[6:7]
	s_cbranch_vccnz .LBB46_299
; %bb.298:
	scratch_load_dwordx2 v[98:99], v11, off
	ds_read_b64 v[100:101], v1
	s_waitcnt vmcnt(0) lgkmcnt(0)
	v_mul_f64 v[98:99], v[98:99], v[100:101]
	s_cbranch_execz .LBB46_300
	s_branch .LBB46_301
.LBB46_299:
                                        ; implicit-def: $vgpr98_vgpr99
.LBB46_300:
	ds_read_b64 v[98:99], v1
.LBB46_301:
	s_and_saveexec_b64 s[8:9], s[0:1]
	s_cbranch_execz .LBB46_305
; %bb.302:
	v_add_u32_e32 v100, -16, v0
	s_movk_i32 s18, 0x200
	s_mov_b64 s[0:1], 0
.LBB46_303:                             ; =>This Inner Loop Header: Depth=1
	scratch_load_dwordx2 v[102:103], off, s17
	v_mov_b32_e32 v101, s18
	ds_read_b64 v[104:105], v101
	v_add_u32_e32 v100, -1, v100
	s_add_i32 s18, s18, 8
	s_add_i32 s17, s17, 8
	v_cmp_eq_u32_e32 vcc, 0, v100
	s_or_b64 s[0:1], vcc, s[0:1]
	s_waitcnt vmcnt(0) lgkmcnt(0)
	v_fmac_f64_e32 v[98:99], v[102:103], v[104:105]
	s_andn2_b64 exec, exec, s[0:1]
	s_cbranch_execnz .LBB46_303
; %bb.304:
	s_or_b64 exec, exec, s[0:1]
.LBB46_305:
	s_or_b64 exec, exec, s[8:9]
	v_mov_b32_e32 v100, 0
	ds_read_b64 v[100:101], v100 offset:120
	s_waitcnt lgkmcnt(0)
	v_mul_f64 v[98:99], v[98:99], v[100:101]
	scratch_store_dwordx2 off, v[98:99], off offset:120
.LBB46_306:
	s_or_b64 exec, exec, s[4:5]
	scratch_load_dwordx2 v[98:99], off, off offset:112
	v_cmp_lt_u32_e64 s[0:1], 14, v0
	s_waitcnt vmcnt(0)
	ds_write_b64 v1, v[98:99]
	s_waitcnt lgkmcnt(0)
	; wave barrier
	s_and_saveexec_b64 s[4:5], s[0:1]
	s_cbranch_execz .LBB46_316
; %bb.307:
	s_andn2_b64 vcc, exec, s[6:7]
	s_cbranch_vccnz .LBB46_309
; %bb.308:
	scratch_load_dwordx2 v[98:99], v11, off
	ds_read_b64 v[100:101], v1
	s_waitcnt vmcnt(0) lgkmcnt(0)
	v_mul_f64 v[98:99], v[98:99], v[100:101]
	s_cbranch_execz .LBB46_310
	s_branch .LBB46_311
.LBB46_309:
                                        ; implicit-def: $vgpr98_vgpr99
.LBB46_310:
	ds_read_b64 v[98:99], v1
.LBB46_311:
	s_and_saveexec_b64 s[8:9], s[2:3]
	s_cbranch_execz .LBB46_315
; %bb.312:
	s_movk_i32 s17, 0x78
	v_add_u32_e32 v100, -15, v0
	s_movk_i32 s18, 0x1f8
	s_mov_b64 s[2:3], 0
.LBB46_313:                             ; =>This Inner Loop Header: Depth=1
	scratch_load_dwordx2 v[102:103], off, s17
	v_mov_b32_e32 v101, s18
	ds_read_b64 v[104:105], v101
	v_add_u32_e32 v100, -1, v100
	s_add_i32 s18, s18, 8
	s_add_i32 s17, s17, 8
	v_cmp_eq_u32_e32 vcc, 0, v100
	s_or_b64 s[2:3], vcc, s[2:3]
	s_waitcnt vmcnt(0) lgkmcnt(0)
	v_fmac_f64_e32 v[98:99], v[102:103], v[104:105]
	s_andn2_b64 exec, exec, s[2:3]
	s_cbranch_execnz .LBB46_313
; %bb.314:
	s_or_b64 exec, exec, s[2:3]
.LBB46_315:
	s_or_b64 exec, exec, s[8:9]
	v_mov_b32_e32 v100, 0
	ds_read_b64 v[100:101], v100 offset:112
	s_waitcnt lgkmcnt(0)
	v_mul_f64 v[98:99], v[98:99], v[100:101]
	scratch_store_dwordx2 off, v[98:99], off offset:112
.LBB46_316:
	s_or_b64 exec, exec, s[4:5]
	scratch_load_dwordx2 v[98:99], off, off offset:104
	v_cmp_lt_u32_e64 s[2:3], 13, v0
	s_waitcnt vmcnt(0)
	ds_write_b64 v1, v[98:99]
	s_waitcnt lgkmcnt(0)
	; wave barrier
	s_and_saveexec_b64 s[4:5], s[2:3]
	s_cbranch_execz .LBB46_326
; %bb.317:
	s_andn2_b64 vcc, exec, s[6:7]
	s_cbranch_vccnz .LBB46_319
; %bb.318:
	scratch_load_dwordx2 v[98:99], v11, off
	ds_read_b64 v[100:101], v1
	s_waitcnt vmcnt(0) lgkmcnt(0)
	v_mul_f64 v[98:99], v[98:99], v[100:101]
	s_cbranch_execz .LBB46_320
	s_branch .LBB46_321
.LBB46_319:
                                        ; implicit-def: $vgpr98_vgpr99
.LBB46_320:
	ds_read_b64 v[98:99], v1
.LBB46_321:
	s_and_saveexec_b64 s[8:9], s[0:1]
	s_cbranch_execz .LBB46_325
; %bb.322:
	v_add_u32_e32 v100, -14, v0
	s_movk_i32 s17, 0x1f0
	s_mov_b64 s[0:1], 0
.LBB46_323:                             ; =>This Inner Loop Header: Depth=1
	scratch_load_dwordx2 v[102:103], off, s16
	v_mov_b32_e32 v101, s17
	ds_read_b64 v[104:105], v101
	v_add_u32_e32 v100, -1, v100
	s_add_i32 s17, s17, 8
	s_add_i32 s16, s16, 8
	v_cmp_eq_u32_e32 vcc, 0, v100
	s_or_b64 s[0:1], vcc, s[0:1]
	s_waitcnt vmcnt(0) lgkmcnt(0)
	v_fmac_f64_e32 v[98:99], v[102:103], v[104:105]
	s_andn2_b64 exec, exec, s[0:1]
	s_cbranch_execnz .LBB46_323
; %bb.324:
	s_or_b64 exec, exec, s[0:1]
.LBB46_325:
	s_or_b64 exec, exec, s[8:9]
	v_mov_b32_e32 v100, 0
	ds_read_b64 v[100:101], v100 offset:104
	s_waitcnt lgkmcnt(0)
	v_mul_f64 v[98:99], v[98:99], v[100:101]
	scratch_store_dwordx2 off, v[98:99], off offset:104
.LBB46_326:
	s_or_b64 exec, exec, s[4:5]
	scratch_load_dwordx2 v[98:99], off, off offset:96
	v_cmp_lt_u32_e64 s[0:1], 12, v0
	s_waitcnt vmcnt(0)
	ds_write_b64 v1, v[98:99]
	s_waitcnt lgkmcnt(0)
	; wave barrier
	s_and_saveexec_b64 s[4:5], s[0:1]
	s_cbranch_execz .LBB46_336
; %bb.327:
	s_andn2_b64 vcc, exec, s[6:7]
	s_cbranch_vccnz .LBB46_329
; %bb.328:
	scratch_load_dwordx2 v[98:99], v11, off
	ds_read_b64 v[100:101], v1
	s_waitcnt vmcnt(0) lgkmcnt(0)
	v_mul_f64 v[98:99], v[98:99], v[100:101]
	s_cbranch_execz .LBB46_330
	s_branch .LBB46_331
.LBB46_329:
                                        ; implicit-def: $vgpr98_vgpr99
.LBB46_330:
	ds_read_b64 v[98:99], v1
.LBB46_331:
	s_and_saveexec_b64 s[8:9], s[2:3]
	s_cbranch_execz .LBB46_335
; %bb.332:
	s_movk_i32 s16, 0x68
	v_add_u32_e32 v100, -13, v0
	s_movk_i32 s17, 0x1e8
	s_mov_b64 s[2:3], 0
.LBB46_333:                             ; =>This Inner Loop Header: Depth=1
	scratch_load_dwordx2 v[102:103], off, s16
	v_mov_b32_e32 v101, s17
	ds_read_b64 v[104:105], v101
	v_add_u32_e32 v100, -1, v100
	s_add_i32 s17, s17, 8
	s_add_i32 s16, s16, 8
	v_cmp_eq_u32_e32 vcc, 0, v100
	s_or_b64 s[2:3], vcc, s[2:3]
	s_waitcnt vmcnt(0) lgkmcnt(0)
	v_fmac_f64_e32 v[98:99], v[102:103], v[104:105]
	s_andn2_b64 exec, exec, s[2:3]
	s_cbranch_execnz .LBB46_333
; %bb.334:
	s_or_b64 exec, exec, s[2:3]
.LBB46_335:
	s_or_b64 exec, exec, s[8:9]
	v_mov_b32_e32 v100, 0
	ds_read_b64 v[100:101], v100 offset:96
	s_waitcnt lgkmcnt(0)
	v_mul_f64 v[98:99], v[98:99], v[100:101]
	scratch_store_dwordx2 off, v[98:99], off offset:96
.LBB46_336:
	s_or_b64 exec, exec, s[4:5]
	scratch_load_dwordx2 v[98:99], off, off offset:88
	v_cmp_lt_u32_e64 s[2:3], 11, v0
	s_waitcnt vmcnt(0)
	ds_write_b64 v1, v[98:99]
	s_waitcnt lgkmcnt(0)
	; wave barrier
	s_and_saveexec_b64 s[4:5], s[2:3]
	s_cbranch_execz .LBB46_346
; %bb.337:
	s_andn2_b64 vcc, exec, s[6:7]
	s_cbranch_vccnz .LBB46_339
; %bb.338:
	scratch_load_dwordx2 v[98:99], v11, off
	ds_read_b64 v[100:101], v1
	s_waitcnt vmcnt(0) lgkmcnt(0)
	v_mul_f64 v[98:99], v[98:99], v[100:101]
	s_cbranch_execz .LBB46_340
	s_branch .LBB46_341
.LBB46_339:
                                        ; implicit-def: $vgpr98_vgpr99
.LBB46_340:
	ds_read_b64 v[98:99], v1
.LBB46_341:
	s_and_saveexec_b64 s[8:9], s[0:1]
	s_cbranch_execz .LBB46_345
; %bb.342:
	v_add_u32_e32 v100, -12, v0
	s_movk_i32 s16, 0x1e0
	s_mov_b64 s[0:1], 0
.LBB46_343:                             ; =>This Inner Loop Header: Depth=1
	scratch_load_dwordx2 v[102:103], off, s15
	v_mov_b32_e32 v101, s16
	ds_read_b64 v[104:105], v101
	v_add_u32_e32 v100, -1, v100
	s_add_i32 s16, s16, 8
	s_add_i32 s15, s15, 8
	v_cmp_eq_u32_e32 vcc, 0, v100
	s_or_b64 s[0:1], vcc, s[0:1]
	s_waitcnt vmcnt(0) lgkmcnt(0)
	v_fmac_f64_e32 v[98:99], v[102:103], v[104:105]
	s_andn2_b64 exec, exec, s[0:1]
	s_cbranch_execnz .LBB46_343
; %bb.344:
	s_or_b64 exec, exec, s[0:1]
.LBB46_345:
	s_or_b64 exec, exec, s[8:9]
	v_mov_b32_e32 v100, 0
	ds_read_b64 v[100:101], v100 offset:88
	s_waitcnt lgkmcnt(0)
	v_mul_f64 v[98:99], v[98:99], v[100:101]
	scratch_store_dwordx2 off, v[98:99], off offset:88
.LBB46_346:
	s_or_b64 exec, exec, s[4:5]
	scratch_load_dwordx2 v[98:99], off, off offset:80
	v_cmp_lt_u32_e64 s[0:1], 10, v0
	s_waitcnt vmcnt(0)
	ds_write_b64 v1, v[98:99]
	s_waitcnt lgkmcnt(0)
	; wave barrier
	s_and_saveexec_b64 s[4:5], s[0:1]
	s_cbranch_execz .LBB46_356
; %bb.347:
	s_andn2_b64 vcc, exec, s[6:7]
	s_cbranch_vccnz .LBB46_349
; %bb.348:
	scratch_load_dwordx2 v[98:99], v11, off
	ds_read_b64 v[100:101], v1
	s_waitcnt vmcnt(0) lgkmcnt(0)
	v_mul_f64 v[98:99], v[98:99], v[100:101]
	s_cbranch_execz .LBB46_350
	s_branch .LBB46_351
.LBB46_349:
                                        ; implicit-def: $vgpr98_vgpr99
.LBB46_350:
	ds_read_b64 v[98:99], v1
.LBB46_351:
	s_and_saveexec_b64 s[8:9], s[2:3]
	s_cbranch_execz .LBB46_355
; %bb.352:
	s_movk_i32 s15, 0x58
	v_add_u32_e32 v100, -11, v0
	s_movk_i32 s16, 0x1d8
	s_mov_b64 s[2:3], 0
.LBB46_353:                             ; =>This Inner Loop Header: Depth=1
	scratch_load_dwordx2 v[102:103], off, s15
	v_mov_b32_e32 v101, s16
	ds_read_b64 v[104:105], v101
	v_add_u32_e32 v100, -1, v100
	s_add_i32 s16, s16, 8
	s_add_i32 s15, s15, 8
	v_cmp_eq_u32_e32 vcc, 0, v100
	s_or_b64 s[2:3], vcc, s[2:3]
	s_waitcnt vmcnt(0) lgkmcnt(0)
	v_fmac_f64_e32 v[98:99], v[102:103], v[104:105]
	s_andn2_b64 exec, exec, s[2:3]
	s_cbranch_execnz .LBB46_353
; %bb.354:
	s_or_b64 exec, exec, s[2:3]
.LBB46_355:
	s_or_b64 exec, exec, s[8:9]
	v_mov_b32_e32 v100, 0
	ds_read_b64 v[100:101], v100 offset:80
	s_waitcnt lgkmcnt(0)
	v_mul_f64 v[98:99], v[98:99], v[100:101]
	scratch_store_dwordx2 off, v[98:99], off offset:80
.LBB46_356:
	s_or_b64 exec, exec, s[4:5]
	scratch_load_dwordx2 v[98:99], off, off offset:72
	v_cmp_lt_u32_e64 s[2:3], 9, v0
	s_waitcnt vmcnt(0)
	ds_write_b64 v1, v[98:99]
	s_waitcnt lgkmcnt(0)
	; wave barrier
	s_and_saveexec_b64 s[4:5], s[2:3]
	s_cbranch_execz .LBB46_366
; %bb.357:
	s_andn2_b64 vcc, exec, s[6:7]
	s_cbranch_vccnz .LBB46_359
; %bb.358:
	scratch_load_dwordx2 v[98:99], v11, off
	ds_read_b64 v[100:101], v1
	s_waitcnt vmcnt(0) lgkmcnt(0)
	v_mul_f64 v[98:99], v[98:99], v[100:101]
	s_cbranch_execz .LBB46_360
	s_branch .LBB46_361
.LBB46_359:
                                        ; implicit-def: $vgpr98_vgpr99
.LBB46_360:
	ds_read_b64 v[98:99], v1
.LBB46_361:
	s_and_saveexec_b64 s[8:9], s[0:1]
	s_cbranch_execz .LBB46_365
; %bb.362:
	v_add_u32_e32 v100, -10, v0
	s_movk_i32 s15, 0x1d0
	s_mov_b64 s[0:1], 0
.LBB46_363:                             ; =>This Inner Loop Header: Depth=1
	scratch_load_dwordx2 v[102:103], off, s14
	v_mov_b32_e32 v101, s15
	ds_read_b64 v[104:105], v101
	v_add_u32_e32 v100, -1, v100
	s_add_i32 s15, s15, 8
	s_add_i32 s14, s14, 8
	v_cmp_eq_u32_e32 vcc, 0, v100
	s_or_b64 s[0:1], vcc, s[0:1]
	s_waitcnt vmcnt(0) lgkmcnt(0)
	v_fmac_f64_e32 v[98:99], v[102:103], v[104:105]
	s_andn2_b64 exec, exec, s[0:1]
	s_cbranch_execnz .LBB46_363
; %bb.364:
	s_or_b64 exec, exec, s[0:1]
.LBB46_365:
	s_or_b64 exec, exec, s[8:9]
	v_mov_b32_e32 v100, 0
	ds_read_b64 v[100:101], v100 offset:72
	s_waitcnt lgkmcnt(0)
	v_mul_f64 v[98:99], v[98:99], v[100:101]
	scratch_store_dwordx2 off, v[98:99], off offset:72
.LBB46_366:
	s_or_b64 exec, exec, s[4:5]
	scratch_load_dwordx2 v[98:99], off, off offset:64
	v_cmp_lt_u32_e64 s[0:1], 8, v0
	s_waitcnt vmcnt(0)
	ds_write_b64 v1, v[98:99]
	s_waitcnt lgkmcnt(0)
	; wave barrier
	s_and_saveexec_b64 s[4:5], s[0:1]
	s_cbranch_execz .LBB46_376
; %bb.367:
	s_andn2_b64 vcc, exec, s[6:7]
	s_cbranch_vccnz .LBB46_369
; %bb.368:
	scratch_load_dwordx2 v[98:99], v11, off
	ds_read_b64 v[100:101], v1
	s_waitcnt vmcnt(0) lgkmcnt(0)
	v_mul_f64 v[98:99], v[98:99], v[100:101]
	s_cbranch_execz .LBB46_370
	s_branch .LBB46_371
.LBB46_369:
                                        ; implicit-def: $vgpr98_vgpr99
.LBB46_370:
	ds_read_b64 v[98:99], v1
.LBB46_371:
	s_and_saveexec_b64 s[8:9], s[2:3]
	s_cbranch_execz .LBB46_375
; %bb.372:
	s_movk_i32 s14, 0x48
	v_add_u32_e32 v100, -9, v0
	s_movk_i32 s15, 0x1c8
	s_mov_b64 s[2:3], 0
.LBB46_373:                             ; =>This Inner Loop Header: Depth=1
	scratch_load_dwordx2 v[102:103], off, s14
	v_mov_b32_e32 v101, s15
	ds_read_b64 v[104:105], v101
	v_add_u32_e32 v100, -1, v100
	s_add_i32 s15, s15, 8
	s_add_i32 s14, s14, 8
	v_cmp_eq_u32_e32 vcc, 0, v100
	s_or_b64 s[2:3], vcc, s[2:3]
	s_waitcnt vmcnt(0) lgkmcnt(0)
	v_fmac_f64_e32 v[98:99], v[102:103], v[104:105]
	s_andn2_b64 exec, exec, s[2:3]
	s_cbranch_execnz .LBB46_373
; %bb.374:
	s_or_b64 exec, exec, s[2:3]
.LBB46_375:
	s_or_b64 exec, exec, s[8:9]
	v_mov_b32_e32 v100, 0
	ds_read_b64 v[100:101], v100 offset:64
	s_waitcnt lgkmcnt(0)
	v_mul_f64 v[98:99], v[98:99], v[100:101]
	scratch_store_dwordx2 off, v[98:99], off offset:64
.LBB46_376:
	s_or_b64 exec, exec, s[4:5]
	scratch_load_dwordx2 v[98:99], off, off offset:56
	v_cmp_lt_u32_e64 s[2:3], 7, v0
	s_waitcnt vmcnt(0)
	ds_write_b64 v1, v[98:99]
	s_waitcnt lgkmcnt(0)
	; wave barrier
	s_and_saveexec_b64 s[4:5], s[2:3]
	s_cbranch_execz .LBB46_386
; %bb.377:
	s_andn2_b64 vcc, exec, s[6:7]
	s_cbranch_vccnz .LBB46_379
; %bb.378:
	scratch_load_dwordx2 v[98:99], v11, off
	ds_read_b64 v[100:101], v1
	s_waitcnt vmcnt(0) lgkmcnt(0)
	v_mul_f64 v[98:99], v[98:99], v[100:101]
	s_cbranch_execz .LBB46_380
	s_branch .LBB46_381
.LBB46_379:
                                        ; implicit-def: $vgpr98_vgpr99
.LBB46_380:
	ds_read_b64 v[98:99], v1
.LBB46_381:
	s_and_saveexec_b64 s[8:9], s[0:1]
	s_cbranch_execz .LBB46_385
; %bb.382:
	v_add_u32_e32 v100, -8, v0
	s_movk_i32 s14, 0x1c0
	s_mov_b64 s[0:1], 0
.LBB46_383:                             ; =>This Inner Loop Header: Depth=1
	scratch_load_dwordx2 v[102:103], off, s13
	v_mov_b32_e32 v101, s14
	ds_read_b64 v[104:105], v101
	v_add_u32_e32 v100, -1, v100
	s_add_i32 s14, s14, 8
	s_add_i32 s13, s13, 8
	v_cmp_eq_u32_e32 vcc, 0, v100
	s_or_b64 s[0:1], vcc, s[0:1]
	s_waitcnt vmcnt(0) lgkmcnt(0)
	v_fmac_f64_e32 v[98:99], v[102:103], v[104:105]
	s_andn2_b64 exec, exec, s[0:1]
	s_cbranch_execnz .LBB46_383
; %bb.384:
	s_or_b64 exec, exec, s[0:1]
.LBB46_385:
	s_or_b64 exec, exec, s[8:9]
	v_mov_b32_e32 v100, 0
	ds_read_b64 v[100:101], v100 offset:56
	s_waitcnt lgkmcnt(0)
	v_mul_f64 v[98:99], v[98:99], v[100:101]
	scratch_store_dwordx2 off, v[98:99], off offset:56
.LBB46_386:
	s_or_b64 exec, exec, s[4:5]
	scratch_load_dwordx2 v[98:99], off, off offset:48
	v_cmp_lt_u32_e64 s[0:1], 6, v0
	s_waitcnt vmcnt(0)
	ds_write_b64 v1, v[98:99]
	s_waitcnt lgkmcnt(0)
	; wave barrier
	s_and_saveexec_b64 s[4:5], s[0:1]
	s_cbranch_execz .LBB46_396
; %bb.387:
	s_andn2_b64 vcc, exec, s[6:7]
	s_cbranch_vccnz .LBB46_389
; %bb.388:
	scratch_load_dwordx2 v[98:99], v11, off
	ds_read_b64 v[100:101], v1
	s_waitcnt vmcnt(0) lgkmcnt(0)
	v_mul_f64 v[98:99], v[98:99], v[100:101]
	s_cbranch_execz .LBB46_390
	s_branch .LBB46_391
.LBB46_389:
                                        ; implicit-def: $vgpr98_vgpr99
.LBB46_390:
	ds_read_b64 v[98:99], v1
.LBB46_391:
	s_and_saveexec_b64 s[8:9], s[2:3]
	s_cbranch_execz .LBB46_395
; %bb.392:
	s_mov_b32 s13, 56
	v_add_u32_e32 v100, -7, v0
	s_movk_i32 s14, 0x1b8
	s_mov_b64 s[2:3], 0
.LBB46_393:                             ; =>This Inner Loop Header: Depth=1
	scratch_load_dwordx2 v[102:103], off, s13
	v_mov_b32_e32 v101, s14
	ds_read_b64 v[104:105], v101
	v_add_u32_e32 v100, -1, v100
	s_add_i32 s14, s14, 8
	s_add_i32 s13, s13, 8
	v_cmp_eq_u32_e32 vcc, 0, v100
	s_or_b64 s[2:3], vcc, s[2:3]
	s_waitcnt vmcnt(0) lgkmcnt(0)
	v_fmac_f64_e32 v[98:99], v[102:103], v[104:105]
	s_andn2_b64 exec, exec, s[2:3]
	s_cbranch_execnz .LBB46_393
; %bb.394:
	s_or_b64 exec, exec, s[2:3]
.LBB46_395:
	s_or_b64 exec, exec, s[8:9]
	v_mov_b32_e32 v100, 0
	ds_read_b64 v[100:101], v100 offset:48
	s_waitcnt lgkmcnt(0)
	v_mul_f64 v[98:99], v[98:99], v[100:101]
	scratch_store_dwordx2 off, v[98:99], off offset:48
.LBB46_396:
	s_or_b64 exec, exec, s[4:5]
	scratch_load_dwordx2 v[98:99], off, off offset:40
	v_cmp_lt_u32_e64 s[2:3], 5, v0
	s_waitcnt vmcnt(0)
	ds_write_b64 v1, v[98:99]
	s_waitcnt lgkmcnt(0)
	; wave barrier
	s_and_saveexec_b64 s[4:5], s[2:3]
	s_cbranch_execz .LBB46_406
; %bb.397:
	s_andn2_b64 vcc, exec, s[6:7]
	s_cbranch_vccnz .LBB46_399
; %bb.398:
	scratch_load_dwordx2 v[98:99], v11, off
	ds_read_b64 v[100:101], v1
	s_waitcnt vmcnt(0) lgkmcnt(0)
	v_mul_f64 v[98:99], v[98:99], v[100:101]
	s_cbranch_execz .LBB46_400
	s_branch .LBB46_401
.LBB46_399:
                                        ; implicit-def: $vgpr98_vgpr99
.LBB46_400:
	ds_read_b64 v[98:99], v1
.LBB46_401:
	s_and_saveexec_b64 s[8:9], s[0:1]
	s_cbranch_execz .LBB46_405
; %bb.402:
	v_add_u32_e32 v100, -6, v0
	s_movk_i32 s13, 0x1b0
	s_mov_b64 s[0:1], 0
.LBB46_403:                             ; =>This Inner Loop Header: Depth=1
	scratch_load_dwordx2 v[102:103], off, s12
	v_mov_b32_e32 v101, s13
	ds_read_b64 v[104:105], v101
	v_add_u32_e32 v100, -1, v100
	s_add_i32 s13, s13, 8
	s_add_i32 s12, s12, 8
	v_cmp_eq_u32_e32 vcc, 0, v100
	s_or_b64 s[0:1], vcc, s[0:1]
	s_waitcnt vmcnt(0) lgkmcnt(0)
	v_fmac_f64_e32 v[98:99], v[102:103], v[104:105]
	s_andn2_b64 exec, exec, s[0:1]
	s_cbranch_execnz .LBB46_403
; %bb.404:
	s_or_b64 exec, exec, s[0:1]
.LBB46_405:
	s_or_b64 exec, exec, s[8:9]
	v_mov_b32_e32 v100, 0
	ds_read_b64 v[100:101], v100 offset:40
	s_waitcnt lgkmcnt(0)
	v_mul_f64 v[98:99], v[98:99], v[100:101]
	scratch_store_dwordx2 off, v[98:99], off offset:40
.LBB46_406:
	s_or_b64 exec, exec, s[4:5]
	scratch_load_dwordx2 v[98:99], off, off offset:32
	v_cmp_lt_u32_e64 s[0:1], 4, v0
	s_waitcnt vmcnt(0)
	ds_write_b64 v1, v[98:99]
	s_waitcnt lgkmcnt(0)
	; wave barrier
	s_and_saveexec_b64 s[4:5], s[0:1]
	s_cbranch_execz .LBB46_416
; %bb.407:
	s_andn2_b64 vcc, exec, s[6:7]
	s_cbranch_vccnz .LBB46_409
; %bb.408:
	scratch_load_dwordx2 v[98:99], v11, off
	ds_read_b64 v[100:101], v1
	s_waitcnt vmcnt(0) lgkmcnt(0)
	v_mul_f64 v[98:99], v[98:99], v[100:101]
	s_cbranch_execz .LBB46_410
	s_branch .LBB46_411
.LBB46_409:
                                        ; implicit-def: $vgpr98_vgpr99
.LBB46_410:
	ds_read_b64 v[98:99], v1
.LBB46_411:
	s_and_saveexec_b64 s[8:9], s[2:3]
	s_cbranch_execz .LBB46_415
; %bb.412:
	s_mov_b32 s12, 40
	v_add_u32_e32 v100, -5, v0
	s_movk_i32 s13, 0x1a8
	s_mov_b64 s[2:3], 0
.LBB46_413:                             ; =>This Inner Loop Header: Depth=1
	scratch_load_dwordx2 v[102:103], off, s12
	v_mov_b32_e32 v101, s13
	ds_read_b64 v[104:105], v101
	v_add_u32_e32 v100, -1, v100
	s_add_i32 s13, s13, 8
	s_add_i32 s12, s12, 8
	v_cmp_eq_u32_e32 vcc, 0, v100
	s_or_b64 s[2:3], vcc, s[2:3]
	s_waitcnt vmcnt(0) lgkmcnt(0)
	v_fmac_f64_e32 v[98:99], v[102:103], v[104:105]
	s_andn2_b64 exec, exec, s[2:3]
	s_cbranch_execnz .LBB46_413
; %bb.414:
	s_or_b64 exec, exec, s[2:3]
.LBB46_415:
	s_or_b64 exec, exec, s[8:9]
	v_mov_b32_e32 v100, 0
	ds_read_b64 v[100:101], v100 offset:32
	s_waitcnt lgkmcnt(0)
	v_mul_f64 v[98:99], v[98:99], v[100:101]
	scratch_store_dwordx2 off, v[98:99], off offset:32
.LBB46_416:
	s_or_b64 exec, exec, s[4:5]
	scratch_load_dwordx2 v[98:99], off, off offset:24
	v_cmp_lt_u32_e64 s[2:3], 3, v0
	s_waitcnt vmcnt(0)
	ds_write_b64 v1, v[98:99]
	s_waitcnt lgkmcnt(0)
	; wave barrier
	s_and_saveexec_b64 s[4:5], s[2:3]
	s_cbranch_execz .LBB46_426
; %bb.417:
	s_andn2_b64 vcc, exec, s[6:7]
	s_cbranch_vccnz .LBB46_419
; %bb.418:
	scratch_load_dwordx2 v[98:99], v11, off
	ds_read_b64 v[100:101], v1
	s_waitcnt vmcnt(0) lgkmcnt(0)
	v_mul_f64 v[98:99], v[98:99], v[100:101]
	s_cbranch_execz .LBB46_420
	s_branch .LBB46_421
.LBB46_419:
                                        ; implicit-def: $vgpr98_vgpr99
.LBB46_420:
	ds_read_b64 v[98:99], v1
.LBB46_421:
	s_and_saveexec_b64 s[8:9], s[0:1]
	s_cbranch_execz .LBB46_425
; %bb.422:
	v_add_u32_e32 v100, -4, v0
	s_movk_i32 s12, 0x1a0
	s_mov_b64 s[0:1], 0
.LBB46_423:                             ; =>This Inner Loop Header: Depth=1
	scratch_load_dwordx2 v[102:103], off, s11
	v_mov_b32_e32 v101, s12
	ds_read_b64 v[104:105], v101
	v_add_u32_e32 v100, -1, v100
	s_add_i32 s12, s12, 8
	s_add_i32 s11, s11, 8
	v_cmp_eq_u32_e32 vcc, 0, v100
	s_or_b64 s[0:1], vcc, s[0:1]
	s_waitcnt vmcnt(0) lgkmcnt(0)
	v_fmac_f64_e32 v[98:99], v[102:103], v[104:105]
	s_andn2_b64 exec, exec, s[0:1]
	s_cbranch_execnz .LBB46_423
; %bb.424:
	s_or_b64 exec, exec, s[0:1]
.LBB46_425:
	s_or_b64 exec, exec, s[8:9]
	v_mov_b32_e32 v100, 0
	ds_read_b64 v[100:101], v100 offset:24
	s_waitcnt lgkmcnt(0)
	v_mul_f64 v[98:99], v[98:99], v[100:101]
	scratch_store_dwordx2 off, v[98:99], off offset:24
.LBB46_426:
	s_or_b64 exec, exec, s[4:5]
	scratch_load_dwordx2 v[98:99], off, off offset:16
	v_cmp_lt_u32_e64 s[0:1], 2, v0
	s_waitcnt vmcnt(0)
	ds_write_b64 v1, v[98:99]
	s_waitcnt lgkmcnt(0)
	; wave barrier
	s_and_saveexec_b64 s[4:5], s[0:1]
	s_cbranch_execz .LBB46_436
; %bb.427:
	s_andn2_b64 vcc, exec, s[6:7]
	s_cbranch_vccnz .LBB46_429
; %bb.428:
	scratch_load_dwordx2 v[98:99], v11, off
	ds_read_b64 v[100:101], v1
	s_waitcnt vmcnt(0) lgkmcnt(0)
	v_mul_f64 v[98:99], v[98:99], v[100:101]
	s_cbranch_execz .LBB46_430
	s_branch .LBB46_431
.LBB46_429:
                                        ; implicit-def: $vgpr98_vgpr99
.LBB46_430:
	ds_read_b64 v[98:99], v1
.LBB46_431:
	s_and_saveexec_b64 s[8:9], s[2:3]
	s_cbranch_execz .LBB46_435
; %bb.432:
	s_mov_b32 s11, 24
	v_add_u32_e32 v100, -3, v0
	s_movk_i32 s12, 0x198
	s_mov_b64 s[2:3], 0
.LBB46_433:                             ; =>This Inner Loop Header: Depth=1
	scratch_load_dwordx2 v[102:103], off, s11
	v_mov_b32_e32 v101, s12
	ds_read_b64 v[104:105], v101
	v_add_u32_e32 v100, -1, v100
	s_add_i32 s12, s12, 8
	s_add_i32 s11, s11, 8
	v_cmp_eq_u32_e32 vcc, 0, v100
	s_or_b64 s[2:3], vcc, s[2:3]
	s_waitcnt vmcnt(0) lgkmcnt(0)
	v_fmac_f64_e32 v[98:99], v[102:103], v[104:105]
	s_andn2_b64 exec, exec, s[2:3]
	s_cbranch_execnz .LBB46_433
; %bb.434:
	s_or_b64 exec, exec, s[2:3]
.LBB46_435:
	s_or_b64 exec, exec, s[8:9]
	v_mov_b32_e32 v100, 0
	ds_read_b64 v[100:101], v100 offset:16
	s_waitcnt lgkmcnt(0)
	v_mul_f64 v[98:99], v[98:99], v[100:101]
	scratch_store_dwordx2 off, v[98:99], off offset:16
.LBB46_436:
	s_or_b64 exec, exec, s[4:5]
	scratch_load_dwordx2 v[98:99], off, off offset:8
	v_cmp_lt_u32_e64 s[2:3], 1, v0
	s_waitcnt vmcnt(0)
	ds_write_b64 v1, v[98:99]
	s_waitcnt lgkmcnt(0)
	; wave barrier
	s_and_saveexec_b64 s[4:5], s[2:3]
	s_cbranch_execz .LBB46_446
; %bb.437:
	s_andn2_b64 vcc, exec, s[6:7]
	s_cbranch_vccnz .LBB46_439
; %bb.438:
	scratch_load_dwordx2 v[98:99], v11, off
	ds_read_b64 v[100:101], v1
	s_waitcnt vmcnt(0) lgkmcnt(0)
	v_mul_f64 v[98:99], v[98:99], v[100:101]
	s_cbranch_execz .LBB46_440
	s_branch .LBB46_441
.LBB46_439:
                                        ; implicit-def: $vgpr98_vgpr99
.LBB46_440:
	ds_read_b64 v[98:99], v1
.LBB46_441:
	s_and_saveexec_b64 s[8:9], s[0:1]
	s_cbranch_execz .LBB46_445
; %bb.442:
	v_add_u32_e32 v100, -2, v0
	s_movk_i32 s11, 0x190
	s_mov_b64 s[0:1], 0
.LBB46_443:                             ; =>This Inner Loop Header: Depth=1
	scratch_load_dwordx2 v[102:103], off, s10
	v_mov_b32_e32 v101, s11
	ds_read_b64 v[104:105], v101
	v_add_u32_e32 v100, -1, v100
	s_add_i32 s11, s11, 8
	s_add_i32 s10, s10, 8
	v_cmp_eq_u32_e32 vcc, 0, v100
	s_or_b64 s[0:1], vcc, s[0:1]
	s_waitcnt vmcnt(0) lgkmcnt(0)
	v_fmac_f64_e32 v[98:99], v[102:103], v[104:105]
	s_andn2_b64 exec, exec, s[0:1]
	s_cbranch_execnz .LBB46_443
; %bb.444:
	s_or_b64 exec, exec, s[0:1]
.LBB46_445:
	s_or_b64 exec, exec, s[8:9]
	v_mov_b32_e32 v100, 0
	ds_read_b64 v[100:101], v100 offset:8
	s_waitcnt lgkmcnt(0)
	v_mul_f64 v[98:99], v[98:99], v[100:101]
	scratch_store_dwordx2 off, v[98:99], off offset:8
.LBB46_446:
	s_or_b64 exec, exec, s[4:5]
	scratch_load_dwordx2 v[98:99], off, off
	v_cmp_ne_u32_e32 vcc, 0, v0
	s_waitcnt vmcnt(0)
	ds_write_b64 v1, v[98:99]
	s_waitcnt lgkmcnt(0)
	; wave barrier
	s_and_saveexec_b64 s[0:1], vcc
	s_cbranch_execz .LBB46_456
; %bb.447:
	s_andn2_b64 vcc, exec, s[6:7]
	s_cbranch_vccnz .LBB46_449
; %bb.448:
	scratch_load_dwordx2 v[98:99], v11, off
	ds_read_b64 v[100:101], v1
	s_waitcnt vmcnt(0) lgkmcnt(0)
	v_mul_f64 v[98:99], v[98:99], v[100:101]
	s_cbranch_execz .LBB46_450
	s_branch .LBB46_451
.LBB46_449:
                                        ; implicit-def: $vgpr98_vgpr99
.LBB46_450:
	ds_read_b64 v[98:99], v1
.LBB46_451:
	s_and_saveexec_b64 s[4:5], s[2:3]
	s_cbranch_execz .LBB46_455
; %bb.452:
	s_or_b32 s8, 0, 8
	v_add_u32_e32 v100, -1, v0
	s_movk_i32 s9, 0x188
	s_mov_b64 s[2:3], 0
.LBB46_453:                             ; =>This Inner Loop Header: Depth=1
	scratch_load_dwordx2 v[102:103], off, s8
	v_mov_b32_e32 v101, s9
	ds_read_b64 v[104:105], v101
	v_add_u32_e32 v100, -1, v100
	s_add_i32 s9, s9, 8
	s_add_i32 s8, s8, 8
	v_cmp_eq_u32_e32 vcc, 0, v100
	s_or_b64 s[2:3], vcc, s[2:3]
	s_waitcnt vmcnt(0) lgkmcnt(0)
	v_fmac_f64_e32 v[98:99], v[102:103], v[104:105]
	s_andn2_b64 exec, exec, s[2:3]
	s_cbranch_execnz .LBB46_453
; %bb.454:
	s_or_b64 exec, exec, s[2:3]
.LBB46_455:
	s_or_b64 exec, exec, s[4:5]
	v_mov_b32_e32 v100, 0
	ds_read_b64 v[100:101], v100
	s_waitcnt lgkmcnt(0)
	v_mul_f64 v[98:99], v[98:99], v[100:101]
	scratch_store_dwordx2 off, v[98:99], off
.LBB46_456:
	s_or_b64 exec, exec, s[0:1]
	s_mov_b64 s[0:1], 0
.LBB46_457:
	s_and_b64 vcc, exec, s[0:1]
	s_cbranch_vccz .LBB46_909
; %bb.458:
	scratch_load_dwordx2 v[98:99], off, off offset:8
	v_cmp_eq_u32_e64 s[2:3], 0, v0
	s_waitcnt vmcnt(0)
	ds_write_b64 v1, v[98:99]
	s_waitcnt lgkmcnt(0)
	; wave barrier
	s_and_saveexec_b64 s[0:1], s[2:3]
	s_cbranch_execz .LBB46_464
; %bb.459:
	s_and_b64 vcc, exec, s[6:7]
	s_cbranch_vccz .LBB46_461
; %bb.460:
	scratch_load_dwordx2 v[98:99], v11, off
	ds_read_b64 v[100:101], v1
	s_waitcnt vmcnt(0) lgkmcnt(0)
	v_mul_f64 v[98:99], v[98:99], v[100:101]
	s_cbranch_execz .LBB46_462
	s_branch .LBB46_463
.LBB46_461:
                                        ; implicit-def: $vgpr98_vgpr99
.LBB46_462:
	ds_read_b64 v[98:99], v1
.LBB46_463:
	v_mov_b32_e32 v100, 0
	ds_read_b64 v[100:101], v100 offset:8
	s_waitcnt lgkmcnt(0)
	v_mul_f64 v[98:99], v[98:99], v[100:101]
	scratch_store_dwordx2 off, v[98:99], off offset:8
.LBB46_464:
	s_or_b64 exec, exec, s[0:1]
	scratch_load_dwordx2 v[98:99], off, off offset:16
	v_cndmask_b32_e64 v100, 0, 1, s[6:7]
	v_cmp_gt_u32_e32 vcc, 2, v0
	v_cmp_ne_u32_e64 s[0:1], 1, v100
	s_waitcnt vmcnt(0)
	ds_write_b64 v1, v[98:99]
	s_waitcnt lgkmcnt(0)
	; wave barrier
	s_and_saveexec_b64 s[4:5], vcc
	s_cbranch_execz .LBB46_470
; %bb.465:
	s_and_b64 vcc, exec, s[0:1]
	s_cbranch_vccnz .LBB46_467
; %bb.466:
	scratch_load_dwordx2 v[98:99], v11, off
	ds_read_b64 v[100:101], v1
	s_waitcnt vmcnt(0) lgkmcnt(0)
	v_mul_f64 v[98:99], v[98:99], v[100:101]
	s_cbranch_execz .LBB46_468
	s_branch .LBB46_469
.LBB46_467:
                                        ; implicit-def: $vgpr98_vgpr99
.LBB46_468:
	ds_read_b64 v[98:99], v1
.LBB46_469:
	scratch_load_dwordx2 v[104:105], off, off offset:8
	v_mov_b32_e32 v100, 0
	ds_read2_b64 v[100:103], v100 offset0:2 offset1:49
	s_waitcnt vmcnt(0) lgkmcnt(0)
	v_fma_f64 v[102:103], v[104:105], v[102:103], v[98:99]
	v_cndmask_b32_e64 v99, v99, v103, s[2:3]
	v_cndmask_b32_e64 v98, v98, v102, s[2:3]
	v_mul_f64 v[98:99], v[98:99], v[100:101]
	scratch_store_dwordx2 off, v[98:99], off offset:16
.LBB46_470:
	s_or_b64 exec, exec, s[4:5]
	scratch_load_dwordx2 v[98:99], off, off offset:24
	v_cmp_gt_u32_e32 vcc, 3, v0
	s_waitcnt vmcnt(0)
	ds_write_b64 v1, v[98:99]
	s_waitcnt lgkmcnt(0)
	; wave barrier
	s_and_saveexec_b64 s[4:5], vcc
	s_cbranch_execz .LBB46_478
; %bb.471:
	s_and_b64 vcc, exec, s[0:1]
	s_cbranch_vccnz .LBB46_473
; %bb.472:
	scratch_load_dwordx2 v[98:99], v11, off
	ds_read_b64 v[100:101], v1
	s_waitcnt vmcnt(0) lgkmcnt(0)
	v_mul_f64 v[98:99], v[98:99], v[100:101]
	s_cbranch_execz .LBB46_474
	s_branch .LBB46_475
.LBB46_473:
                                        ; implicit-def: $vgpr98_vgpr99
.LBB46_474:
	ds_read_b64 v[98:99], v1
.LBB46_475:
	v_cmp_ne_u32_e32 vcc, 2, v0
	s_and_saveexec_b64 s[6:7], vcc
	s_cbranch_execz .LBB46_477
; %bb.476:
	scratch_load_dwordx2 v[100:101], v11, off offset:8
	scratch_load_dwordx2 v[102:103], off, off offset:16
	ds_read_b64 v[104:105], v1 offset:8
	v_mov_b32_e32 v106, 0
	ds_read_b64 v[106:107], v106 offset:400
	s_waitcnt vmcnt(1) lgkmcnt(1)
	v_fmac_f64_e32 v[98:99], v[100:101], v[104:105]
	s_waitcnt vmcnt(0) lgkmcnt(0)
	v_fma_f64 v[100:101], v[102:103], v[106:107], v[98:99]
	v_cndmask_b32_e64 v99, v99, v101, s[2:3]
	v_cndmask_b32_e64 v98, v98, v100, s[2:3]
.LBB46_477:
	s_or_b64 exec, exec, s[6:7]
	v_mov_b32_e32 v100, 0
	ds_read_b64 v[100:101], v100 offset:24
	s_waitcnt lgkmcnt(0)
	v_mul_f64 v[98:99], v[98:99], v[100:101]
	scratch_store_dwordx2 off, v[98:99], off offset:24
.LBB46_478:
	s_or_b64 exec, exec, s[4:5]
	scratch_load_dwordx2 v[98:99], off, off offset:32
	v_cmp_gt_u32_e32 vcc, 4, v0
	s_waitcnt vmcnt(0)
	ds_write_b64 v1, v[98:99]
	s_waitcnt lgkmcnt(0)
	; wave barrier
	s_and_saveexec_b64 s[2:3], vcc
	s_cbranch_execz .LBB46_488
; %bb.479:
	s_and_b64 vcc, exec, s[0:1]
	s_cbranch_vccnz .LBB46_481
; %bb.480:
	scratch_load_dwordx2 v[98:99], v11, off
	ds_read_b64 v[100:101], v1
	s_waitcnt vmcnt(0) lgkmcnt(0)
	v_mul_f64 v[98:99], v[98:99], v[100:101]
	s_cbranch_execz .LBB46_482
	s_branch .LBB46_483
.LBB46_481:
                                        ; implicit-def: $vgpr98_vgpr99
.LBB46_482:
	ds_read_b64 v[98:99], v1
.LBB46_483:
	v_cmp_ne_u32_e32 vcc, 3, v0
	s_and_saveexec_b64 s[4:5], vcc
	s_cbranch_execz .LBB46_487
; %bb.484:
	s_mov_b32 s6, 0
	v_add_u32_e32 v100, 0x188, v10
	v_add3_u32 v101, v10, s6, 8
	s_mov_b64 s[6:7], 0
	v_mov_b32_e32 v102, v0
.LBB46_485:                             ; =>This Inner Loop Header: Depth=1
	scratch_load_dwordx2 v[104:105], v101, off
	ds_read_b64 v[106:107], v100
	v_add_u32_e32 v102, 1, v102
	v_cmp_lt_u32_e32 vcc, 2, v102
	v_add_u32_e32 v100, 8, v100
	v_add_u32_e32 v101, 8, v101
	s_or_b64 s[6:7], vcc, s[6:7]
	s_waitcnt vmcnt(0) lgkmcnt(0)
	v_fmac_f64_e32 v[98:99], v[104:105], v[106:107]
	s_andn2_b64 exec, exec, s[6:7]
	s_cbranch_execnz .LBB46_485
; %bb.486:
	s_or_b64 exec, exec, s[6:7]
.LBB46_487:
	s_or_b64 exec, exec, s[4:5]
	v_mov_b32_e32 v100, 0
	ds_read_b64 v[100:101], v100 offset:32
	s_waitcnt lgkmcnt(0)
	v_mul_f64 v[98:99], v[98:99], v[100:101]
	scratch_store_dwordx2 off, v[98:99], off offset:32
.LBB46_488:
	s_or_b64 exec, exec, s[2:3]
	scratch_load_dwordx2 v[98:99], off, off offset:40
	v_cmp_gt_u32_e32 vcc, 5, v0
	s_waitcnt vmcnt(0)
	ds_write_b64 v1, v[98:99]
	s_waitcnt lgkmcnt(0)
	; wave barrier
	s_and_saveexec_b64 s[2:3], vcc
	s_cbranch_execz .LBB46_498
; %bb.489:
	s_and_b64 vcc, exec, s[0:1]
	s_cbranch_vccnz .LBB46_491
; %bb.490:
	scratch_load_dwordx2 v[98:99], v11, off
	ds_read_b64 v[100:101], v1
	s_waitcnt vmcnt(0) lgkmcnt(0)
	v_mul_f64 v[98:99], v[98:99], v[100:101]
	s_cbranch_execz .LBB46_492
	s_branch .LBB46_493
.LBB46_491:
                                        ; implicit-def: $vgpr98_vgpr99
.LBB46_492:
	ds_read_b64 v[98:99], v1
.LBB46_493:
	v_cmp_ne_u32_e32 vcc, 4, v0
	s_and_saveexec_b64 s[4:5], vcc
	s_cbranch_execz .LBB46_497
; %bb.494:
	s_mov_b32 s6, 0
	v_add_u32_e32 v100, 0x188, v10
	v_add3_u32 v101, v10, s6, 8
	s_mov_b64 s[6:7], 0
	v_mov_b32_e32 v102, v0
.LBB46_495:                             ; =>This Inner Loop Header: Depth=1
	scratch_load_dwordx2 v[104:105], v101, off
	ds_read_b64 v[106:107], v100
	v_add_u32_e32 v102, 1, v102
	v_cmp_lt_u32_e32 vcc, 3, v102
	v_add_u32_e32 v100, 8, v100
	v_add_u32_e32 v101, 8, v101
	s_or_b64 s[6:7], vcc, s[6:7]
	s_waitcnt vmcnt(0) lgkmcnt(0)
	v_fmac_f64_e32 v[98:99], v[104:105], v[106:107]
	s_andn2_b64 exec, exec, s[6:7]
	s_cbranch_execnz .LBB46_495
; %bb.496:
	s_or_b64 exec, exec, s[6:7]
.LBB46_497:
	s_or_b64 exec, exec, s[4:5]
	v_mov_b32_e32 v100, 0
	ds_read_b64 v[100:101], v100 offset:40
	s_waitcnt lgkmcnt(0)
	v_mul_f64 v[98:99], v[98:99], v[100:101]
	scratch_store_dwordx2 off, v[98:99], off offset:40
.LBB46_498:
	s_or_b64 exec, exec, s[2:3]
	scratch_load_dwordx2 v[98:99], off, off offset:48
	v_cmp_gt_u32_e32 vcc, 6, v0
	s_waitcnt vmcnt(0)
	ds_write_b64 v1, v[98:99]
	s_waitcnt lgkmcnt(0)
	; wave barrier
	s_and_saveexec_b64 s[2:3], vcc
	s_cbranch_execz .LBB46_508
; %bb.499:
	s_and_b64 vcc, exec, s[0:1]
	s_cbranch_vccnz .LBB46_501
; %bb.500:
	scratch_load_dwordx2 v[98:99], v11, off
	ds_read_b64 v[100:101], v1
	s_waitcnt vmcnt(0) lgkmcnt(0)
	v_mul_f64 v[98:99], v[98:99], v[100:101]
	s_cbranch_execz .LBB46_502
	s_branch .LBB46_503
.LBB46_501:
                                        ; implicit-def: $vgpr98_vgpr99
.LBB46_502:
	ds_read_b64 v[98:99], v1
.LBB46_503:
	v_cmp_ne_u32_e32 vcc, 5, v0
	s_and_saveexec_b64 s[4:5], vcc
	s_cbranch_execz .LBB46_507
; %bb.504:
	s_mov_b32 s6, 0
	v_add_u32_e32 v100, 0x188, v10
	v_add3_u32 v101, v10, s6, 8
	s_mov_b64 s[6:7], 0
	v_mov_b32_e32 v102, v0
.LBB46_505:                             ; =>This Inner Loop Header: Depth=1
	scratch_load_dwordx2 v[104:105], v101, off
	ds_read_b64 v[106:107], v100
	v_add_u32_e32 v102, 1, v102
	v_cmp_lt_u32_e32 vcc, 4, v102
	v_add_u32_e32 v100, 8, v100
	v_add_u32_e32 v101, 8, v101
	s_or_b64 s[6:7], vcc, s[6:7]
	s_waitcnt vmcnt(0) lgkmcnt(0)
	v_fmac_f64_e32 v[98:99], v[104:105], v[106:107]
	s_andn2_b64 exec, exec, s[6:7]
	s_cbranch_execnz .LBB46_505
; %bb.506:
	s_or_b64 exec, exec, s[6:7]
.LBB46_507:
	s_or_b64 exec, exec, s[4:5]
	v_mov_b32_e32 v100, 0
	ds_read_b64 v[100:101], v100 offset:48
	s_waitcnt lgkmcnt(0)
	v_mul_f64 v[98:99], v[98:99], v[100:101]
	scratch_store_dwordx2 off, v[98:99], off offset:48
.LBB46_508:
	s_or_b64 exec, exec, s[2:3]
	scratch_load_dwordx2 v[98:99], off, off offset:56
	v_cmp_gt_u32_e32 vcc, 7, v0
	s_waitcnt vmcnt(0)
	ds_write_b64 v1, v[98:99]
	s_waitcnt lgkmcnt(0)
	; wave barrier
	s_and_saveexec_b64 s[2:3], vcc
	s_cbranch_execz .LBB46_518
; %bb.509:
	s_and_b64 vcc, exec, s[0:1]
	s_cbranch_vccnz .LBB46_511
; %bb.510:
	scratch_load_dwordx2 v[98:99], v11, off
	ds_read_b64 v[100:101], v1
	s_waitcnt vmcnt(0) lgkmcnt(0)
	v_mul_f64 v[98:99], v[98:99], v[100:101]
	s_cbranch_execz .LBB46_512
	s_branch .LBB46_513
.LBB46_511:
                                        ; implicit-def: $vgpr98_vgpr99
.LBB46_512:
	ds_read_b64 v[98:99], v1
.LBB46_513:
	v_cmp_ne_u32_e32 vcc, 6, v0
	s_and_saveexec_b64 s[4:5], vcc
	s_cbranch_execz .LBB46_517
; %bb.514:
	s_mov_b32 s6, 0
	v_add_u32_e32 v100, 0x188, v10
	v_add3_u32 v101, v10, s6, 8
	s_mov_b64 s[6:7], 0
	v_mov_b32_e32 v102, v0
.LBB46_515:                             ; =>This Inner Loop Header: Depth=1
	scratch_load_dwordx2 v[104:105], v101, off
	ds_read_b64 v[106:107], v100
	v_add_u32_e32 v102, 1, v102
	v_cmp_lt_u32_e32 vcc, 5, v102
	v_add_u32_e32 v100, 8, v100
	v_add_u32_e32 v101, 8, v101
	s_or_b64 s[6:7], vcc, s[6:7]
	s_waitcnt vmcnt(0) lgkmcnt(0)
	v_fmac_f64_e32 v[98:99], v[104:105], v[106:107]
	s_andn2_b64 exec, exec, s[6:7]
	s_cbranch_execnz .LBB46_515
; %bb.516:
	s_or_b64 exec, exec, s[6:7]
.LBB46_517:
	s_or_b64 exec, exec, s[4:5]
	v_mov_b32_e32 v100, 0
	ds_read_b64 v[100:101], v100 offset:56
	s_waitcnt lgkmcnt(0)
	v_mul_f64 v[98:99], v[98:99], v[100:101]
	scratch_store_dwordx2 off, v[98:99], off offset:56
.LBB46_518:
	s_or_b64 exec, exec, s[2:3]
	scratch_load_dwordx2 v[98:99], off, off offset:64
	v_cmp_gt_u32_e32 vcc, 8, v0
	s_waitcnt vmcnt(0)
	ds_write_b64 v1, v[98:99]
	s_waitcnt lgkmcnt(0)
	; wave barrier
	s_and_saveexec_b64 s[2:3], vcc
	s_cbranch_execz .LBB46_528
; %bb.519:
	s_and_b64 vcc, exec, s[0:1]
	s_cbranch_vccnz .LBB46_521
; %bb.520:
	scratch_load_dwordx2 v[98:99], v11, off
	ds_read_b64 v[100:101], v1
	s_waitcnt vmcnt(0) lgkmcnt(0)
	v_mul_f64 v[98:99], v[98:99], v[100:101]
	s_cbranch_execz .LBB46_522
	s_branch .LBB46_523
.LBB46_521:
                                        ; implicit-def: $vgpr98_vgpr99
.LBB46_522:
	ds_read_b64 v[98:99], v1
.LBB46_523:
	v_cmp_ne_u32_e32 vcc, 7, v0
	s_and_saveexec_b64 s[4:5], vcc
	s_cbranch_execz .LBB46_527
; %bb.524:
	s_mov_b32 s6, 0
	v_add_u32_e32 v100, 0x188, v10
	v_add3_u32 v101, v10, s6, 8
	s_mov_b64 s[6:7], 0
	v_mov_b32_e32 v102, v0
.LBB46_525:                             ; =>This Inner Loop Header: Depth=1
	scratch_load_dwordx2 v[104:105], v101, off
	ds_read_b64 v[106:107], v100
	v_add_u32_e32 v102, 1, v102
	v_cmp_lt_u32_e32 vcc, 6, v102
	v_add_u32_e32 v100, 8, v100
	v_add_u32_e32 v101, 8, v101
	s_or_b64 s[6:7], vcc, s[6:7]
	s_waitcnt vmcnt(0) lgkmcnt(0)
	v_fmac_f64_e32 v[98:99], v[104:105], v[106:107]
	s_andn2_b64 exec, exec, s[6:7]
	s_cbranch_execnz .LBB46_525
; %bb.526:
	s_or_b64 exec, exec, s[6:7]
.LBB46_527:
	s_or_b64 exec, exec, s[4:5]
	v_mov_b32_e32 v100, 0
	ds_read_b64 v[100:101], v100 offset:64
	s_waitcnt lgkmcnt(0)
	v_mul_f64 v[98:99], v[98:99], v[100:101]
	scratch_store_dwordx2 off, v[98:99], off offset:64
.LBB46_528:
	s_or_b64 exec, exec, s[2:3]
	scratch_load_dwordx2 v[98:99], off, off offset:72
	v_cmp_gt_u32_e32 vcc, 9, v0
	s_waitcnt vmcnt(0)
	ds_write_b64 v1, v[98:99]
	s_waitcnt lgkmcnt(0)
	; wave barrier
	s_and_saveexec_b64 s[2:3], vcc
	s_cbranch_execz .LBB46_538
; %bb.529:
	s_and_b64 vcc, exec, s[0:1]
	s_cbranch_vccnz .LBB46_531
; %bb.530:
	scratch_load_dwordx2 v[98:99], v11, off
	ds_read_b64 v[100:101], v1
	s_waitcnt vmcnt(0) lgkmcnt(0)
	v_mul_f64 v[98:99], v[98:99], v[100:101]
	s_cbranch_execz .LBB46_532
	s_branch .LBB46_533
.LBB46_531:
                                        ; implicit-def: $vgpr98_vgpr99
.LBB46_532:
	ds_read_b64 v[98:99], v1
.LBB46_533:
	v_cmp_ne_u32_e32 vcc, 8, v0
	s_and_saveexec_b64 s[4:5], vcc
	s_cbranch_execz .LBB46_537
; %bb.534:
	s_mov_b32 s6, 0
	v_add_u32_e32 v100, 0x188, v10
	v_add3_u32 v101, v10, s6, 8
	s_mov_b64 s[6:7], 0
	v_mov_b32_e32 v102, v0
.LBB46_535:                             ; =>This Inner Loop Header: Depth=1
	scratch_load_dwordx2 v[104:105], v101, off
	ds_read_b64 v[106:107], v100
	v_add_u32_e32 v102, 1, v102
	v_cmp_lt_u32_e32 vcc, 7, v102
	v_add_u32_e32 v100, 8, v100
	v_add_u32_e32 v101, 8, v101
	s_or_b64 s[6:7], vcc, s[6:7]
	s_waitcnt vmcnt(0) lgkmcnt(0)
	v_fmac_f64_e32 v[98:99], v[104:105], v[106:107]
	s_andn2_b64 exec, exec, s[6:7]
	s_cbranch_execnz .LBB46_535
; %bb.536:
	s_or_b64 exec, exec, s[6:7]
.LBB46_537:
	s_or_b64 exec, exec, s[4:5]
	v_mov_b32_e32 v100, 0
	ds_read_b64 v[100:101], v100 offset:72
	s_waitcnt lgkmcnt(0)
	v_mul_f64 v[98:99], v[98:99], v[100:101]
	scratch_store_dwordx2 off, v[98:99], off offset:72
.LBB46_538:
	s_or_b64 exec, exec, s[2:3]
	scratch_load_dwordx2 v[98:99], off, off offset:80
	v_cmp_gt_u32_e32 vcc, 10, v0
	s_waitcnt vmcnt(0)
	ds_write_b64 v1, v[98:99]
	s_waitcnt lgkmcnt(0)
	; wave barrier
	s_and_saveexec_b64 s[2:3], vcc
	s_cbranch_execz .LBB46_548
; %bb.539:
	s_and_b64 vcc, exec, s[0:1]
	s_cbranch_vccnz .LBB46_541
; %bb.540:
	scratch_load_dwordx2 v[98:99], v11, off
	ds_read_b64 v[100:101], v1
	s_waitcnt vmcnt(0) lgkmcnt(0)
	v_mul_f64 v[98:99], v[98:99], v[100:101]
	s_cbranch_execz .LBB46_542
	s_branch .LBB46_543
.LBB46_541:
                                        ; implicit-def: $vgpr98_vgpr99
.LBB46_542:
	ds_read_b64 v[98:99], v1
.LBB46_543:
	v_cmp_ne_u32_e32 vcc, 9, v0
	s_and_saveexec_b64 s[4:5], vcc
	s_cbranch_execz .LBB46_547
; %bb.544:
	s_mov_b32 s6, 0
	v_add_u32_e32 v100, 0x188, v10
	v_add3_u32 v101, v10, s6, 8
	s_mov_b64 s[6:7], 0
	v_mov_b32_e32 v102, v0
.LBB46_545:                             ; =>This Inner Loop Header: Depth=1
	scratch_load_dwordx2 v[104:105], v101, off
	ds_read_b64 v[106:107], v100
	v_add_u32_e32 v102, 1, v102
	v_cmp_lt_u32_e32 vcc, 8, v102
	v_add_u32_e32 v100, 8, v100
	v_add_u32_e32 v101, 8, v101
	s_or_b64 s[6:7], vcc, s[6:7]
	s_waitcnt vmcnt(0) lgkmcnt(0)
	v_fmac_f64_e32 v[98:99], v[104:105], v[106:107]
	s_andn2_b64 exec, exec, s[6:7]
	s_cbranch_execnz .LBB46_545
; %bb.546:
	s_or_b64 exec, exec, s[6:7]
.LBB46_547:
	s_or_b64 exec, exec, s[4:5]
	v_mov_b32_e32 v100, 0
	ds_read_b64 v[100:101], v100 offset:80
	s_waitcnt lgkmcnt(0)
	v_mul_f64 v[98:99], v[98:99], v[100:101]
	scratch_store_dwordx2 off, v[98:99], off offset:80
.LBB46_548:
	s_or_b64 exec, exec, s[2:3]
	scratch_load_dwordx2 v[98:99], off, off offset:88
	v_cmp_gt_u32_e32 vcc, 11, v0
	s_waitcnt vmcnt(0)
	ds_write_b64 v1, v[98:99]
	s_waitcnt lgkmcnt(0)
	; wave barrier
	s_and_saveexec_b64 s[2:3], vcc
	s_cbranch_execz .LBB46_558
; %bb.549:
	s_and_b64 vcc, exec, s[0:1]
	s_cbranch_vccnz .LBB46_551
; %bb.550:
	scratch_load_dwordx2 v[98:99], v11, off
	ds_read_b64 v[100:101], v1
	s_waitcnt vmcnt(0) lgkmcnt(0)
	v_mul_f64 v[98:99], v[98:99], v[100:101]
	s_cbranch_execz .LBB46_552
	s_branch .LBB46_553
.LBB46_551:
                                        ; implicit-def: $vgpr98_vgpr99
.LBB46_552:
	ds_read_b64 v[98:99], v1
.LBB46_553:
	v_cmp_ne_u32_e32 vcc, 10, v0
	s_and_saveexec_b64 s[4:5], vcc
	s_cbranch_execz .LBB46_557
; %bb.554:
	s_mov_b32 s6, 0
	v_add_u32_e32 v100, 0x188, v10
	v_add3_u32 v101, v10, s6, 8
	s_mov_b64 s[6:7], 0
	v_mov_b32_e32 v102, v0
.LBB46_555:                             ; =>This Inner Loop Header: Depth=1
	scratch_load_dwordx2 v[104:105], v101, off
	ds_read_b64 v[106:107], v100
	v_add_u32_e32 v102, 1, v102
	v_cmp_lt_u32_e32 vcc, 9, v102
	v_add_u32_e32 v100, 8, v100
	v_add_u32_e32 v101, 8, v101
	s_or_b64 s[6:7], vcc, s[6:7]
	s_waitcnt vmcnt(0) lgkmcnt(0)
	v_fmac_f64_e32 v[98:99], v[104:105], v[106:107]
	s_andn2_b64 exec, exec, s[6:7]
	s_cbranch_execnz .LBB46_555
; %bb.556:
	s_or_b64 exec, exec, s[6:7]
.LBB46_557:
	s_or_b64 exec, exec, s[4:5]
	v_mov_b32_e32 v100, 0
	ds_read_b64 v[100:101], v100 offset:88
	s_waitcnt lgkmcnt(0)
	v_mul_f64 v[98:99], v[98:99], v[100:101]
	scratch_store_dwordx2 off, v[98:99], off offset:88
.LBB46_558:
	s_or_b64 exec, exec, s[2:3]
	scratch_load_dwordx2 v[98:99], off, off offset:96
	v_cmp_gt_u32_e32 vcc, 12, v0
	s_waitcnt vmcnt(0)
	ds_write_b64 v1, v[98:99]
	s_waitcnt lgkmcnt(0)
	; wave barrier
	s_and_saveexec_b64 s[2:3], vcc
	s_cbranch_execz .LBB46_568
; %bb.559:
	s_and_b64 vcc, exec, s[0:1]
	s_cbranch_vccnz .LBB46_561
; %bb.560:
	scratch_load_dwordx2 v[98:99], v11, off
	ds_read_b64 v[100:101], v1
	s_waitcnt vmcnt(0) lgkmcnt(0)
	v_mul_f64 v[98:99], v[98:99], v[100:101]
	s_cbranch_execz .LBB46_562
	s_branch .LBB46_563
.LBB46_561:
                                        ; implicit-def: $vgpr98_vgpr99
.LBB46_562:
	ds_read_b64 v[98:99], v1
.LBB46_563:
	v_cmp_ne_u32_e32 vcc, 11, v0
	s_and_saveexec_b64 s[4:5], vcc
	s_cbranch_execz .LBB46_567
; %bb.564:
	s_mov_b32 s6, 0
	v_add_u32_e32 v100, 0x188, v10
	v_add3_u32 v101, v10, s6, 8
	s_mov_b64 s[6:7], 0
	v_mov_b32_e32 v102, v0
.LBB46_565:                             ; =>This Inner Loop Header: Depth=1
	scratch_load_dwordx2 v[104:105], v101, off
	ds_read_b64 v[106:107], v100
	v_add_u32_e32 v102, 1, v102
	v_cmp_lt_u32_e32 vcc, 10, v102
	v_add_u32_e32 v100, 8, v100
	v_add_u32_e32 v101, 8, v101
	s_or_b64 s[6:7], vcc, s[6:7]
	s_waitcnt vmcnt(0) lgkmcnt(0)
	v_fmac_f64_e32 v[98:99], v[104:105], v[106:107]
	s_andn2_b64 exec, exec, s[6:7]
	s_cbranch_execnz .LBB46_565
; %bb.566:
	s_or_b64 exec, exec, s[6:7]
.LBB46_567:
	s_or_b64 exec, exec, s[4:5]
	v_mov_b32_e32 v100, 0
	ds_read_b64 v[100:101], v100 offset:96
	s_waitcnt lgkmcnt(0)
	v_mul_f64 v[98:99], v[98:99], v[100:101]
	scratch_store_dwordx2 off, v[98:99], off offset:96
.LBB46_568:
	s_or_b64 exec, exec, s[2:3]
	scratch_load_dwordx2 v[98:99], off, off offset:104
	v_cmp_gt_u32_e32 vcc, 13, v0
	s_waitcnt vmcnt(0)
	ds_write_b64 v1, v[98:99]
	s_waitcnt lgkmcnt(0)
	; wave barrier
	s_and_saveexec_b64 s[2:3], vcc
	s_cbranch_execz .LBB46_578
; %bb.569:
	s_and_b64 vcc, exec, s[0:1]
	s_cbranch_vccnz .LBB46_571
; %bb.570:
	scratch_load_dwordx2 v[98:99], v11, off
	ds_read_b64 v[100:101], v1
	s_waitcnt vmcnt(0) lgkmcnt(0)
	v_mul_f64 v[98:99], v[98:99], v[100:101]
	s_cbranch_execz .LBB46_572
	s_branch .LBB46_573
.LBB46_571:
                                        ; implicit-def: $vgpr98_vgpr99
.LBB46_572:
	ds_read_b64 v[98:99], v1
.LBB46_573:
	v_cmp_ne_u32_e32 vcc, 12, v0
	s_and_saveexec_b64 s[4:5], vcc
	s_cbranch_execz .LBB46_577
; %bb.574:
	s_mov_b32 s6, 0
	v_add_u32_e32 v100, 0x188, v10
	v_add3_u32 v101, v10, s6, 8
	s_mov_b64 s[6:7], 0
	v_mov_b32_e32 v102, v0
.LBB46_575:                             ; =>This Inner Loop Header: Depth=1
	scratch_load_dwordx2 v[104:105], v101, off
	ds_read_b64 v[106:107], v100
	v_add_u32_e32 v102, 1, v102
	v_cmp_lt_u32_e32 vcc, 11, v102
	v_add_u32_e32 v100, 8, v100
	v_add_u32_e32 v101, 8, v101
	s_or_b64 s[6:7], vcc, s[6:7]
	s_waitcnt vmcnt(0) lgkmcnt(0)
	v_fmac_f64_e32 v[98:99], v[104:105], v[106:107]
	s_andn2_b64 exec, exec, s[6:7]
	s_cbranch_execnz .LBB46_575
; %bb.576:
	s_or_b64 exec, exec, s[6:7]
.LBB46_577:
	s_or_b64 exec, exec, s[4:5]
	v_mov_b32_e32 v100, 0
	ds_read_b64 v[100:101], v100 offset:104
	s_waitcnt lgkmcnt(0)
	v_mul_f64 v[98:99], v[98:99], v[100:101]
	scratch_store_dwordx2 off, v[98:99], off offset:104
.LBB46_578:
	s_or_b64 exec, exec, s[2:3]
	scratch_load_dwordx2 v[98:99], off, off offset:112
	v_cmp_gt_u32_e32 vcc, 14, v0
	s_waitcnt vmcnt(0)
	ds_write_b64 v1, v[98:99]
	s_waitcnt lgkmcnt(0)
	; wave barrier
	s_and_saveexec_b64 s[2:3], vcc
	s_cbranch_execz .LBB46_588
; %bb.579:
	s_and_b64 vcc, exec, s[0:1]
	s_cbranch_vccnz .LBB46_581
; %bb.580:
	scratch_load_dwordx2 v[98:99], v11, off
	ds_read_b64 v[100:101], v1
	s_waitcnt vmcnt(0) lgkmcnt(0)
	v_mul_f64 v[98:99], v[98:99], v[100:101]
	s_cbranch_execz .LBB46_582
	s_branch .LBB46_583
.LBB46_581:
                                        ; implicit-def: $vgpr98_vgpr99
.LBB46_582:
	ds_read_b64 v[98:99], v1
.LBB46_583:
	v_cmp_ne_u32_e32 vcc, 13, v0
	s_and_saveexec_b64 s[4:5], vcc
	s_cbranch_execz .LBB46_587
; %bb.584:
	s_mov_b32 s6, 0
	v_add_u32_e32 v100, 0x188, v10
	v_add3_u32 v101, v10, s6, 8
	s_mov_b64 s[6:7], 0
	v_mov_b32_e32 v102, v0
.LBB46_585:                             ; =>This Inner Loop Header: Depth=1
	scratch_load_dwordx2 v[104:105], v101, off
	ds_read_b64 v[106:107], v100
	v_add_u32_e32 v102, 1, v102
	v_cmp_lt_u32_e32 vcc, 12, v102
	v_add_u32_e32 v100, 8, v100
	v_add_u32_e32 v101, 8, v101
	s_or_b64 s[6:7], vcc, s[6:7]
	s_waitcnt vmcnt(0) lgkmcnt(0)
	v_fmac_f64_e32 v[98:99], v[104:105], v[106:107]
	s_andn2_b64 exec, exec, s[6:7]
	s_cbranch_execnz .LBB46_585
; %bb.586:
	s_or_b64 exec, exec, s[6:7]
.LBB46_587:
	s_or_b64 exec, exec, s[4:5]
	v_mov_b32_e32 v100, 0
	ds_read_b64 v[100:101], v100 offset:112
	s_waitcnt lgkmcnt(0)
	v_mul_f64 v[98:99], v[98:99], v[100:101]
	scratch_store_dwordx2 off, v[98:99], off offset:112
.LBB46_588:
	s_or_b64 exec, exec, s[2:3]
	scratch_load_dwordx2 v[98:99], off, off offset:120
	v_cmp_gt_u32_e32 vcc, 15, v0
	s_waitcnt vmcnt(0)
	ds_write_b64 v1, v[98:99]
	s_waitcnt lgkmcnt(0)
	; wave barrier
	s_and_saveexec_b64 s[2:3], vcc
	s_cbranch_execz .LBB46_598
; %bb.589:
	s_and_b64 vcc, exec, s[0:1]
	s_cbranch_vccnz .LBB46_591
; %bb.590:
	scratch_load_dwordx2 v[98:99], v11, off
	ds_read_b64 v[100:101], v1
	s_waitcnt vmcnt(0) lgkmcnt(0)
	v_mul_f64 v[98:99], v[98:99], v[100:101]
	s_cbranch_execz .LBB46_592
	s_branch .LBB46_593
.LBB46_591:
                                        ; implicit-def: $vgpr98_vgpr99
.LBB46_592:
	ds_read_b64 v[98:99], v1
.LBB46_593:
	v_cmp_ne_u32_e32 vcc, 14, v0
	s_and_saveexec_b64 s[4:5], vcc
	s_cbranch_execz .LBB46_597
; %bb.594:
	s_mov_b32 s6, 0
	v_add_u32_e32 v100, 0x188, v10
	v_add3_u32 v101, v10, s6, 8
	s_mov_b64 s[6:7], 0
	v_mov_b32_e32 v102, v0
.LBB46_595:                             ; =>This Inner Loop Header: Depth=1
	scratch_load_dwordx2 v[104:105], v101, off
	ds_read_b64 v[106:107], v100
	v_add_u32_e32 v102, 1, v102
	v_cmp_lt_u32_e32 vcc, 13, v102
	v_add_u32_e32 v100, 8, v100
	v_add_u32_e32 v101, 8, v101
	s_or_b64 s[6:7], vcc, s[6:7]
	s_waitcnt vmcnt(0) lgkmcnt(0)
	v_fmac_f64_e32 v[98:99], v[104:105], v[106:107]
	s_andn2_b64 exec, exec, s[6:7]
	s_cbranch_execnz .LBB46_595
; %bb.596:
	s_or_b64 exec, exec, s[6:7]
.LBB46_597:
	s_or_b64 exec, exec, s[4:5]
	v_mov_b32_e32 v100, 0
	ds_read_b64 v[100:101], v100 offset:120
	s_waitcnt lgkmcnt(0)
	v_mul_f64 v[98:99], v[98:99], v[100:101]
	scratch_store_dwordx2 off, v[98:99], off offset:120
.LBB46_598:
	s_or_b64 exec, exec, s[2:3]
	scratch_load_dwordx2 v[98:99], off, off offset:128
	v_cmp_gt_u32_e32 vcc, 16, v0
	s_waitcnt vmcnt(0)
	ds_write_b64 v1, v[98:99]
	s_waitcnt lgkmcnt(0)
	; wave barrier
	s_and_saveexec_b64 s[2:3], vcc
	s_cbranch_execz .LBB46_608
; %bb.599:
	s_and_b64 vcc, exec, s[0:1]
	s_cbranch_vccnz .LBB46_601
; %bb.600:
	scratch_load_dwordx2 v[98:99], v11, off
	ds_read_b64 v[100:101], v1
	s_waitcnt vmcnt(0) lgkmcnt(0)
	v_mul_f64 v[98:99], v[98:99], v[100:101]
	s_cbranch_execz .LBB46_602
	s_branch .LBB46_603
.LBB46_601:
                                        ; implicit-def: $vgpr98_vgpr99
.LBB46_602:
	ds_read_b64 v[98:99], v1
.LBB46_603:
	v_cmp_ne_u32_e32 vcc, 15, v0
	s_and_saveexec_b64 s[4:5], vcc
	s_cbranch_execz .LBB46_607
; %bb.604:
	s_mov_b32 s6, 0
	v_add_u32_e32 v100, 0x188, v10
	v_add3_u32 v101, v10, s6, 8
	s_mov_b64 s[6:7], 0
	v_mov_b32_e32 v102, v0
.LBB46_605:                             ; =>This Inner Loop Header: Depth=1
	scratch_load_dwordx2 v[104:105], v101, off
	ds_read_b64 v[106:107], v100
	v_add_u32_e32 v102, 1, v102
	v_cmp_lt_u32_e32 vcc, 14, v102
	v_add_u32_e32 v100, 8, v100
	v_add_u32_e32 v101, 8, v101
	s_or_b64 s[6:7], vcc, s[6:7]
	s_waitcnt vmcnt(0) lgkmcnt(0)
	v_fmac_f64_e32 v[98:99], v[104:105], v[106:107]
	s_andn2_b64 exec, exec, s[6:7]
	s_cbranch_execnz .LBB46_605
; %bb.606:
	s_or_b64 exec, exec, s[6:7]
.LBB46_607:
	s_or_b64 exec, exec, s[4:5]
	v_mov_b32_e32 v100, 0
	ds_read_b64 v[100:101], v100 offset:128
	s_waitcnt lgkmcnt(0)
	v_mul_f64 v[98:99], v[98:99], v[100:101]
	scratch_store_dwordx2 off, v[98:99], off offset:128
.LBB46_608:
	s_or_b64 exec, exec, s[2:3]
	scratch_load_dwordx2 v[98:99], off, off offset:136
	v_cmp_gt_u32_e32 vcc, 17, v0
	s_waitcnt vmcnt(0)
	ds_write_b64 v1, v[98:99]
	s_waitcnt lgkmcnt(0)
	; wave barrier
	s_and_saveexec_b64 s[2:3], vcc
	s_cbranch_execz .LBB46_618
; %bb.609:
	s_and_b64 vcc, exec, s[0:1]
	s_cbranch_vccnz .LBB46_611
; %bb.610:
	scratch_load_dwordx2 v[98:99], v11, off
	ds_read_b64 v[100:101], v1
	s_waitcnt vmcnt(0) lgkmcnt(0)
	v_mul_f64 v[98:99], v[98:99], v[100:101]
	s_cbranch_execz .LBB46_612
	s_branch .LBB46_613
.LBB46_611:
                                        ; implicit-def: $vgpr98_vgpr99
.LBB46_612:
	ds_read_b64 v[98:99], v1
.LBB46_613:
	v_cmp_ne_u32_e32 vcc, 16, v0
	s_and_saveexec_b64 s[4:5], vcc
	s_cbranch_execz .LBB46_617
; %bb.614:
	s_mov_b32 s6, 0
	v_add_u32_e32 v100, 0x188, v10
	v_add3_u32 v101, v10, s6, 8
	s_mov_b64 s[6:7], 0
	v_mov_b32_e32 v102, v0
.LBB46_615:                             ; =>This Inner Loop Header: Depth=1
	scratch_load_dwordx2 v[104:105], v101, off
	ds_read_b64 v[106:107], v100
	v_add_u32_e32 v102, 1, v102
	v_cmp_lt_u32_e32 vcc, 15, v102
	v_add_u32_e32 v100, 8, v100
	v_add_u32_e32 v101, 8, v101
	s_or_b64 s[6:7], vcc, s[6:7]
	s_waitcnt vmcnt(0) lgkmcnt(0)
	v_fmac_f64_e32 v[98:99], v[104:105], v[106:107]
	s_andn2_b64 exec, exec, s[6:7]
	s_cbranch_execnz .LBB46_615
; %bb.616:
	s_or_b64 exec, exec, s[6:7]
.LBB46_617:
	s_or_b64 exec, exec, s[4:5]
	v_mov_b32_e32 v100, 0
	ds_read_b64 v[100:101], v100 offset:136
	s_waitcnt lgkmcnt(0)
	v_mul_f64 v[98:99], v[98:99], v[100:101]
	scratch_store_dwordx2 off, v[98:99], off offset:136
.LBB46_618:
	s_or_b64 exec, exec, s[2:3]
	scratch_load_dwordx2 v[98:99], off, off offset:144
	v_cmp_gt_u32_e32 vcc, 18, v0
	s_waitcnt vmcnt(0)
	ds_write_b64 v1, v[98:99]
	s_waitcnt lgkmcnt(0)
	; wave barrier
	s_and_saveexec_b64 s[2:3], vcc
	s_cbranch_execz .LBB46_628
; %bb.619:
	s_and_b64 vcc, exec, s[0:1]
	s_cbranch_vccnz .LBB46_621
; %bb.620:
	scratch_load_dwordx2 v[98:99], v11, off
	ds_read_b64 v[100:101], v1
	s_waitcnt vmcnt(0) lgkmcnt(0)
	v_mul_f64 v[98:99], v[98:99], v[100:101]
	s_cbranch_execz .LBB46_622
	s_branch .LBB46_623
.LBB46_621:
                                        ; implicit-def: $vgpr98_vgpr99
.LBB46_622:
	ds_read_b64 v[98:99], v1
.LBB46_623:
	v_cmp_ne_u32_e32 vcc, 17, v0
	s_and_saveexec_b64 s[4:5], vcc
	s_cbranch_execz .LBB46_627
; %bb.624:
	s_mov_b32 s6, 0
	v_add_u32_e32 v100, 0x188, v10
	v_add3_u32 v101, v10, s6, 8
	s_mov_b64 s[6:7], 0
	v_mov_b32_e32 v102, v0
.LBB46_625:                             ; =>This Inner Loop Header: Depth=1
	scratch_load_dwordx2 v[104:105], v101, off
	ds_read_b64 v[106:107], v100
	v_add_u32_e32 v102, 1, v102
	v_cmp_lt_u32_e32 vcc, 16, v102
	v_add_u32_e32 v100, 8, v100
	v_add_u32_e32 v101, 8, v101
	s_or_b64 s[6:7], vcc, s[6:7]
	s_waitcnt vmcnt(0) lgkmcnt(0)
	v_fmac_f64_e32 v[98:99], v[104:105], v[106:107]
	s_andn2_b64 exec, exec, s[6:7]
	s_cbranch_execnz .LBB46_625
; %bb.626:
	s_or_b64 exec, exec, s[6:7]
.LBB46_627:
	s_or_b64 exec, exec, s[4:5]
	v_mov_b32_e32 v100, 0
	ds_read_b64 v[100:101], v100 offset:144
	s_waitcnt lgkmcnt(0)
	v_mul_f64 v[98:99], v[98:99], v[100:101]
	scratch_store_dwordx2 off, v[98:99], off offset:144
.LBB46_628:
	s_or_b64 exec, exec, s[2:3]
	scratch_load_dwordx2 v[98:99], off, off offset:152
	v_cmp_gt_u32_e32 vcc, 19, v0
	s_waitcnt vmcnt(0)
	ds_write_b64 v1, v[98:99]
	s_waitcnt lgkmcnt(0)
	; wave barrier
	s_and_saveexec_b64 s[2:3], vcc
	s_cbranch_execz .LBB46_638
; %bb.629:
	s_and_b64 vcc, exec, s[0:1]
	s_cbranch_vccnz .LBB46_631
; %bb.630:
	scratch_load_dwordx2 v[98:99], v11, off
	ds_read_b64 v[100:101], v1
	s_waitcnt vmcnt(0) lgkmcnt(0)
	v_mul_f64 v[98:99], v[98:99], v[100:101]
	s_cbranch_execz .LBB46_632
	s_branch .LBB46_633
.LBB46_631:
                                        ; implicit-def: $vgpr98_vgpr99
.LBB46_632:
	ds_read_b64 v[98:99], v1
.LBB46_633:
	v_cmp_ne_u32_e32 vcc, 18, v0
	s_and_saveexec_b64 s[4:5], vcc
	s_cbranch_execz .LBB46_637
; %bb.634:
	s_mov_b32 s6, 0
	v_add_u32_e32 v100, 0x188, v10
	v_add3_u32 v101, v10, s6, 8
	s_mov_b64 s[6:7], 0
	v_mov_b32_e32 v102, v0
.LBB46_635:                             ; =>This Inner Loop Header: Depth=1
	scratch_load_dwordx2 v[104:105], v101, off
	ds_read_b64 v[106:107], v100
	v_add_u32_e32 v102, 1, v102
	v_cmp_lt_u32_e32 vcc, 17, v102
	v_add_u32_e32 v100, 8, v100
	v_add_u32_e32 v101, 8, v101
	s_or_b64 s[6:7], vcc, s[6:7]
	s_waitcnt vmcnt(0) lgkmcnt(0)
	v_fmac_f64_e32 v[98:99], v[104:105], v[106:107]
	s_andn2_b64 exec, exec, s[6:7]
	s_cbranch_execnz .LBB46_635
; %bb.636:
	s_or_b64 exec, exec, s[6:7]
.LBB46_637:
	s_or_b64 exec, exec, s[4:5]
	v_mov_b32_e32 v100, 0
	ds_read_b64 v[100:101], v100 offset:152
	s_waitcnt lgkmcnt(0)
	v_mul_f64 v[98:99], v[98:99], v[100:101]
	scratch_store_dwordx2 off, v[98:99], off offset:152
.LBB46_638:
	s_or_b64 exec, exec, s[2:3]
	scratch_load_dwordx2 v[98:99], off, off offset:160
	v_cmp_gt_u32_e32 vcc, 20, v0
	s_waitcnt vmcnt(0)
	ds_write_b64 v1, v[98:99]
	s_waitcnt lgkmcnt(0)
	; wave barrier
	s_and_saveexec_b64 s[2:3], vcc
	s_cbranch_execz .LBB46_648
; %bb.639:
	s_and_b64 vcc, exec, s[0:1]
	s_cbranch_vccnz .LBB46_641
; %bb.640:
	scratch_load_dwordx2 v[98:99], v11, off
	ds_read_b64 v[100:101], v1
	s_waitcnt vmcnt(0) lgkmcnt(0)
	v_mul_f64 v[98:99], v[98:99], v[100:101]
	s_cbranch_execz .LBB46_642
	s_branch .LBB46_643
.LBB46_641:
                                        ; implicit-def: $vgpr98_vgpr99
.LBB46_642:
	ds_read_b64 v[98:99], v1
.LBB46_643:
	v_cmp_ne_u32_e32 vcc, 19, v0
	s_and_saveexec_b64 s[4:5], vcc
	s_cbranch_execz .LBB46_647
; %bb.644:
	s_mov_b32 s6, 0
	v_add_u32_e32 v100, 0x188, v10
	v_add3_u32 v101, v10, s6, 8
	s_mov_b64 s[6:7], 0
	v_mov_b32_e32 v102, v0
.LBB46_645:                             ; =>This Inner Loop Header: Depth=1
	scratch_load_dwordx2 v[104:105], v101, off
	ds_read_b64 v[106:107], v100
	v_add_u32_e32 v102, 1, v102
	v_cmp_lt_u32_e32 vcc, 18, v102
	v_add_u32_e32 v100, 8, v100
	v_add_u32_e32 v101, 8, v101
	s_or_b64 s[6:7], vcc, s[6:7]
	s_waitcnt vmcnt(0) lgkmcnt(0)
	v_fmac_f64_e32 v[98:99], v[104:105], v[106:107]
	s_andn2_b64 exec, exec, s[6:7]
	s_cbranch_execnz .LBB46_645
; %bb.646:
	s_or_b64 exec, exec, s[6:7]
.LBB46_647:
	s_or_b64 exec, exec, s[4:5]
	v_mov_b32_e32 v100, 0
	ds_read_b64 v[100:101], v100 offset:160
	s_waitcnt lgkmcnt(0)
	v_mul_f64 v[98:99], v[98:99], v[100:101]
	scratch_store_dwordx2 off, v[98:99], off offset:160
.LBB46_648:
	s_or_b64 exec, exec, s[2:3]
	scratch_load_dwordx2 v[98:99], off, off offset:168
	v_cmp_gt_u32_e32 vcc, 21, v0
	s_waitcnt vmcnt(0)
	ds_write_b64 v1, v[98:99]
	s_waitcnt lgkmcnt(0)
	; wave barrier
	s_and_saveexec_b64 s[2:3], vcc
	s_cbranch_execz .LBB46_658
; %bb.649:
	s_and_b64 vcc, exec, s[0:1]
	s_cbranch_vccnz .LBB46_651
; %bb.650:
	scratch_load_dwordx2 v[98:99], v11, off
	ds_read_b64 v[100:101], v1
	s_waitcnt vmcnt(0) lgkmcnt(0)
	v_mul_f64 v[98:99], v[98:99], v[100:101]
	s_cbranch_execz .LBB46_652
	s_branch .LBB46_653
.LBB46_651:
                                        ; implicit-def: $vgpr98_vgpr99
.LBB46_652:
	ds_read_b64 v[98:99], v1
.LBB46_653:
	v_cmp_ne_u32_e32 vcc, 20, v0
	s_and_saveexec_b64 s[4:5], vcc
	s_cbranch_execz .LBB46_657
; %bb.654:
	s_mov_b32 s6, 0
	v_add_u32_e32 v100, 0x188, v10
	v_add3_u32 v101, v10, s6, 8
	s_mov_b64 s[6:7], 0
	v_mov_b32_e32 v102, v0
.LBB46_655:                             ; =>This Inner Loop Header: Depth=1
	scratch_load_dwordx2 v[104:105], v101, off
	ds_read_b64 v[106:107], v100
	v_add_u32_e32 v102, 1, v102
	v_cmp_lt_u32_e32 vcc, 19, v102
	v_add_u32_e32 v100, 8, v100
	v_add_u32_e32 v101, 8, v101
	s_or_b64 s[6:7], vcc, s[6:7]
	s_waitcnt vmcnt(0) lgkmcnt(0)
	v_fmac_f64_e32 v[98:99], v[104:105], v[106:107]
	s_andn2_b64 exec, exec, s[6:7]
	s_cbranch_execnz .LBB46_655
; %bb.656:
	s_or_b64 exec, exec, s[6:7]
.LBB46_657:
	s_or_b64 exec, exec, s[4:5]
	v_mov_b32_e32 v100, 0
	ds_read_b64 v[100:101], v100 offset:168
	s_waitcnt lgkmcnt(0)
	v_mul_f64 v[98:99], v[98:99], v[100:101]
	scratch_store_dwordx2 off, v[98:99], off offset:168
.LBB46_658:
	s_or_b64 exec, exec, s[2:3]
	scratch_load_dwordx2 v[98:99], off, off offset:176
	v_cmp_gt_u32_e32 vcc, 22, v0
	s_waitcnt vmcnt(0)
	ds_write_b64 v1, v[98:99]
	s_waitcnt lgkmcnt(0)
	; wave barrier
	s_and_saveexec_b64 s[2:3], vcc
	s_cbranch_execz .LBB46_668
; %bb.659:
	s_and_b64 vcc, exec, s[0:1]
	s_cbranch_vccnz .LBB46_661
; %bb.660:
	scratch_load_dwordx2 v[98:99], v11, off
	ds_read_b64 v[100:101], v1
	s_waitcnt vmcnt(0) lgkmcnt(0)
	v_mul_f64 v[98:99], v[98:99], v[100:101]
	s_cbranch_execz .LBB46_662
	s_branch .LBB46_663
.LBB46_661:
                                        ; implicit-def: $vgpr98_vgpr99
.LBB46_662:
	ds_read_b64 v[98:99], v1
.LBB46_663:
	v_cmp_ne_u32_e32 vcc, 21, v0
	s_and_saveexec_b64 s[4:5], vcc
	s_cbranch_execz .LBB46_667
; %bb.664:
	s_mov_b32 s6, 0
	v_add_u32_e32 v100, 0x188, v10
	v_add3_u32 v101, v10, s6, 8
	s_mov_b64 s[6:7], 0
	v_mov_b32_e32 v102, v0
.LBB46_665:                             ; =>This Inner Loop Header: Depth=1
	scratch_load_dwordx2 v[104:105], v101, off
	ds_read_b64 v[106:107], v100
	v_add_u32_e32 v102, 1, v102
	v_cmp_lt_u32_e32 vcc, 20, v102
	v_add_u32_e32 v100, 8, v100
	v_add_u32_e32 v101, 8, v101
	s_or_b64 s[6:7], vcc, s[6:7]
	s_waitcnt vmcnt(0) lgkmcnt(0)
	v_fmac_f64_e32 v[98:99], v[104:105], v[106:107]
	s_andn2_b64 exec, exec, s[6:7]
	s_cbranch_execnz .LBB46_665
; %bb.666:
	s_or_b64 exec, exec, s[6:7]
.LBB46_667:
	s_or_b64 exec, exec, s[4:5]
	v_mov_b32_e32 v100, 0
	ds_read_b64 v[100:101], v100 offset:176
	s_waitcnt lgkmcnt(0)
	v_mul_f64 v[98:99], v[98:99], v[100:101]
	scratch_store_dwordx2 off, v[98:99], off offset:176
.LBB46_668:
	s_or_b64 exec, exec, s[2:3]
	scratch_load_dwordx2 v[98:99], off, off offset:184
	v_cmp_gt_u32_e32 vcc, 23, v0
	s_waitcnt vmcnt(0)
	ds_write_b64 v1, v[98:99]
	s_waitcnt lgkmcnt(0)
	; wave barrier
	s_and_saveexec_b64 s[2:3], vcc
	s_cbranch_execz .LBB46_678
; %bb.669:
	s_and_b64 vcc, exec, s[0:1]
	s_cbranch_vccnz .LBB46_671
; %bb.670:
	scratch_load_dwordx2 v[98:99], v11, off
	ds_read_b64 v[100:101], v1
	s_waitcnt vmcnt(0) lgkmcnt(0)
	v_mul_f64 v[98:99], v[98:99], v[100:101]
	s_cbranch_execz .LBB46_672
	s_branch .LBB46_673
.LBB46_671:
                                        ; implicit-def: $vgpr98_vgpr99
.LBB46_672:
	ds_read_b64 v[98:99], v1
.LBB46_673:
	v_cmp_ne_u32_e32 vcc, 22, v0
	s_and_saveexec_b64 s[4:5], vcc
	s_cbranch_execz .LBB46_677
; %bb.674:
	s_mov_b32 s6, 0
	v_add_u32_e32 v100, 0x188, v10
	v_add3_u32 v101, v10, s6, 8
	s_mov_b64 s[6:7], 0
	v_mov_b32_e32 v102, v0
.LBB46_675:                             ; =>This Inner Loop Header: Depth=1
	scratch_load_dwordx2 v[104:105], v101, off
	ds_read_b64 v[106:107], v100
	v_add_u32_e32 v102, 1, v102
	v_cmp_lt_u32_e32 vcc, 21, v102
	v_add_u32_e32 v100, 8, v100
	v_add_u32_e32 v101, 8, v101
	s_or_b64 s[6:7], vcc, s[6:7]
	s_waitcnt vmcnt(0) lgkmcnt(0)
	v_fmac_f64_e32 v[98:99], v[104:105], v[106:107]
	s_andn2_b64 exec, exec, s[6:7]
	s_cbranch_execnz .LBB46_675
; %bb.676:
	s_or_b64 exec, exec, s[6:7]
.LBB46_677:
	s_or_b64 exec, exec, s[4:5]
	v_mov_b32_e32 v100, 0
	ds_read_b64 v[100:101], v100 offset:184
	s_waitcnt lgkmcnt(0)
	v_mul_f64 v[98:99], v[98:99], v[100:101]
	scratch_store_dwordx2 off, v[98:99], off offset:184
.LBB46_678:
	s_or_b64 exec, exec, s[2:3]
	scratch_load_dwordx2 v[98:99], off, off offset:192
	v_cmp_gt_u32_e32 vcc, 24, v0
	s_waitcnt vmcnt(0)
	ds_write_b64 v1, v[98:99]
	s_waitcnt lgkmcnt(0)
	; wave barrier
	s_and_saveexec_b64 s[2:3], vcc
	s_cbranch_execz .LBB46_688
; %bb.679:
	s_and_b64 vcc, exec, s[0:1]
	s_cbranch_vccnz .LBB46_681
; %bb.680:
	scratch_load_dwordx2 v[98:99], v11, off
	ds_read_b64 v[100:101], v1
	s_waitcnt vmcnt(0) lgkmcnt(0)
	v_mul_f64 v[98:99], v[98:99], v[100:101]
	s_cbranch_execz .LBB46_682
	s_branch .LBB46_683
.LBB46_681:
                                        ; implicit-def: $vgpr98_vgpr99
.LBB46_682:
	ds_read_b64 v[98:99], v1
.LBB46_683:
	v_cmp_ne_u32_e32 vcc, 23, v0
	s_and_saveexec_b64 s[4:5], vcc
	s_cbranch_execz .LBB46_687
; %bb.684:
	s_mov_b32 s6, 0
	v_add_u32_e32 v100, 0x188, v10
	v_add3_u32 v101, v10, s6, 8
	s_mov_b64 s[6:7], 0
	v_mov_b32_e32 v102, v0
.LBB46_685:                             ; =>This Inner Loop Header: Depth=1
	scratch_load_dwordx2 v[104:105], v101, off
	ds_read_b64 v[106:107], v100
	v_add_u32_e32 v102, 1, v102
	v_cmp_lt_u32_e32 vcc, 22, v102
	v_add_u32_e32 v100, 8, v100
	v_add_u32_e32 v101, 8, v101
	s_or_b64 s[6:7], vcc, s[6:7]
	s_waitcnt vmcnt(0) lgkmcnt(0)
	v_fmac_f64_e32 v[98:99], v[104:105], v[106:107]
	s_andn2_b64 exec, exec, s[6:7]
	s_cbranch_execnz .LBB46_685
; %bb.686:
	s_or_b64 exec, exec, s[6:7]
.LBB46_687:
	s_or_b64 exec, exec, s[4:5]
	v_mov_b32_e32 v100, 0
	ds_read_b64 v[100:101], v100 offset:192
	s_waitcnt lgkmcnt(0)
	v_mul_f64 v[98:99], v[98:99], v[100:101]
	scratch_store_dwordx2 off, v[98:99], off offset:192
.LBB46_688:
	s_or_b64 exec, exec, s[2:3]
	scratch_load_dwordx2 v[98:99], off, off offset:200
	v_cmp_gt_u32_e32 vcc, 25, v0
	s_waitcnt vmcnt(0)
	ds_write_b64 v1, v[98:99]
	s_waitcnt lgkmcnt(0)
	; wave barrier
	s_and_saveexec_b64 s[2:3], vcc
	s_cbranch_execz .LBB46_698
; %bb.689:
	s_and_b64 vcc, exec, s[0:1]
	s_cbranch_vccnz .LBB46_691
; %bb.690:
	scratch_load_dwordx2 v[98:99], v11, off
	ds_read_b64 v[100:101], v1
	s_waitcnt vmcnt(0) lgkmcnt(0)
	v_mul_f64 v[98:99], v[98:99], v[100:101]
	s_cbranch_execz .LBB46_692
	s_branch .LBB46_693
.LBB46_691:
                                        ; implicit-def: $vgpr98_vgpr99
.LBB46_692:
	ds_read_b64 v[98:99], v1
.LBB46_693:
	v_cmp_ne_u32_e32 vcc, 24, v0
	s_and_saveexec_b64 s[4:5], vcc
	s_cbranch_execz .LBB46_697
; %bb.694:
	s_mov_b32 s6, 0
	v_add_u32_e32 v100, 0x188, v10
	v_add3_u32 v101, v10, s6, 8
	s_mov_b64 s[6:7], 0
	v_mov_b32_e32 v102, v0
.LBB46_695:                             ; =>This Inner Loop Header: Depth=1
	scratch_load_dwordx2 v[104:105], v101, off
	ds_read_b64 v[106:107], v100
	v_add_u32_e32 v102, 1, v102
	v_cmp_lt_u32_e32 vcc, 23, v102
	v_add_u32_e32 v100, 8, v100
	v_add_u32_e32 v101, 8, v101
	s_or_b64 s[6:7], vcc, s[6:7]
	s_waitcnt vmcnt(0) lgkmcnt(0)
	v_fmac_f64_e32 v[98:99], v[104:105], v[106:107]
	s_andn2_b64 exec, exec, s[6:7]
	s_cbranch_execnz .LBB46_695
; %bb.696:
	s_or_b64 exec, exec, s[6:7]
.LBB46_697:
	s_or_b64 exec, exec, s[4:5]
	v_mov_b32_e32 v100, 0
	ds_read_b64 v[100:101], v100 offset:200
	s_waitcnt lgkmcnt(0)
	v_mul_f64 v[98:99], v[98:99], v[100:101]
	scratch_store_dwordx2 off, v[98:99], off offset:200
.LBB46_698:
	s_or_b64 exec, exec, s[2:3]
	scratch_load_dwordx2 v[98:99], off, off offset:208
	v_cmp_gt_u32_e32 vcc, 26, v0
	s_waitcnt vmcnt(0)
	ds_write_b64 v1, v[98:99]
	s_waitcnt lgkmcnt(0)
	; wave barrier
	s_and_saveexec_b64 s[2:3], vcc
	s_cbranch_execz .LBB46_708
; %bb.699:
	s_and_b64 vcc, exec, s[0:1]
	s_cbranch_vccnz .LBB46_701
; %bb.700:
	scratch_load_dwordx2 v[98:99], v11, off
	ds_read_b64 v[100:101], v1
	s_waitcnt vmcnt(0) lgkmcnt(0)
	v_mul_f64 v[98:99], v[98:99], v[100:101]
	s_cbranch_execz .LBB46_702
	s_branch .LBB46_703
.LBB46_701:
                                        ; implicit-def: $vgpr98_vgpr99
.LBB46_702:
	ds_read_b64 v[98:99], v1
.LBB46_703:
	v_cmp_ne_u32_e32 vcc, 25, v0
	s_and_saveexec_b64 s[4:5], vcc
	s_cbranch_execz .LBB46_707
; %bb.704:
	s_mov_b32 s6, 0
	v_add_u32_e32 v100, 0x188, v10
	v_add3_u32 v101, v10, s6, 8
	s_mov_b64 s[6:7], 0
	v_mov_b32_e32 v102, v0
.LBB46_705:                             ; =>This Inner Loop Header: Depth=1
	scratch_load_dwordx2 v[104:105], v101, off
	ds_read_b64 v[106:107], v100
	v_add_u32_e32 v102, 1, v102
	v_cmp_lt_u32_e32 vcc, 24, v102
	v_add_u32_e32 v100, 8, v100
	v_add_u32_e32 v101, 8, v101
	s_or_b64 s[6:7], vcc, s[6:7]
	s_waitcnt vmcnt(0) lgkmcnt(0)
	v_fmac_f64_e32 v[98:99], v[104:105], v[106:107]
	s_andn2_b64 exec, exec, s[6:7]
	s_cbranch_execnz .LBB46_705
; %bb.706:
	s_or_b64 exec, exec, s[6:7]
.LBB46_707:
	s_or_b64 exec, exec, s[4:5]
	v_mov_b32_e32 v100, 0
	ds_read_b64 v[100:101], v100 offset:208
	s_waitcnt lgkmcnt(0)
	v_mul_f64 v[98:99], v[98:99], v[100:101]
	scratch_store_dwordx2 off, v[98:99], off offset:208
.LBB46_708:
	s_or_b64 exec, exec, s[2:3]
	scratch_load_dwordx2 v[98:99], off, off offset:216
	v_cmp_gt_u32_e32 vcc, 27, v0
	s_waitcnt vmcnt(0)
	ds_write_b64 v1, v[98:99]
	s_waitcnt lgkmcnt(0)
	; wave barrier
	s_and_saveexec_b64 s[2:3], vcc
	s_cbranch_execz .LBB46_718
; %bb.709:
	s_and_b64 vcc, exec, s[0:1]
	s_cbranch_vccnz .LBB46_711
; %bb.710:
	scratch_load_dwordx2 v[98:99], v11, off
	ds_read_b64 v[100:101], v1
	s_waitcnt vmcnt(0) lgkmcnt(0)
	v_mul_f64 v[98:99], v[98:99], v[100:101]
	s_cbranch_execz .LBB46_712
	s_branch .LBB46_713
.LBB46_711:
                                        ; implicit-def: $vgpr98_vgpr99
.LBB46_712:
	ds_read_b64 v[98:99], v1
.LBB46_713:
	v_cmp_ne_u32_e32 vcc, 26, v0
	s_and_saveexec_b64 s[4:5], vcc
	s_cbranch_execz .LBB46_717
; %bb.714:
	s_mov_b32 s6, 0
	v_add_u32_e32 v100, 0x188, v10
	v_add3_u32 v101, v10, s6, 8
	s_mov_b64 s[6:7], 0
	v_mov_b32_e32 v102, v0
.LBB46_715:                             ; =>This Inner Loop Header: Depth=1
	scratch_load_dwordx2 v[104:105], v101, off
	ds_read_b64 v[106:107], v100
	v_add_u32_e32 v102, 1, v102
	v_cmp_lt_u32_e32 vcc, 25, v102
	v_add_u32_e32 v100, 8, v100
	v_add_u32_e32 v101, 8, v101
	s_or_b64 s[6:7], vcc, s[6:7]
	s_waitcnt vmcnt(0) lgkmcnt(0)
	v_fmac_f64_e32 v[98:99], v[104:105], v[106:107]
	s_andn2_b64 exec, exec, s[6:7]
	s_cbranch_execnz .LBB46_715
; %bb.716:
	s_or_b64 exec, exec, s[6:7]
.LBB46_717:
	s_or_b64 exec, exec, s[4:5]
	v_mov_b32_e32 v100, 0
	ds_read_b64 v[100:101], v100 offset:216
	s_waitcnt lgkmcnt(0)
	v_mul_f64 v[98:99], v[98:99], v[100:101]
	scratch_store_dwordx2 off, v[98:99], off offset:216
.LBB46_718:
	s_or_b64 exec, exec, s[2:3]
	scratch_load_dwordx2 v[98:99], off, off offset:224
	v_cmp_gt_u32_e32 vcc, 28, v0
	s_waitcnt vmcnt(0)
	ds_write_b64 v1, v[98:99]
	s_waitcnt lgkmcnt(0)
	; wave barrier
	s_and_saveexec_b64 s[2:3], vcc
	s_cbranch_execz .LBB46_728
; %bb.719:
	s_and_b64 vcc, exec, s[0:1]
	s_cbranch_vccnz .LBB46_721
; %bb.720:
	scratch_load_dwordx2 v[98:99], v11, off
	ds_read_b64 v[100:101], v1
	s_waitcnt vmcnt(0) lgkmcnt(0)
	v_mul_f64 v[98:99], v[98:99], v[100:101]
	s_cbranch_execz .LBB46_722
	s_branch .LBB46_723
.LBB46_721:
                                        ; implicit-def: $vgpr98_vgpr99
.LBB46_722:
	ds_read_b64 v[98:99], v1
.LBB46_723:
	v_cmp_ne_u32_e32 vcc, 27, v0
	s_and_saveexec_b64 s[4:5], vcc
	s_cbranch_execz .LBB46_727
; %bb.724:
	s_mov_b32 s6, 0
	v_add_u32_e32 v100, 0x188, v10
	v_add3_u32 v101, v10, s6, 8
	s_mov_b64 s[6:7], 0
	v_mov_b32_e32 v102, v0
.LBB46_725:                             ; =>This Inner Loop Header: Depth=1
	scratch_load_dwordx2 v[104:105], v101, off
	ds_read_b64 v[106:107], v100
	v_add_u32_e32 v102, 1, v102
	v_cmp_lt_u32_e32 vcc, 26, v102
	v_add_u32_e32 v100, 8, v100
	v_add_u32_e32 v101, 8, v101
	s_or_b64 s[6:7], vcc, s[6:7]
	s_waitcnt vmcnt(0) lgkmcnt(0)
	v_fmac_f64_e32 v[98:99], v[104:105], v[106:107]
	s_andn2_b64 exec, exec, s[6:7]
	s_cbranch_execnz .LBB46_725
; %bb.726:
	s_or_b64 exec, exec, s[6:7]
.LBB46_727:
	s_or_b64 exec, exec, s[4:5]
	v_mov_b32_e32 v100, 0
	ds_read_b64 v[100:101], v100 offset:224
	s_waitcnt lgkmcnt(0)
	v_mul_f64 v[98:99], v[98:99], v[100:101]
	scratch_store_dwordx2 off, v[98:99], off offset:224
.LBB46_728:
	s_or_b64 exec, exec, s[2:3]
	scratch_load_dwordx2 v[98:99], off, off offset:232
	v_cmp_gt_u32_e32 vcc, 29, v0
	s_waitcnt vmcnt(0)
	ds_write_b64 v1, v[98:99]
	s_waitcnt lgkmcnt(0)
	; wave barrier
	s_and_saveexec_b64 s[2:3], vcc
	s_cbranch_execz .LBB46_738
; %bb.729:
	s_and_b64 vcc, exec, s[0:1]
	s_cbranch_vccnz .LBB46_731
; %bb.730:
	scratch_load_dwordx2 v[98:99], v11, off
	ds_read_b64 v[100:101], v1
	s_waitcnt vmcnt(0) lgkmcnt(0)
	v_mul_f64 v[98:99], v[98:99], v[100:101]
	s_cbranch_execz .LBB46_732
	s_branch .LBB46_733
.LBB46_731:
                                        ; implicit-def: $vgpr98_vgpr99
.LBB46_732:
	ds_read_b64 v[98:99], v1
.LBB46_733:
	v_cmp_ne_u32_e32 vcc, 28, v0
	s_and_saveexec_b64 s[4:5], vcc
	s_cbranch_execz .LBB46_737
; %bb.734:
	s_mov_b32 s6, 0
	v_add_u32_e32 v100, 0x188, v10
	v_add3_u32 v101, v10, s6, 8
	s_mov_b64 s[6:7], 0
	v_mov_b32_e32 v102, v0
.LBB46_735:                             ; =>This Inner Loop Header: Depth=1
	scratch_load_dwordx2 v[104:105], v101, off
	ds_read_b64 v[106:107], v100
	v_add_u32_e32 v102, 1, v102
	v_cmp_lt_u32_e32 vcc, 27, v102
	v_add_u32_e32 v100, 8, v100
	v_add_u32_e32 v101, 8, v101
	s_or_b64 s[6:7], vcc, s[6:7]
	s_waitcnt vmcnt(0) lgkmcnt(0)
	v_fmac_f64_e32 v[98:99], v[104:105], v[106:107]
	s_andn2_b64 exec, exec, s[6:7]
	s_cbranch_execnz .LBB46_735
; %bb.736:
	s_or_b64 exec, exec, s[6:7]
.LBB46_737:
	s_or_b64 exec, exec, s[4:5]
	v_mov_b32_e32 v100, 0
	ds_read_b64 v[100:101], v100 offset:232
	s_waitcnt lgkmcnt(0)
	v_mul_f64 v[98:99], v[98:99], v[100:101]
	scratch_store_dwordx2 off, v[98:99], off offset:232
.LBB46_738:
	s_or_b64 exec, exec, s[2:3]
	scratch_load_dwordx2 v[98:99], off, off offset:240
	v_cmp_gt_u32_e32 vcc, 30, v0
	s_waitcnt vmcnt(0)
	ds_write_b64 v1, v[98:99]
	s_waitcnt lgkmcnt(0)
	; wave barrier
	s_and_saveexec_b64 s[2:3], vcc
	s_cbranch_execz .LBB46_748
; %bb.739:
	s_and_b64 vcc, exec, s[0:1]
	s_cbranch_vccnz .LBB46_741
; %bb.740:
	scratch_load_dwordx2 v[98:99], v11, off
	ds_read_b64 v[100:101], v1
	s_waitcnt vmcnt(0) lgkmcnt(0)
	v_mul_f64 v[98:99], v[98:99], v[100:101]
	s_cbranch_execz .LBB46_742
	s_branch .LBB46_743
.LBB46_741:
                                        ; implicit-def: $vgpr98_vgpr99
.LBB46_742:
	ds_read_b64 v[98:99], v1
.LBB46_743:
	v_cmp_ne_u32_e32 vcc, 29, v0
	s_and_saveexec_b64 s[4:5], vcc
	s_cbranch_execz .LBB46_747
; %bb.744:
	s_mov_b32 s6, 0
	v_add_u32_e32 v100, 0x188, v10
	v_add3_u32 v101, v10, s6, 8
	s_mov_b64 s[6:7], 0
	v_mov_b32_e32 v102, v0
.LBB46_745:                             ; =>This Inner Loop Header: Depth=1
	scratch_load_dwordx2 v[104:105], v101, off
	ds_read_b64 v[106:107], v100
	v_add_u32_e32 v102, 1, v102
	v_cmp_lt_u32_e32 vcc, 28, v102
	v_add_u32_e32 v100, 8, v100
	v_add_u32_e32 v101, 8, v101
	s_or_b64 s[6:7], vcc, s[6:7]
	s_waitcnt vmcnt(0) lgkmcnt(0)
	v_fmac_f64_e32 v[98:99], v[104:105], v[106:107]
	s_andn2_b64 exec, exec, s[6:7]
	s_cbranch_execnz .LBB46_745
; %bb.746:
	s_or_b64 exec, exec, s[6:7]
.LBB46_747:
	s_or_b64 exec, exec, s[4:5]
	v_mov_b32_e32 v100, 0
	ds_read_b64 v[100:101], v100 offset:240
	s_waitcnt lgkmcnt(0)
	v_mul_f64 v[98:99], v[98:99], v[100:101]
	scratch_store_dwordx2 off, v[98:99], off offset:240
.LBB46_748:
	s_or_b64 exec, exec, s[2:3]
	scratch_load_dwordx2 v[98:99], off, off offset:248
	v_cmp_gt_u32_e32 vcc, 31, v0
	s_waitcnt vmcnt(0)
	ds_write_b64 v1, v[98:99]
	s_waitcnt lgkmcnt(0)
	; wave barrier
	s_and_saveexec_b64 s[2:3], vcc
	s_cbranch_execz .LBB46_758
; %bb.749:
	s_and_b64 vcc, exec, s[0:1]
	s_cbranch_vccnz .LBB46_751
; %bb.750:
	scratch_load_dwordx2 v[98:99], v11, off
	ds_read_b64 v[100:101], v1
	s_waitcnt vmcnt(0) lgkmcnt(0)
	v_mul_f64 v[98:99], v[98:99], v[100:101]
	s_cbranch_execz .LBB46_752
	s_branch .LBB46_753
.LBB46_751:
                                        ; implicit-def: $vgpr98_vgpr99
.LBB46_752:
	ds_read_b64 v[98:99], v1
.LBB46_753:
	v_cmp_ne_u32_e32 vcc, 30, v0
	s_and_saveexec_b64 s[4:5], vcc
	s_cbranch_execz .LBB46_757
; %bb.754:
	s_mov_b32 s6, 0
	v_add_u32_e32 v100, 0x188, v10
	v_add3_u32 v101, v10, s6, 8
	s_mov_b64 s[6:7], 0
	v_mov_b32_e32 v102, v0
.LBB46_755:                             ; =>This Inner Loop Header: Depth=1
	scratch_load_dwordx2 v[104:105], v101, off
	ds_read_b64 v[106:107], v100
	v_add_u32_e32 v102, 1, v102
	v_cmp_lt_u32_e32 vcc, 29, v102
	v_add_u32_e32 v100, 8, v100
	v_add_u32_e32 v101, 8, v101
	s_or_b64 s[6:7], vcc, s[6:7]
	s_waitcnt vmcnt(0) lgkmcnt(0)
	v_fmac_f64_e32 v[98:99], v[104:105], v[106:107]
	s_andn2_b64 exec, exec, s[6:7]
	s_cbranch_execnz .LBB46_755
; %bb.756:
	s_or_b64 exec, exec, s[6:7]
.LBB46_757:
	s_or_b64 exec, exec, s[4:5]
	v_mov_b32_e32 v100, 0
	ds_read_b64 v[100:101], v100 offset:248
	s_waitcnt lgkmcnt(0)
	v_mul_f64 v[98:99], v[98:99], v[100:101]
	scratch_store_dwordx2 off, v[98:99], off offset:248
.LBB46_758:
	s_or_b64 exec, exec, s[2:3]
	scratch_load_dwordx2 v[98:99], off, off offset:256
	v_cmp_gt_u32_e32 vcc, 32, v0
	s_waitcnt vmcnt(0)
	ds_write_b64 v1, v[98:99]
	s_waitcnt lgkmcnt(0)
	; wave barrier
	s_and_saveexec_b64 s[2:3], vcc
	s_cbranch_execz .LBB46_768
; %bb.759:
	s_and_b64 vcc, exec, s[0:1]
	s_cbranch_vccnz .LBB46_761
; %bb.760:
	scratch_load_dwordx2 v[98:99], v11, off
	ds_read_b64 v[100:101], v1
	s_waitcnt vmcnt(0) lgkmcnt(0)
	v_mul_f64 v[98:99], v[98:99], v[100:101]
	s_cbranch_execz .LBB46_762
	s_branch .LBB46_763
.LBB46_761:
                                        ; implicit-def: $vgpr98_vgpr99
.LBB46_762:
	ds_read_b64 v[98:99], v1
.LBB46_763:
	v_cmp_ne_u32_e32 vcc, 31, v0
	s_and_saveexec_b64 s[4:5], vcc
	s_cbranch_execz .LBB46_767
; %bb.764:
	s_mov_b32 s6, 0
	v_add_u32_e32 v100, 0x188, v10
	v_add3_u32 v101, v10, s6, 8
	s_mov_b64 s[6:7], 0
	v_mov_b32_e32 v102, v0
.LBB46_765:                             ; =>This Inner Loop Header: Depth=1
	scratch_load_dwordx2 v[104:105], v101, off
	ds_read_b64 v[106:107], v100
	v_add_u32_e32 v102, 1, v102
	v_cmp_lt_u32_e32 vcc, 30, v102
	v_add_u32_e32 v100, 8, v100
	v_add_u32_e32 v101, 8, v101
	s_or_b64 s[6:7], vcc, s[6:7]
	s_waitcnt vmcnt(0) lgkmcnt(0)
	v_fmac_f64_e32 v[98:99], v[104:105], v[106:107]
	s_andn2_b64 exec, exec, s[6:7]
	s_cbranch_execnz .LBB46_765
; %bb.766:
	s_or_b64 exec, exec, s[6:7]
.LBB46_767:
	s_or_b64 exec, exec, s[4:5]
	v_mov_b32_e32 v100, 0
	ds_read_b64 v[100:101], v100 offset:256
	s_waitcnt lgkmcnt(0)
	v_mul_f64 v[98:99], v[98:99], v[100:101]
	scratch_store_dwordx2 off, v[98:99], off offset:256
.LBB46_768:
	s_or_b64 exec, exec, s[2:3]
	scratch_load_dwordx2 v[98:99], off, off offset:264
	v_cmp_gt_u32_e32 vcc, 33, v0
	s_waitcnt vmcnt(0)
	ds_write_b64 v1, v[98:99]
	s_waitcnt lgkmcnt(0)
	; wave barrier
	s_and_saveexec_b64 s[2:3], vcc
	s_cbranch_execz .LBB46_778
; %bb.769:
	s_and_b64 vcc, exec, s[0:1]
	s_cbranch_vccnz .LBB46_771
; %bb.770:
	scratch_load_dwordx2 v[98:99], v11, off
	ds_read_b64 v[100:101], v1
	s_waitcnt vmcnt(0) lgkmcnt(0)
	v_mul_f64 v[98:99], v[98:99], v[100:101]
	s_cbranch_execz .LBB46_772
	s_branch .LBB46_773
.LBB46_771:
                                        ; implicit-def: $vgpr98_vgpr99
.LBB46_772:
	ds_read_b64 v[98:99], v1
.LBB46_773:
	v_cmp_ne_u32_e32 vcc, 32, v0
	s_and_saveexec_b64 s[4:5], vcc
	s_cbranch_execz .LBB46_777
; %bb.774:
	s_mov_b32 s6, 0
	v_add_u32_e32 v100, 0x188, v10
	v_add3_u32 v101, v10, s6, 8
	s_mov_b64 s[6:7], 0
	v_mov_b32_e32 v102, v0
.LBB46_775:                             ; =>This Inner Loop Header: Depth=1
	scratch_load_dwordx2 v[104:105], v101, off
	ds_read_b64 v[106:107], v100
	v_add_u32_e32 v102, 1, v102
	v_cmp_lt_u32_e32 vcc, 31, v102
	v_add_u32_e32 v100, 8, v100
	v_add_u32_e32 v101, 8, v101
	s_or_b64 s[6:7], vcc, s[6:7]
	s_waitcnt vmcnt(0) lgkmcnt(0)
	v_fmac_f64_e32 v[98:99], v[104:105], v[106:107]
	s_andn2_b64 exec, exec, s[6:7]
	s_cbranch_execnz .LBB46_775
; %bb.776:
	s_or_b64 exec, exec, s[6:7]
.LBB46_777:
	s_or_b64 exec, exec, s[4:5]
	v_mov_b32_e32 v100, 0
	ds_read_b64 v[100:101], v100 offset:264
	s_waitcnt lgkmcnt(0)
	v_mul_f64 v[98:99], v[98:99], v[100:101]
	scratch_store_dwordx2 off, v[98:99], off offset:264
.LBB46_778:
	s_or_b64 exec, exec, s[2:3]
	scratch_load_dwordx2 v[98:99], off, off offset:272
	v_cmp_gt_u32_e32 vcc, 34, v0
	s_waitcnt vmcnt(0)
	ds_write_b64 v1, v[98:99]
	s_waitcnt lgkmcnt(0)
	; wave barrier
	s_and_saveexec_b64 s[2:3], vcc
	s_cbranch_execz .LBB46_788
; %bb.779:
	s_and_b64 vcc, exec, s[0:1]
	s_cbranch_vccnz .LBB46_781
; %bb.780:
	scratch_load_dwordx2 v[98:99], v11, off
	ds_read_b64 v[100:101], v1
	s_waitcnt vmcnt(0) lgkmcnt(0)
	v_mul_f64 v[98:99], v[98:99], v[100:101]
	s_cbranch_execz .LBB46_782
	s_branch .LBB46_783
.LBB46_781:
                                        ; implicit-def: $vgpr98_vgpr99
.LBB46_782:
	ds_read_b64 v[98:99], v1
.LBB46_783:
	v_cmp_ne_u32_e32 vcc, 33, v0
	s_and_saveexec_b64 s[4:5], vcc
	s_cbranch_execz .LBB46_787
; %bb.784:
	s_mov_b32 s6, 0
	v_add_u32_e32 v100, 0x188, v10
	v_add3_u32 v101, v10, s6, 8
	s_mov_b64 s[6:7], 0
	v_mov_b32_e32 v102, v0
.LBB46_785:                             ; =>This Inner Loop Header: Depth=1
	scratch_load_dwordx2 v[104:105], v101, off
	ds_read_b64 v[106:107], v100
	v_add_u32_e32 v102, 1, v102
	v_cmp_lt_u32_e32 vcc, 32, v102
	v_add_u32_e32 v100, 8, v100
	v_add_u32_e32 v101, 8, v101
	s_or_b64 s[6:7], vcc, s[6:7]
	s_waitcnt vmcnt(0) lgkmcnt(0)
	v_fmac_f64_e32 v[98:99], v[104:105], v[106:107]
	s_andn2_b64 exec, exec, s[6:7]
	s_cbranch_execnz .LBB46_785
; %bb.786:
	s_or_b64 exec, exec, s[6:7]
.LBB46_787:
	s_or_b64 exec, exec, s[4:5]
	v_mov_b32_e32 v100, 0
	ds_read_b64 v[100:101], v100 offset:272
	s_waitcnt lgkmcnt(0)
	v_mul_f64 v[98:99], v[98:99], v[100:101]
	scratch_store_dwordx2 off, v[98:99], off offset:272
.LBB46_788:
	s_or_b64 exec, exec, s[2:3]
	scratch_load_dwordx2 v[98:99], off, off offset:280
	v_cmp_gt_u32_e32 vcc, 35, v0
	s_waitcnt vmcnt(0)
	ds_write_b64 v1, v[98:99]
	s_waitcnt lgkmcnt(0)
	; wave barrier
	s_and_saveexec_b64 s[2:3], vcc
	s_cbranch_execz .LBB46_798
; %bb.789:
	s_and_b64 vcc, exec, s[0:1]
	s_cbranch_vccnz .LBB46_791
; %bb.790:
	scratch_load_dwordx2 v[98:99], v11, off
	ds_read_b64 v[100:101], v1
	s_waitcnt vmcnt(0) lgkmcnt(0)
	v_mul_f64 v[98:99], v[98:99], v[100:101]
	s_cbranch_execz .LBB46_792
	s_branch .LBB46_793
.LBB46_791:
                                        ; implicit-def: $vgpr98_vgpr99
.LBB46_792:
	ds_read_b64 v[98:99], v1
.LBB46_793:
	v_cmp_ne_u32_e32 vcc, 34, v0
	s_and_saveexec_b64 s[4:5], vcc
	s_cbranch_execz .LBB46_797
; %bb.794:
	s_mov_b32 s6, 0
	v_add_u32_e32 v100, 0x188, v10
	v_add3_u32 v101, v10, s6, 8
	s_mov_b64 s[6:7], 0
	v_mov_b32_e32 v102, v0
.LBB46_795:                             ; =>This Inner Loop Header: Depth=1
	scratch_load_dwordx2 v[104:105], v101, off
	ds_read_b64 v[106:107], v100
	v_add_u32_e32 v102, 1, v102
	v_cmp_lt_u32_e32 vcc, 33, v102
	v_add_u32_e32 v100, 8, v100
	v_add_u32_e32 v101, 8, v101
	s_or_b64 s[6:7], vcc, s[6:7]
	s_waitcnt vmcnt(0) lgkmcnt(0)
	v_fmac_f64_e32 v[98:99], v[104:105], v[106:107]
	s_andn2_b64 exec, exec, s[6:7]
	s_cbranch_execnz .LBB46_795
; %bb.796:
	s_or_b64 exec, exec, s[6:7]
.LBB46_797:
	s_or_b64 exec, exec, s[4:5]
	v_mov_b32_e32 v100, 0
	ds_read_b64 v[100:101], v100 offset:280
	s_waitcnt lgkmcnt(0)
	v_mul_f64 v[98:99], v[98:99], v[100:101]
	scratch_store_dwordx2 off, v[98:99], off offset:280
.LBB46_798:
	s_or_b64 exec, exec, s[2:3]
	scratch_load_dwordx2 v[98:99], off, off offset:288
	v_cmp_gt_u32_e32 vcc, 36, v0
	s_waitcnt vmcnt(0)
	ds_write_b64 v1, v[98:99]
	s_waitcnt lgkmcnt(0)
	; wave barrier
	s_and_saveexec_b64 s[2:3], vcc
	s_cbranch_execz .LBB46_808
; %bb.799:
	s_and_b64 vcc, exec, s[0:1]
	s_cbranch_vccnz .LBB46_801
; %bb.800:
	scratch_load_dwordx2 v[98:99], v11, off
	ds_read_b64 v[100:101], v1
	s_waitcnt vmcnt(0) lgkmcnt(0)
	v_mul_f64 v[98:99], v[98:99], v[100:101]
	s_cbranch_execz .LBB46_802
	s_branch .LBB46_803
.LBB46_801:
                                        ; implicit-def: $vgpr98_vgpr99
.LBB46_802:
	ds_read_b64 v[98:99], v1
.LBB46_803:
	v_cmp_ne_u32_e32 vcc, 35, v0
	s_and_saveexec_b64 s[4:5], vcc
	s_cbranch_execz .LBB46_807
; %bb.804:
	s_mov_b32 s6, 0
	v_add_u32_e32 v100, 0x188, v10
	v_add3_u32 v101, v10, s6, 8
	s_mov_b64 s[6:7], 0
	v_mov_b32_e32 v102, v0
.LBB46_805:                             ; =>This Inner Loop Header: Depth=1
	scratch_load_dwordx2 v[104:105], v101, off
	ds_read_b64 v[106:107], v100
	v_add_u32_e32 v102, 1, v102
	v_cmp_lt_u32_e32 vcc, 34, v102
	v_add_u32_e32 v100, 8, v100
	v_add_u32_e32 v101, 8, v101
	s_or_b64 s[6:7], vcc, s[6:7]
	s_waitcnt vmcnt(0) lgkmcnt(0)
	v_fmac_f64_e32 v[98:99], v[104:105], v[106:107]
	s_andn2_b64 exec, exec, s[6:7]
	s_cbranch_execnz .LBB46_805
; %bb.806:
	s_or_b64 exec, exec, s[6:7]
.LBB46_807:
	s_or_b64 exec, exec, s[4:5]
	v_mov_b32_e32 v100, 0
	ds_read_b64 v[100:101], v100 offset:288
	s_waitcnt lgkmcnt(0)
	v_mul_f64 v[98:99], v[98:99], v[100:101]
	scratch_store_dwordx2 off, v[98:99], off offset:288
.LBB46_808:
	s_or_b64 exec, exec, s[2:3]
	scratch_load_dwordx2 v[98:99], off, off offset:296
	v_cmp_gt_u32_e32 vcc, 37, v0
	s_waitcnt vmcnt(0)
	ds_write_b64 v1, v[98:99]
	s_waitcnt lgkmcnt(0)
	; wave barrier
	s_and_saveexec_b64 s[2:3], vcc
	s_cbranch_execz .LBB46_818
; %bb.809:
	s_and_b64 vcc, exec, s[0:1]
	s_cbranch_vccnz .LBB46_811
; %bb.810:
	scratch_load_dwordx2 v[98:99], v11, off
	ds_read_b64 v[100:101], v1
	s_waitcnt vmcnt(0) lgkmcnt(0)
	v_mul_f64 v[98:99], v[98:99], v[100:101]
	s_cbranch_execz .LBB46_812
	s_branch .LBB46_813
.LBB46_811:
                                        ; implicit-def: $vgpr98_vgpr99
.LBB46_812:
	ds_read_b64 v[98:99], v1
.LBB46_813:
	v_cmp_ne_u32_e32 vcc, 36, v0
	s_and_saveexec_b64 s[4:5], vcc
	s_cbranch_execz .LBB46_817
; %bb.814:
	s_mov_b32 s6, 0
	v_add_u32_e32 v100, 0x188, v10
	v_add3_u32 v101, v10, s6, 8
	s_mov_b64 s[6:7], 0
	v_mov_b32_e32 v102, v0
.LBB46_815:                             ; =>This Inner Loop Header: Depth=1
	scratch_load_dwordx2 v[104:105], v101, off
	ds_read_b64 v[106:107], v100
	v_add_u32_e32 v102, 1, v102
	v_cmp_lt_u32_e32 vcc, 35, v102
	v_add_u32_e32 v100, 8, v100
	v_add_u32_e32 v101, 8, v101
	s_or_b64 s[6:7], vcc, s[6:7]
	s_waitcnt vmcnt(0) lgkmcnt(0)
	v_fmac_f64_e32 v[98:99], v[104:105], v[106:107]
	s_andn2_b64 exec, exec, s[6:7]
	s_cbranch_execnz .LBB46_815
; %bb.816:
	s_or_b64 exec, exec, s[6:7]
.LBB46_817:
	s_or_b64 exec, exec, s[4:5]
	v_mov_b32_e32 v100, 0
	ds_read_b64 v[100:101], v100 offset:296
	s_waitcnt lgkmcnt(0)
	v_mul_f64 v[98:99], v[98:99], v[100:101]
	scratch_store_dwordx2 off, v[98:99], off offset:296
.LBB46_818:
	s_or_b64 exec, exec, s[2:3]
	scratch_load_dwordx2 v[98:99], off, off offset:304
	v_cmp_gt_u32_e32 vcc, 38, v0
	s_waitcnt vmcnt(0)
	ds_write_b64 v1, v[98:99]
	s_waitcnt lgkmcnt(0)
	; wave barrier
	s_and_saveexec_b64 s[2:3], vcc
	s_cbranch_execz .LBB46_828
; %bb.819:
	s_and_b64 vcc, exec, s[0:1]
	s_cbranch_vccnz .LBB46_821
; %bb.820:
	scratch_load_dwordx2 v[98:99], v11, off
	ds_read_b64 v[100:101], v1
	s_waitcnt vmcnt(0) lgkmcnt(0)
	v_mul_f64 v[98:99], v[98:99], v[100:101]
	s_cbranch_execz .LBB46_822
	s_branch .LBB46_823
.LBB46_821:
                                        ; implicit-def: $vgpr98_vgpr99
.LBB46_822:
	ds_read_b64 v[98:99], v1
.LBB46_823:
	v_cmp_ne_u32_e32 vcc, 37, v0
	s_and_saveexec_b64 s[4:5], vcc
	s_cbranch_execz .LBB46_827
; %bb.824:
	s_mov_b32 s6, 0
	v_add_u32_e32 v100, 0x188, v10
	v_add3_u32 v101, v10, s6, 8
	s_mov_b64 s[6:7], 0
	v_mov_b32_e32 v102, v0
.LBB46_825:                             ; =>This Inner Loop Header: Depth=1
	scratch_load_dwordx2 v[104:105], v101, off
	ds_read_b64 v[106:107], v100
	v_add_u32_e32 v102, 1, v102
	v_cmp_lt_u32_e32 vcc, 36, v102
	v_add_u32_e32 v100, 8, v100
	v_add_u32_e32 v101, 8, v101
	s_or_b64 s[6:7], vcc, s[6:7]
	s_waitcnt vmcnt(0) lgkmcnt(0)
	v_fmac_f64_e32 v[98:99], v[104:105], v[106:107]
	s_andn2_b64 exec, exec, s[6:7]
	s_cbranch_execnz .LBB46_825
; %bb.826:
	s_or_b64 exec, exec, s[6:7]
.LBB46_827:
	s_or_b64 exec, exec, s[4:5]
	v_mov_b32_e32 v100, 0
	ds_read_b64 v[100:101], v100 offset:304
	s_waitcnt lgkmcnt(0)
	v_mul_f64 v[98:99], v[98:99], v[100:101]
	scratch_store_dwordx2 off, v[98:99], off offset:304
.LBB46_828:
	s_or_b64 exec, exec, s[2:3]
	scratch_load_dwordx2 v[98:99], off, off offset:312
	v_cmp_gt_u32_e32 vcc, 39, v0
	s_waitcnt vmcnt(0)
	ds_write_b64 v1, v[98:99]
	s_waitcnt lgkmcnt(0)
	; wave barrier
	s_and_saveexec_b64 s[2:3], vcc
	s_cbranch_execz .LBB46_838
; %bb.829:
	s_and_b64 vcc, exec, s[0:1]
	s_cbranch_vccnz .LBB46_831
; %bb.830:
	scratch_load_dwordx2 v[98:99], v11, off
	ds_read_b64 v[100:101], v1
	s_waitcnt vmcnt(0) lgkmcnt(0)
	v_mul_f64 v[98:99], v[98:99], v[100:101]
	s_cbranch_execz .LBB46_832
	s_branch .LBB46_833
.LBB46_831:
                                        ; implicit-def: $vgpr98_vgpr99
.LBB46_832:
	ds_read_b64 v[98:99], v1
.LBB46_833:
	v_cmp_ne_u32_e32 vcc, 38, v0
	s_and_saveexec_b64 s[4:5], vcc
	s_cbranch_execz .LBB46_837
; %bb.834:
	s_mov_b32 s6, 0
	v_add_u32_e32 v100, 0x188, v10
	v_add3_u32 v101, v10, s6, 8
	s_mov_b64 s[6:7], 0
	v_mov_b32_e32 v102, v0
.LBB46_835:                             ; =>This Inner Loop Header: Depth=1
	scratch_load_dwordx2 v[104:105], v101, off
	ds_read_b64 v[106:107], v100
	v_add_u32_e32 v102, 1, v102
	v_cmp_lt_u32_e32 vcc, 37, v102
	v_add_u32_e32 v100, 8, v100
	v_add_u32_e32 v101, 8, v101
	s_or_b64 s[6:7], vcc, s[6:7]
	s_waitcnt vmcnt(0) lgkmcnt(0)
	v_fmac_f64_e32 v[98:99], v[104:105], v[106:107]
	s_andn2_b64 exec, exec, s[6:7]
	s_cbranch_execnz .LBB46_835
; %bb.836:
	s_or_b64 exec, exec, s[6:7]
.LBB46_837:
	s_or_b64 exec, exec, s[4:5]
	v_mov_b32_e32 v100, 0
	ds_read_b64 v[100:101], v100 offset:312
	s_waitcnt lgkmcnt(0)
	v_mul_f64 v[98:99], v[98:99], v[100:101]
	scratch_store_dwordx2 off, v[98:99], off offset:312
.LBB46_838:
	s_or_b64 exec, exec, s[2:3]
	scratch_load_dwordx2 v[98:99], off, off offset:320
	v_cmp_gt_u32_e32 vcc, 40, v0
	s_waitcnt vmcnt(0)
	ds_write_b64 v1, v[98:99]
	s_waitcnt lgkmcnt(0)
	; wave barrier
	s_and_saveexec_b64 s[2:3], vcc
	s_cbranch_execz .LBB46_848
; %bb.839:
	s_and_b64 vcc, exec, s[0:1]
	s_cbranch_vccnz .LBB46_841
; %bb.840:
	scratch_load_dwordx2 v[98:99], v11, off
	ds_read_b64 v[100:101], v1
	s_waitcnt vmcnt(0) lgkmcnt(0)
	v_mul_f64 v[98:99], v[98:99], v[100:101]
	s_cbranch_execz .LBB46_842
	s_branch .LBB46_843
.LBB46_841:
                                        ; implicit-def: $vgpr98_vgpr99
.LBB46_842:
	ds_read_b64 v[98:99], v1
.LBB46_843:
	v_cmp_ne_u32_e32 vcc, 39, v0
	s_and_saveexec_b64 s[4:5], vcc
	s_cbranch_execz .LBB46_847
; %bb.844:
	s_mov_b32 s6, 0
	v_add_u32_e32 v100, 0x188, v10
	v_add3_u32 v101, v10, s6, 8
	s_mov_b64 s[6:7], 0
	v_mov_b32_e32 v102, v0
.LBB46_845:                             ; =>This Inner Loop Header: Depth=1
	scratch_load_dwordx2 v[104:105], v101, off
	ds_read_b64 v[106:107], v100
	v_add_u32_e32 v102, 1, v102
	v_cmp_lt_u32_e32 vcc, 38, v102
	v_add_u32_e32 v100, 8, v100
	v_add_u32_e32 v101, 8, v101
	s_or_b64 s[6:7], vcc, s[6:7]
	s_waitcnt vmcnt(0) lgkmcnt(0)
	v_fmac_f64_e32 v[98:99], v[104:105], v[106:107]
	s_andn2_b64 exec, exec, s[6:7]
	s_cbranch_execnz .LBB46_845
; %bb.846:
	s_or_b64 exec, exec, s[6:7]
.LBB46_847:
	s_or_b64 exec, exec, s[4:5]
	v_mov_b32_e32 v100, 0
	ds_read_b64 v[100:101], v100 offset:320
	s_waitcnt lgkmcnt(0)
	v_mul_f64 v[98:99], v[98:99], v[100:101]
	scratch_store_dwordx2 off, v[98:99], off offset:320
.LBB46_848:
	s_or_b64 exec, exec, s[2:3]
	scratch_load_dwordx2 v[98:99], off, off offset:328
	v_cmp_gt_u32_e32 vcc, 41, v0
	s_waitcnt vmcnt(0)
	ds_write_b64 v1, v[98:99]
	s_waitcnt lgkmcnt(0)
	; wave barrier
	s_and_saveexec_b64 s[2:3], vcc
	s_cbranch_execz .LBB46_858
; %bb.849:
	s_and_b64 vcc, exec, s[0:1]
	s_cbranch_vccnz .LBB46_851
; %bb.850:
	scratch_load_dwordx2 v[98:99], v11, off
	ds_read_b64 v[100:101], v1
	s_waitcnt vmcnt(0) lgkmcnt(0)
	v_mul_f64 v[98:99], v[98:99], v[100:101]
	s_cbranch_execz .LBB46_852
	s_branch .LBB46_853
.LBB46_851:
                                        ; implicit-def: $vgpr98_vgpr99
.LBB46_852:
	ds_read_b64 v[98:99], v1
.LBB46_853:
	v_cmp_ne_u32_e32 vcc, 40, v0
	s_and_saveexec_b64 s[4:5], vcc
	s_cbranch_execz .LBB46_857
; %bb.854:
	s_mov_b32 s6, 0
	v_add_u32_e32 v100, 0x188, v10
	v_add3_u32 v101, v10, s6, 8
	s_mov_b64 s[6:7], 0
	v_mov_b32_e32 v102, v0
.LBB46_855:                             ; =>This Inner Loop Header: Depth=1
	scratch_load_dwordx2 v[104:105], v101, off
	ds_read_b64 v[106:107], v100
	v_add_u32_e32 v102, 1, v102
	v_cmp_lt_u32_e32 vcc, 39, v102
	v_add_u32_e32 v100, 8, v100
	v_add_u32_e32 v101, 8, v101
	s_or_b64 s[6:7], vcc, s[6:7]
	s_waitcnt vmcnt(0) lgkmcnt(0)
	v_fmac_f64_e32 v[98:99], v[104:105], v[106:107]
	s_andn2_b64 exec, exec, s[6:7]
	s_cbranch_execnz .LBB46_855
; %bb.856:
	s_or_b64 exec, exec, s[6:7]
.LBB46_857:
	s_or_b64 exec, exec, s[4:5]
	v_mov_b32_e32 v100, 0
	ds_read_b64 v[100:101], v100 offset:328
	s_waitcnt lgkmcnt(0)
	v_mul_f64 v[98:99], v[98:99], v[100:101]
	scratch_store_dwordx2 off, v[98:99], off offset:328
.LBB46_858:
	s_or_b64 exec, exec, s[2:3]
	scratch_load_dwordx2 v[98:99], off, off offset:336
	v_cmp_gt_u32_e32 vcc, 42, v0
	s_waitcnt vmcnt(0)
	ds_write_b64 v1, v[98:99]
	s_waitcnt lgkmcnt(0)
	; wave barrier
	s_and_saveexec_b64 s[2:3], vcc
	s_cbranch_execz .LBB46_868
; %bb.859:
	s_and_b64 vcc, exec, s[0:1]
	s_cbranch_vccnz .LBB46_861
; %bb.860:
	scratch_load_dwordx2 v[98:99], v11, off
	ds_read_b64 v[100:101], v1
	s_waitcnt vmcnt(0) lgkmcnt(0)
	v_mul_f64 v[98:99], v[98:99], v[100:101]
	s_cbranch_execz .LBB46_862
	s_branch .LBB46_863
.LBB46_861:
                                        ; implicit-def: $vgpr98_vgpr99
.LBB46_862:
	ds_read_b64 v[98:99], v1
.LBB46_863:
	v_cmp_ne_u32_e32 vcc, 41, v0
	s_and_saveexec_b64 s[4:5], vcc
	s_cbranch_execz .LBB46_867
; %bb.864:
	s_mov_b32 s6, 0
	v_add_u32_e32 v100, 0x188, v10
	v_add3_u32 v101, v10, s6, 8
	s_mov_b64 s[6:7], 0
	v_mov_b32_e32 v102, v0
.LBB46_865:                             ; =>This Inner Loop Header: Depth=1
	scratch_load_dwordx2 v[104:105], v101, off
	ds_read_b64 v[106:107], v100
	v_add_u32_e32 v102, 1, v102
	v_cmp_lt_u32_e32 vcc, 40, v102
	v_add_u32_e32 v100, 8, v100
	v_add_u32_e32 v101, 8, v101
	s_or_b64 s[6:7], vcc, s[6:7]
	s_waitcnt vmcnt(0) lgkmcnt(0)
	v_fmac_f64_e32 v[98:99], v[104:105], v[106:107]
	s_andn2_b64 exec, exec, s[6:7]
	s_cbranch_execnz .LBB46_865
; %bb.866:
	s_or_b64 exec, exec, s[6:7]
.LBB46_867:
	s_or_b64 exec, exec, s[4:5]
	v_mov_b32_e32 v100, 0
	ds_read_b64 v[100:101], v100 offset:336
	s_waitcnt lgkmcnt(0)
	v_mul_f64 v[98:99], v[98:99], v[100:101]
	scratch_store_dwordx2 off, v[98:99], off offset:336
.LBB46_868:
	s_or_b64 exec, exec, s[2:3]
	scratch_load_dwordx2 v[98:99], off, off offset:344
	v_cmp_gt_u32_e32 vcc, 43, v0
	s_waitcnt vmcnt(0)
	ds_write_b64 v1, v[98:99]
	s_waitcnt lgkmcnt(0)
	; wave barrier
	s_and_saveexec_b64 s[2:3], vcc
	s_cbranch_execz .LBB46_878
; %bb.869:
	s_and_b64 vcc, exec, s[0:1]
	s_cbranch_vccnz .LBB46_871
; %bb.870:
	scratch_load_dwordx2 v[98:99], v11, off
	ds_read_b64 v[100:101], v1
	s_waitcnt vmcnt(0) lgkmcnt(0)
	v_mul_f64 v[98:99], v[98:99], v[100:101]
	s_cbranch_execz .LBB46_872
	s_branch .LBB46_873
.LBB46_871:
                                        ; implicit-def: $vgpr98_vgpr99
.LBB46_872:
	ds_read_b64 v[98:99], v1
.LBB46_873:
	v_cmp_ne_u32_e32 vcc, 42, v0
	s_and_saveexec_b64 s[4:5], vcc
	s_cbranch_execz .LBB46_877
; %bb.874:
	s_mov_b32 s6, 0
	v_add_u32_e32 v100, 0x188, v10
	v_add3_u32 v101, v10, s6, 8
	s_mov_b64 s[6:7], 0
	v_mov_b32_e32 v102, v0
.LBB46_875:                             ; =>This Inner Loop Header: Depth=1
	scratch_load_dwordx2 v[104:105], v101, off
	ds_read_b64 v[106:107], v100
	v_add_u32_e32 v102, 1, v102
	v_cmp_lt_u32_e32 vcc, 41, v102
	v_add_u32_e32 v100, 8, v100
	v_add_u32_e32 v101, 8, v101
	s_or_b64 s[6:7], vcc, s[6:7]
	s_waitcnt vmcnt(0) lgkmcnt(0)
	v_fmac_f64_e32 v[98:99], v[104:105], v[106:107]
	s_andn2_b64 exec, exec, s[6:7]
	s_cbranch_execnz .LBB46_875
; %bb.876:
	s_or_b64 exec, exec, s[6:7]
.LBB46_877:
	s_or_b64 exec, exec, s[4:5]
	v_mov_b32_e32 v100, 0
	ds_read_b64 v[100:101], v100 offset:344
	s_waitcnt lgkmcnt(0)
	v_mul_f64 v[98:99], v[98:99], v[100:101]
	scratch_store_dwordx2 off, v[98:99], off offset:344
.LBB46_878:
	s_or_b64 exec, exec, s[2:3]
	scratch_load_dwordx2 v[98:99], off, off offset:352
	v_cmp_gt_u32_e32 vcc, 44, v0
	s_waitcnt vmcnt(0)
	ds_write_b64 v1, v[98:99]
	s_waitcnt lgkmcnt(0)
	; wave barrier
	s_and_saveexec_b64 s[2:3], vcc
	s_cbranch_execz .LBB46_888
; %bb.879:
	s_and_b64 vcc, exec, s[0:1]
	s_cbranch_vccnz .LBB46_881
; %bb.880:
	scratch_load_dwordx2 v[98:99], v11, off
	ds_read_b64 v[100:101], v1
	s_waitcnt vmcnt(0) lgkmcnt(0)
	v_mul_f64 v[98:99], v[98:99], v[100:101]
	s_cbranch_execz .LBB46_882
	s_branch .LBB46_883
.LBB46_881:
                                        ; implicit-def: $vgpr98_vgpr99
.LBB46_882:
	ds_read_b64 v[98:99], v1
.LBB46_883:
	v_cmp_ne_u32_e32 vcc, 43, v0
	s_and_saveexec_b64 s[4:5], vcc
	s_cbranch_execz .LBB46_887
; %bb.884:
	s_mov_b32 s6, 0
	v_add_u32_e32 v100, 0x188, v10
	v_add3_u32 v101, v10, s6, 8
	s_mov_b64 s[6:7], 0
	v_mov_b32_e32 v102, v0
.LBB46_885:                             ; =>This Inner Loop Header: Depth=1
	scratch_load_dwordx2 v[104:105], v101, off
	ds_read_b64 v[106:107], v100
	v_add_u32_e32 v102, 1, v102
	v_cmp_lt_u32_e32 vcc, 42, v102
	v_add_u32_e32 v100, 8, v100
	v_add_u32_e32 v101, 8, v101
	s_or_b64 s[6:7], vcc, s[6:7]
	s_waitcnt vmcnt(0) lgkmcnt(0)
	v_fmac_f64_e32 v[98:99], v[104:105], v[106:107]
	s_andn2_b64 exec, exec, s[6:7]
	s_cbranch_execnz .LBB46_885
; %bb.886:
	s_or_b64 exec, exec, s[6:7]
.LBB46_887:
	s_or_b64 exec, exec, s[4:5]
	v_mov_b32_e32 v100, 0
	ds_read_b64 v[100:101], v100 offset:352
	s_waitcnt lgkmcnt(0)
	v_mul_f64 v[98:99], v[98:99], v[100:101]
	scratch_store_dwordx2 off, v[98:99], off offset:352
.LBB46_888:
	s_or_b64 exec, exec, s[2:3]
	scratch_load_dwordx2 v[98:99], off, off offset:360
	v_cmp_gt_u32_e64 s[2:3], 45, v0
	s_waitcnt vmcnt(0)
	ds_write_b64 v1, v[98:99]
	s_waitcnt lgkmcnt(0)
	; wave barrier
	s_and_saveexec_b64 s[4:5], s[2:3]
	s_cbranch_execz .LBB46_898
; %bb.889:
	s_and_b64 vcc, exec, s[0:1]
	s_cbranch_vccnz .LBB46_891
; %bb.890:
	scratch_load_dwordx2 v[98:99], v11, off
	ds_read_b64 v[100:101], v1
	s_waitcnt vmcnt(0) lgkmcnt(0)
	v_mul_f64 v[98:99], v[98:99], v[100:101]
	s_cbranch_execz .LBB46_892
	s_branch .LBB46_893
.LBB46_891:
                                        ; implicit-def: $vgpr98_vgpr99
.LBB46_892:
	ds_read_b64 v[98:99], v1
.LBB46_893:
	v_cmp_ne_u32_e32 vcc, 44, v0
	s_and_saveexec_b64 s[6:7], vcc
	s_cbranch_execz .LBB46_897
; %bb.894:
	s_mov_b32 s8, 0
	v_add_u32_e32 v100, 0x188, v10
	v_add3_u32 v101, v10, s8, 8
	s_mov_b64 s[8:9], 0
	v_mov_b32_e32 v102, v0
.LBB46_895:                             ; =>This Inner Loop Header: Depth=1
	scratch_load_dwordx2 v[104:105], v101, off
	ds_read_b64 v[106:107], v100
	v_add_u32_e32 v102, 1, v102
	v_cmp_lt_u32_e32 vcc, 43, v102
	v_add_u32_e32 v100, 8, v100
	v_add_u32_e32 v101, 8, v101
	s_or_b64 s[8:9], vcc, s[8:9]
	s_waitcnt vmcnt(0) lgkmcnt(0)
	v_fmac_f64_e32 v[98:99], v[104:105], v[106:107]
	s_andn2_b64 exec, exec, s[8:9]
	s_cbranch_execnz .LBB46_895
; %bb.896:
	s_or_b64 exec, exec, s[8:9]
.LBB46_897:
	s_or_b64 exec, exec, s[6:7]
	v_mov_b32_e32 v100, 0
	ds_read_b64 v[100:101], v100 offset:360
	s_waitcnt lgkmcnt(0)
	v_mul_f64 v[98:99], v[98:99], v[100:101]
	scratch_store_dwordx2 off, v[98:99], off offset:360
.LBB46_898:
	s_or_b64 exec, exec, s[4:5]
	scratch_load_dwordx2 v[98:99], off, off offset:368
	v_cmp_ne_u32_e32 vcc, 46, v0
	s_waitcnt vmcnt(0)
	ds_write_b64 v1, v[98:99]
	s_waitcnt lgkmcnt(0)
	; wave barrier
	s_and_saveexec_b64 s[4:5], vcc
	s_cbranch_execz .LBB46_908
; %bb.899:
	s_and_b64 vcc, exec, s[0:1]
	s_cbranch_vccnz .LBB46_901
; %bb.900:
	scratch_load_dwordx2 v[98:99], v11, off
	ds_read_b64 v[100:101], v1
	s_waitcnt vmcnt(0) lgkmcnt(0)
	v_mul_f64 v[98:99], v[98:99], v[100:101]
	s_cbranch_execz .LBB46_902
	s_branch .LBB46_903
.LBB46_901:
                                        ; implicit-def: $vgpr98_vgpr99
.LBB46_902:
	ds_read_b64 v[98:99], v1
.LBB46_903:
	s_and_saveexec_b64 s[0:1], s[2:3]
	s_cbranch_execz .LBB46_907
; %bb.904:
	s_mov_b32 s2, 0
	v_add_u32_e32 v1, 0x188, v10
	v_add3_u32 v10, v10, s2, 8
	s_mov_b64 s[2:3], 0
.LBB46_905:                             ; =>This Inner Loop Header: Depth=1
	scratch_load_dwordx2 v[100:101], v10, off
	ds_read_b64 v[102:103], v1
	v_add_u32_e32 v0, 1, v0
	v_cmp_lt_u32_e32 vcc, 44, v0
	v_add_u32_e32 v1, 8, v1
	v_add_u32_e32 v10, 8, v10
	s_or_b64 s[2:3], vcc, s[2:3]
	s_waitcnt vmcnt(0) lgkmcnt(0)
	v_fmac_f64_e32 v[98:99], v[100:101], v[102:103]
	s_andn2_b64 exec, exec, s[2:3]
	s_cbranch_execnz .LBB46_905
; %bb.906:
	s_or_b64 exec, exec, s[2:3]
.LBB46_907:
	s_or_b64 exec, exec, s[0:1]
	v_mov_b32_e32 v0, 0
	ds_read_b64 v[0:1], v0 offset:368
	s_waitcnt lgkmcnt(0)
	v_mul_f64 v[0:1], v[98:99], v[0:1]
	scratch_store_dwordx2 off, v[0:1], off offset:368
.LBB46_908:
	s_or_b64 exec, exec, s[4:5]
.LBB46_909:
	scratch_load_dwordx4 v[98:101], off, off
	s_waitcnt vmcnt(0)
	global_store_dwordx2 v[2:3], v[98:99], off
	global_store_dwordx2 v[4:5], v[100:101], off
	scratch_load_dwordx4 v[0:3], off, off offset:16
	s_waitcnt vmcnt(0)
	global_store_dwordx2 v[6:7], v[0:1], off
	global_store_dwordx2 v[8:9], v[2:3], off
	scratch_load_dwordx4 v[0:3], off, off offset:32
	;; [unrolled: 4-line block ×22, first 2 shown]
	s_waitcnt vmcnt(0)
	global_store_dwordx2 v[94:95], v[0:1], off
	global_store_dwordx2 v[96:97], v[2:3], off
	scratch_load_dwordx2 v[0:1], off, off offset:368
	s_waitcnt vmcnt(0)
	global_store_dwordx2 v[90:91], v[0:1], off
.LBB46_910:
	s_endpgm
	.section	.rodata,"a",@progbits
	.p2align	6, 0x0
	.amdhsa_kernel _ZN9rocsolver6v33100L18trti2_kernel_smallILi47EdPdEEv13rocblas_fill_17rocblas_diagonal_T1_iil
		.amdhsa_group_segment_fixed_size 760
		.amdhsa_private_segment_fixed_size 384
		.amdhsa_kernarg_size 32
		.amdhsa_user_sgpr_count 2
		.amdhsa_user_sgpr_dispatch_ptr 0
		.amdhsa_user_sgpr_queue_ptr 0
		.amdhsa_user_sgpr_kernarg_segment_ptr 1
		.amdhsa_user_sgpr_dispatch_id 0
		.amdhsa_user_sgpr_kernarg_preload_length 0
		.amdhsa_user_sgpr_kernarg_preload_offset 0
		.amdhsa_user_sgpr_private_segment_size 0
		.amdhsa_uses_dynamic_stack 0
		.amdhsa_enable_private_segment 1
		.amdhsa_system_sgpr_workgroup_id_x 1
		.amdhsa_system_sgpr_workgroup_id_y 0
		.amdhsa_system_sgpr_workgroup_id_z 0
		.amdhsa_system_sgpr_workgroup_info 0
		.amdhsa_system_vgpr_workitem_id 0
		.amdhsa_next_free_vgpr 108
		.amdhsa_next_free_sgpr 34
		.amdhsa_accum_offset 108
		.amdhsa_reserve_vcc 1
		.amdhsa_float_round_mode_32 0
		.amdhsa_float_round_mode_16_64 0
		.amdhsa_float_denorm_mode_32 3
		.amdhsa_float_denorm_mode_16_64 3
		.amdhsa_dx10_clamp 1
		.amdhsa_ieee_mode 1
		.amdhsa_fp16_overflow 0
		.amdhsa_tg_split 0
		.amdhsa_exception_fp_ieee_invalid_op 0
		.amdhsa_exception_fp_denorm_src 0
		.amdhsa_exception_fp_ieee_div_zero 0
		.amdhsa_exception_fp_ieee_overflow 0
		.amdhsa_exception_fp_ieee_underflow 0
		.amdhsa_exception_fp_ieee_inexact 0
		.amdhsa_exception_int_div_zero 0
	.end_amdhsa_kernel
	.section	.text._ZN9rocsolver6v33100L18trti2_kernel_smallILi47EdPdEEv13rocblas_fill_17rocblas_diagonal_T1_iil,"axG",@progbits,_ZN9rocsolver6v33100L18trti2_kernel_smallILi47EdPdEEv13rocblas_fill_17rocblas_diagonal_T1_iil,comdat
.Lfunc_end46:
	.size	_ZN9rocsolver6v33100L18trti2_kernel_smallILi47EdPdEEv13rocblas_fill_17rocblas_diagonal_T1_iil, .Lfunc_end46-_ZN9rocsolver6v33100L18trti2_kernel_smallILi47EdPdEEv13rocblas_fill_17rocblas_diagonal_T1_iil
                                        ; -- End function
	.set _ZN9rocsolver6v33100L18trti2_kernel_smallILi47EdPdEEv13rocblas_fill_17rocblas_diagonal_T1_iil.num_vgpr, 108
	.set _ZN9rocsolver6v33100L18trti2_kernel_smallILi47EdPdEEv13rocblas_fill_17rocblas_diagonal_T1_iil.num_agpr, 0
	.set _ZN9rocsolver6v33100L18trti2_kernel_smallILi47EdPdEEv13rocblas_fill_17rocblas_diagonal_T1_iil.numbered_sgpr, 34
	.set _ZN9rocsolver6v33100L18trti2_kernel_smallILi47EdPdEEv13rocblas_fill_17rocblas_diagonal_T1_iil.num_named_barrier, 0
	.set _ZN9rocsolver6v33100L18trti2_kernel_smallILi47EdPdEEv13rocblas_fill_17rocblas_diagonal_T1_iil.private_seg_size, 384
	.set _ZN9rocsolver6v33100L18trti2_kernel_smallILi47EdPdEEv13rocblas_fill_17rocblas_diagonal_T1_iil.uses_vcc, 1
	.set _ZN9rocsolver6v33100L18trti2_kernel_smallILi47EdPdEEv13rocblas_fill_17rocblas_diagonal_T1_iil.uses_flat_scratch, 0
	.set _ZN9rocsolver6v33100L18trti2_kernel_smallILi47EdPdEEv13rocblas_fill_17rocblas_diagonal_T1_iil.has_dyn_sized_stack, 0
	.set _ZN9rocsolver6v33100L18trti2_kernel_smallILi47EdPdEEv13rocblas_fill_17rocblas_diagonal_T1_iil.has_recursion, 0
	.set _ZN9rocsolver6v33100L18trti2_kernel_smallILi47EdPdEEv13rocblas_fill_17rocblas_diagonal_T1_iil.has_indirect_call, 0
	.section	.AMDGPU.csdata,"",@progbits
; Kernel info:
; codeLenInByte = 22364
; TotalNumSgprs: 40
; NumVgprs: 108
; NumAgprs: 0
; TotalNumVgprs: 108
; ScratchSize: 384
; MemoryBound: 0
; FloatMode: 240
; IeeeMode: 1
; LDSByteSize: 760 bytes/workgroup (compile time only)
; SGPRBlocks: 4
; VGPRBlocks: 13
; NumSGPRsForWavesPerEU: 40
; NumVGPRsForWavesPerEU: 108
; AccumOffset: 108
; Occupancy: 4
; WaveLimiterHint : 0
; COMPUTE_PGM_RSRC2:SCRATCH_EN: 1
; COMPUTE_PGM_RSRC2:USER_SGPR: 2
; COMPUTE_PGM_RSRC2:TRAP_HANDLER: 0
; COMPUTE_PGM_RSRC2:TGID_X_EN: 1
; COMPUTE_PGM_RSRC2:TGID_Y_EN: 0
; COMPUTE_PGM_RSRC2:TGID_Z_EN: 0
; COMPUTE_PGM_RSRC2:TIDIG_COMP_CNT: 0
; COMPUTE_PGM_RSRC3_GFX90A:ACCUM_OFFSET: 26
; COMPUTE_PGM_RSRC3_GFX90A:TG_SPLIT: 0
	.section	.text._ZN9rocsolver6v33100L18trti2_kernel_smallILi48EdPdEEv13rocblas_fill_17rocblas_diagonal_T1_iil,"axG",@progbits,_ZN9rocsolver6v33100L18trti2_kernel_smallILi48EdPdEEv13rocblas_fill_17rocblas_diagonal_T1_iil,comdat
	.globl	_ZN9rocsolver6v33100L18trti2_kernel_smallILi48EdPdEEv13rocblas_fill_17rocblas_diagonal_T1_iil ; -- Begin function _ZN9rocsolver6v33100L18trti2_kernel_smallILi48EdPdEEv13rocblas_fill_17rocblas_diagonal_T1_iil
	.p2align	8
	.type	_ZN9rocsolver6v33100L18trti2_kernel_smallILi48EdPdEEv13rocblas_fill_17rocblas_diagonal_T1_iil,@function
_ZN9rocsolver6v33100L18trti2_kernel_smallILi48EdPdEEv13rocblas_fill_17rocblas_diagonal_T1_iil: ; @_ZN9rocsolver6v33100L18trti2_kernel_smallILi48EdPdEEv13rocblas_fill_17rocblas_diagonal_T1_iil
; %bb.0:
	v_cmp_gt_u32_e32 vcc, 48, v0
	s_and_saveexec_b64 s[4:5], vcc
	s_cbranch_execz .LBB47_930
; %bb.1:
	s_load_dwordx8 s[4:11], s[0:1], 0x0
	s_ashr_i32 s3, s2, 31
	v_lshlrev_b32_e32 v16, 3, v0
	v_mov_b32_e32 v17, 0
	s_waitcnt lgkmcnt(0)
	s_ashr_i32 s1, s8, 31
	s_mov_b32 s0, s8
	s_mul_hi_u32 s8, s10, s2
	s_mul_i32 s3, s10, s3
	s_add_i32 s3, s8, s3
	s_mul_i32 s8, s11, s2
	s_add_i32 s3, s3, s8
	s_mul_i32 s2, s10, s2
	s_lshl_b64 s[2:3], s[2:3], 3
	s_add_u32 s2, s6, s2
	s_addc_u32 s3, s7, s3
	s_lshl_b64 s[0:1], s[0:1], 3
	s_add_u32 s0, s2, s0
	s_addc_u32 s1, s3, s1
	v_lshl_add_u64 v[2:3], s[0:1], 0, v[16:17]
	s_ashr_i32 s3, s9, 31
	s_mov_b32 s2, s9
	v_lshl_add_u64 v[4:5], s[2:3], 3, v[2:3]
	global_load_dwordx2 v[6:7], v16, s[0:1]
	global_load_dwordx2 v[8:9], v[4:5], off
	s_add_i32 s2, s9, s9
	s_cmpk_lg_i32 s5, 0x84
	s_cselect_b64 s[6:7], -1, 0
	s_cmpk_eq_i32 s5, 0x84
	s_waitcnt vmcnt(0)
	scratch_store_dwordx4 off, v[6:9], off
	s_nop 1
	v_add_u32_e32 v8, s2, v0
	v_add_u32_e32 v10, s9, v8
	v_ashrrev_i32_e32 v9, 31, v8
	v_ashrrev_i32_e32 v11, 31, v10
	v_lshl_add_u64 v[6:7], v[8:9], 3, s[0:1]
	v_lshl_add_u64 v[8:9], v[10:11], 3, s[0:1]
	global_load_dwordx2 v[12:13], v[6:7], off
	global_load_dwordx2 v[14:15], v[8:9], off
	s_waitcnt vmcnt(0)
	scratch_store_dwordx4 off, v[12:15], off offset:16
	s_nop 1
	v_add_u32_e32 v12, s9, v10
	v_add_u32_e32 v14, s9, v12
	v_ashrrev_i32_e32 v13, 31, v12
	v_ashrrev_i32_e32 v15, 31, v14
	v_lshl_add_u64 v[10:11], v[12:13], 3, s[0:1]
	v_lshl_add_u64 v[12:13], v[14:15], 3, s[0:1]
	global_load_dwordx2 v[18:19], v[10:11], off
	global_load_dwordx2 v[20:21], v[12:13], off
	s_waitcnt vmcnt(0)
	scratch_store_dwordx4 off, v[18:21], off offset:32
	;; [unrolled: 11-line block ×18, first 2 shown]
	s_nop 1
	v_add_u32_e32 v82, s9, v80
	v_add_u32_e32 v84, s9, v82
	v_ashrrev_i32_e32 v83, 31, v82
	v_ashrrev_i32_e32 v85, 31, v84
	v_lshl_add_u64 v[80:81], v[82:83], 3, s[0:1]
	v_lshl_add_u64 v[82:83], v[84:85], 3, s[0:1]
	global_load_dwordx2 v[86:87], v[80:81], off
	global_load_dwordx2 v[88:89], v[82:83], off
	v_add_u32_e32 v84, s9, v84
	v_ashrrev_i32_e32 v85, 31, v84
	s_waitcnt vmcnt(0)
	scratch_store_dwordx4 off, v[86:89], off offset:304
	s_nop 1
	v_lshl_add_u64 v[86:87], v[84:85], 3, s[0:1]
	v_add_u32_e32 v84, s9, v84
	v_ashrrev_i32_e32 v85, 31, v84
	v_lshl_add_u64 v[90:91], v[84:85], 3, s[0:1]
	global_load_dwordx2 v[92:93], v[86:87], off
	global_load_dwordx2 v[94:95], v[90:91], off
	v_add_u32_e32 v84, s9, v84
	v_ashrrev_i32_e32 v85, 31, v84
	s_waitcnt vmcnt(0)
	scratch_store_dwordx4 off, v[92:95], off offset:320
	s_nop 1
	v_lshl_add_u64 v[92:93], v[84:85], 3, s[0:1]
	v_add_u32_e32 v84, s9, v84
	v_ashrrev_i32_e32 v85, 31, v84
	;; [unrolled: 11-line block ×3, first 2 shown]
	v_lshl_add_u64 v[98:99], v[84:85], 3, s[0:1]
	global_load_dwordx2 v[100:101], v[96:97], off
	global_load_dwordx2 v[102:103], v[98:99], off
	v_add_u32_e32 v88, s9, v84
	v_ashrrev_i32_e32 v89, 31, v88
	v_lshl_add_u64 v[84:85], v[88:89], 3, s[0:1]
	v_add_u32_e32 v88, s9, v88
	v_ashrrev_i32_e32 v89, 31, v88
	v_lshl_add_u64 v[88:89], v[88:89], 3, s[0:1]
	s_waitcnt vmcnt(0)
	scratch_store_dwordx4 off, v[100:103], off offset:352
	global_load_dwordx2 v[100:101], v[84:85], off
	s_nop 0
	global_load_dwordx2 v[102:103], v[88:89], off
	s_waitcnt vmcnt(0)
	scratch_store_dwordx4 off, v[100:103], off offset:368
	s_nop 1
	v_mov_b64_e32 v[100:101], -1.0
	s_cbranch_scc1 .LBB47_3
; %bb.2:
	scratch_load_dwordx2 v[100:101], v16, off
	s_waitcnt vmcnt(0)
	v_div_scale_f64 v[102:103], s[0:1], v[100:101], v[100:101], 1.0
	v_rcp_f64_e32 v[104:105], v[102:103]
	v_div_scale_f64 v[106:107], vcc, 1.0, v[100:101], 1.0
	v_fma_f64 v[108:109], -v[102:103], v[104:105], 1.0
	v_fmac_f64_e32 v[104:105], v[104:105], v[108:109]
	v_fma_f64 v[108:109], -v[102:103], v[104:105], 1.0
	v_fmac_f64_e32 v[104:105], v[104:105], v[108:109]
	v_mul_f64 v[108:109], v[106:107], v[104:105]
	v_fma_f64 v[102:103], -v[102:103], v[108:109], v[106:107]
	v_div_fmas_f64 v[102:103], v[102:103], v[104:105], v[108:109]
	v_div_fixup_f64 v[100:101], v[102:103], v[100:101], 1.0
	scratch_store_dwordx2 v16, v[100:101], off
	v_xor_b32_e32 v101, 0x80000000, v101
.LBB47_3:
	s_cmpk_eq_i32 s4, 0x79
	v_add_u32_e32 v1, 0x180, v16
	v_mov_b32_e32 v17, v16
	s_mov_b64 s[0:1], -1
	ds_write_b64 v16, v[100:101]
	s_cbranch_scc1 .LBB47_467
; %bb.4:
	scratch_load_dwordx2 v[100:101], off, off offset:368
	s_movk_i32 s8, 0x50
	s_movk_i32 s9, 0x60
	;; [unrolled: 1-line block ×18, first 2 shown]
	v_cmp_eq_u32_e64 s[0:1], 47, v0
	s_waitcnt vmcnt(0)
	ds_write_b64 v1, v[100:101]
	s_waitcnt lgkmcnt(0)
	; wave barrier
	s_and_saveexec_b64 s[2:3], s[0:1]
	s_cbranch_execz .LBB47_10
; %bb.5:
	s_and_b64 vcc, exec, s[6:7]
	s_cbranch_vccz .LBB47_7
; %bb.6:
	scratch_load_dwordx2 v[100:101], v17, off
	ds_read_b64 v[102:103], v1
	s_waitcnt vmcnt(0) lgkmcnt(0)
	v_mul_f64 v[100:101], v[100:101], v[102:103]
	s_cbranch_execz .LBB47_8
	s_branch .LBB47_9
.LBB47_7:
                                        ; implicit-def: $vgpr100_vgpr101
.LBB47_8:
	ds_read_b64 v[100:101], v1
.LBB47_9:
	v_mov_b32_e32 v102, 0
	ds_read_b64 v[102:103], v102 offset:368
	s_waitcnt lgkmcnt(0)
	v_mul_f64 v[100:101], v[100:101], v[102:103]
	scratch_store_dwordx2 off, v[100:101], off offset:368
.LBB47_10:
	s_or_b64 exec, exec, s[2:3]
	scratch_load_dwordx2 v[100:101], off, off offset:360
	s_mov_b32 s10, 16
	s_mov_b32 s11, 32
	;; [unrolled: 1-line block ×6, first 2 shown]
	v_cmp_lt_u32_e64 s[2:3], 45, v0
	s_waitcnt vmcnt(0)
	ds_write_b64 v1, v[100:101]
	s_waitcnt lgkmcnt(0)
	; wave barrier
	s_and_saveexec_b64 s[4:5], s[2:3]
	s_cbranch_execz .LBB47_16
; %bb.11:
	s_andn2_b64 vcc, exec, s[6:7]
	s_cbranch_vccnz .LBB47_13
; %bb.12:
	scratch_load_dwordx2 v[100:101], v17, off
	ds_read_b64 v[102:103], v1
	s_waitcnt vmcnt(0) lgkmcnt(0)
	v_mul_f64 v[100:101], v[100:101], v[102:103]
	s_cbranch_execz .LBB47_14
	s_branch .LBB47_15
.LBB47_13:
                                        ; implicit-def: $vgpr100_vgpr101
.LBB47_14:
	ds_read_b64 v[100:101], v1
.LBB47_15:
	scratch_load_dwordx2 v[106:107], off, off offset:368
	v_mov_b32_e32 v102, 0
	ds_read2_b64 v[102:105], v102 offset0:45 offset1:94
	s_waitcnt vmcnt(0) lgkmcnt(0)
	v_fma_f64 v[104:105], v[106:107], v[104:105], v[100:101]
	v_cndmask_b32_e64 v101, v101, v105, s[0:1]
	v_cndmask_b32_e64 v100, v100, v104, s[0:1]
	v_mul_f64 v[100:101], v[100:101], v[102:103]
	scratch_store_dwordx2 off, v[100:101], off offset:360
.LBB47_16:
	s_or_b64 exec, exec, s[4:5]
	scratch_load_dwordx2 v[100:101], off, off offset:352
	v_cmp_lt_u32_e64 s[0:1], 44, v0
	s_waitcnt vmcnt(0)
	ds_write_b64 v1, v[100:101]
	s_waitcnt lgkmcnt(0)
	; wave barrier
	s_and_saveexec_b64 s[4:5], s[0:1]
	s_cbranch_execz .LBB47_26
; %bb.17:
	s_andn2_b64 vcc, exec, s[6:7]
	s_cbranch_vccnz .LBB47_19
; %bb.18:
	scratch_load_dwordx2 v[100:101], v17, off
	ds_read_b64 v[102:103], v1
	s_waitcnt vmcnt(0) lgkmcnt(0)
	v_mul_f64 v[100:101], v[100:101], v[102:103]
	s_cbranch_execz .LBB47_20
	s_branch .LBB47_21
.LBB47_19:
                                        ; implicit-def: $vgpr100_vgpr101
.LBB47_20:
	ds_read_b64 v[100:101], v1
.LBB47_21:
	s_and_saveexec_b64 s[8:9], s[2:3]
	s_cbranch_execz .LBB47_25
; %bb.22:
	s_movk_i32 s33, 0x168
	v_subrev_u32_e32 v102, 45, v0
	s_movk_i32 s34, 0x2e8
	s_mov_b64 s[2:3], 0
.LBB47_23:                              ; =>This Inner Loop Header: Depth=1
	scratch_load_dwordx2 v[104:105], off, s33
	v_mov_b32_e32 v103, s34
	ds_read_b64 v[106:107], v103
	v_add_u32_e32 v102, -1, v102
	s_add_i32 s34, s34, 8
	s_add_i32 s33, s33, 8
	v_cmp_eq_u32_e32 vcc, 0, v102
	s_or_b64 s[2:3], vcc, s[2:3]
	s_waitcnt vmcnt(0) lgkmcnt(0)
	v_fmac_f64_e32 v[100:101], v[104:105], v[106:107]
	s_andn2_b64 exec, exec, s[2:3]
	s_cbranch_execnz .LBB47_23
; %bb.24:
	s_or_b64 exec, exec, s[2:3]
.LBB47_25:
	s_or_b64 exec, exec, s[8:9]
	v_mov_b32_e32 v102, 0
	ds_read_b64 v[102:103], v102 offset:352
	s_waitcnt lgkmcnt(0)
	v_mul_f64 v[100:101], v[100:101], v[102:103]
	scratch_store_dwordx2 off, v[100:101], off offset:352
.LBB47_26:
	s_or_b64 exec, exec, s[4:5]
	scratch_load_dwordx2 v[100:101], off, off offset:344
	v_cmp_lt_u32_e64 s[2:3], 43, v0
	s_waitcnt vmcnt(0)
	ds_write_b64 v1, v[100:101]
	s_waitcnt lgkmcnt(0)
	; wave barrier
	s_and_saveexec_b64 s[4:5], s[2:3]
	s_cbranch_execz .LBB47_36
; %bb.27:
	s_andn2_b64 vcc, exec, s[6:7]
	s_cbranch_vccnz .LBB47_29
; %bb.28:
	scratch_load_dwordx2 v[100:101], v17, off
	ds_read_b64 v[102:103], v1
	s_waitcnt vmcnt(0) lgkmcnt(0)
	v_mul_f64 v[100:101], v[100:101], v[102:103]
	s_cbranch_execz .LBB47_30
	s_branch .LBB47_31
.LBB47_29:
                                        ; implicit-def: $vgpr100_vgpr101
.LBB47_30:
	ds_read_b64 v[100:101], v1
.LBB47_31:
	s_and_saveexec_b64 s[8:9], s[0:1]
	s_cbranch_execz .LBB47_35
; %bb.32:
	v_subrev_u32_e32 v102, 44, v0
	s_movk_i32 s33, 0x2e0
	s_mov_b64 s[0:1], 0
.LBB47_33:                              ; =>This Inner Loop Header: Depth=1
	scratch_load_dwordx2 v[104:105], off, s31
	v_mov_b32_e32 v103, s33
	ds_read_b64 v[106:107], v103
	v_add_u32_e32 v102, -1, v102
	s_add_i32 s33, s33, 8
	s_add_i32 s31, s31, 8
	v_cmp_eq_u32_e32 vcc, 0, v102
	s_or_b64 s[0:1], vcc, s[0:1]
	s_waitcnt vmcnt(0) lgkmcnt(0)
	v_fmac_f64_e32 v[100:101], v[104:105], v[106:107]
	s_andn2_b64 exec, exec, s[0:1]
	s_cbranch_execnz .LBB47_33
; %bb.34:
	s_or_b64 exec, exec, s[0:1]
.LBB47_35:
	s_or_b64 exec, exec, s[8:9]
	v_mov_b32_e32 v102, 0
	ds_read_b64 v[102:103], v102 offset:344
	s_waitcnt lgkmcnt(0)
	v_mul_f64 v[100:101], v[100:101], v[102:103]
	scratch_store_dwordx2 off, v[100:101], off offset:344
.LBB47_36:
	s_or_b64 exec, exec, s[4:5]
	scratch_load_dwordx2 v[100:101], off, off offset:336
	v_cmp_lt_u32_e64 s[0:1], 42, v0
	s_waitcnt vmcnt(0)
	ds_write_b64 v1, v[100:101]
	s_waitcnt lgkmcnt(0)
	; wave barrier
	s_and_saveexec_b64 s[4:5], s[0:1]
	s_cbranch_execz .LBB47_46
; %bb.37:
	s_andn2_b64 vcc, exec, s[6:7]
	s_cbranch_vccnz .LBB47_39
; %bb.38:
	scratch_load_dwordx2 v[100:101], v17, off
	ds_read_b64 v[102:103], v1
	s_waitcnt vmcnt(0) lgkmcnt(0)
	v_mul_f64 v[100:101], v[100:101], v[102:103]
	s_cbranch_execz .LBB47_40
	s_branch .LBB47_41
.LBB47_39:
                                        ; implicit-def: $vgpr100_vgpr101
.LBB47_40:
	ds_read_b64 v[100:101], v1
.LBB47_41:
	s_and_saveexec_b64 s[8:9], s[2:3]
	s_cbranch_execz .LBB47_45
; %bb.42:
	s_movk_i32 s31, 0x158
	v_subrev_u32_e32 v102, 43, v0
	s_movk_i32 s33, 0x2d8
	s_mov_b64 s[2:3], 0
.LBB47_43:                              ; =>This Inner Loop Header: Depth=1
	scratch_load_dwordx2 v[104:105], off, s31
	v_mov_b32_e32 v103, s33
	ds_read_b64 v[106:107], v103
	v_add_u32_e32 v102, -1, v102
	s_add_i32 s33, s33, 8
	s_add_i32 s31, s31, 8
	v_cmp_eq_u32_e32 vcc, 0, v102
	s_or_b64 s[2:3], vcc, s[2:3]
	s_waitcnt vmcnt(0) lgkmcnt(0)
	v_fmac_f64_e32 v[100:101], v[104:105], v[106:107]
	s_andn2_b64 exec, exec, s[2:3]
	s_cbranch_execnz .LBB47_43
; %bb.44:
	s_or_b64 exec, exec, s[2:3]
.LBB47_45:
	s_or_b64 exec, exec, s[8:9]
	v_mov_b32_e32 v102, 0
	ds_read_b64 v[102:103], v102 offset:336
	s_waitcnt lgkmcnt(0)
	v_mul_f64 v[100:101], v[100:101], v[102:103]
	scratch_store_dwordx2 off, v[100:101], off offset:336
.LBB47_46:
	s_or_b64 exec, exec, s[4:5]
	scratch_load_dwordx2 v[100:101], off, off offset:328
	v_cmp_lt_u32_e64 s[2:3], 41, v0
	s_waitcnt vmcnt(0)
	ds_write_b64 v1, v[100:101]
	s_waitcnt lgkmcnt(0)
	; wave barrier
	s_and_saveexec_b64 s[4:5], s[2:3]
	s_cbranch_execz .LBB47_56
; %bb.47:
	s_andn2_b64 vcc, exec, s[6:7]
	s_cbranch_vccnz .LBB47_49
; %bb.48:
	scratch_load_dwordx2 v[100:101], v17, off
	ds_read_b64 v[102:103], v1
	s_waitcnt vmcnt(0) lgkmcnt(0)
	v_mul_f64 v[100:101], v[100:101], v[102:103]
	s_cbranch_execz .LBB47_50
	s_branch .LBB47_51
.LBB47_49:
                                        ; implicit-def: $vgpr100_vgpr101
.LBB47_50:
	ds_read_b64 v[100:101], v1
.LBB47_51:
	s_and_saveexec_b64 s[8:9], s[0:1]
	s_cbranch_execz .LBB47_55
; %bb.52:
	v_subrev_u32_e32 v102, 42, v0
	s_movk_i32 s31, 0x2d0
	s_mov_b64 s[0:1], 0
.LBB47_53:                              ; =>This Inner Loop Header: Depth=1
	scratch_load_dwordx2 v[104:105], off, s30
	v_mov_b32_e32 v103, s31
	ds_read_b64 v[106:107], v103
	v_add_u32_e32 v102, -1, v102
	s_add_i32 s31, s31, 8
	s_add_i32 s30, s30, 8
	v_cmp_eq_u32_e32 vcc, 0, v102
	s_or_b64 s[0:1], vcc, s[0:1]
	s_waitcnt vmcnt(0) lgkmcnt(0)
	v_fmac_f64_e32 v[100:101], v[104:105], v[106:107]
	s_andn2_b64 exec, exec, s[0:1]
	s_cbranch_execnz .LBB47_53
; %bb.54:
	s_or_b64 exec, exec, s[0:1]
.LBB47_55:
	s_or_b64 exec, exec, s[8:9]
	v_mov_b32_e32 v102, 0
	ds_read_b64 v[102:103], v102 offset:328
	s_waitcnt lgkmcnt(0)
	v_mul_f64 v[100:101], v[100:101], v[102:103]
	scratch_store_dwordx2 off, v[100:101], off offset:328
.LBB47_56:
	s_or_b64 exec, exec, s[4:5]
	scratch_load_dwordx2 v[100:101], off, off offset:320
	v_cmp_lt_u32_e64 s[0:1], 40, v0
	s_waitcnt vmcnt(0)
	ds_write_b64 v1, v[100:101]
	s_waitcnt lgkmcnt(0)
	; wave barrier
	s_and_saveexec_b64 s[4:5], s[0:1]
	s_cbranch_execz .LBB47_66
; %bb.57:
	s_andn2_b64 vcc, exec, s[6:7]
	s_cbranch_vccnz .LBB47_59
; %bb.58:
	scratch_load_dwordx2 v[100:101], v17, off
	ds_read_b64 v[102:103], v1
	s_waitcnt vmcnt(0) lgkmcnt(0)
	v_mul_f64 v[100:101], v[100:101], v[102:103]
	s_cbranch_execz .LBB47_60
	s_branch .LBB47_61
.LBB47_59:
                                        ; implicit-def: $vgpr100_vgpr101
.LBB47_60:
	ds_read_b64 v[100:101], v1
.LBB47_61:
	s_and_saveexec_b64 s[8:9], s[2:3]
	s_cbranch_execz .LBB47_65
; %bb.62:
	s_movk_i32 s30, 0x148
	v_subrev_u32_e32 v102, 41, v0
	s_movk_i32 s31, 0x2c8
	s_mov_b64 s[2:3], 0
.LBB47_63:                              ; =>This Inner Loop Header: Depth=1
	scratch_load_dwordx2 v[104:105], off, s30
	v_mov_b32_e32 v103, s31
	ds_read_b64 v[106:107], v103
	v_add_u32_e32 v102, -1, v102
	s_add_i32 s31, s31, 8
	s_add_i32 s30, s30, 8
	v_cmp_eq_u32_e32 vcc, 0, v102
	s_or_b64 s[2:3], vcc, s[2:3]
	s_waitcnt vmcnt(0) lgkmcnt(0)
	v_fmac_f64_e32 v[100:101], v[104:105], v[106:107]
	s_andn2_b64 exec, exec, s[2:3]
	s_cbranch_execnz .LBB47_63
; %bb.64:
	s_or_b64 exec, exec, s[2:3]
.LBB47_65:
	s_or_b64 exec, exec, s[8:9]
	v_mov_b32_e32 v102, 0
	ds_read_b64 v[102:103], v102 offset:320
	s_waitcnt lgkmcnt(0)
	v_mul_f64 v[100:101], v[100:101], v[102:103]
	scratch_store_dwordx2 off, v[100:101], off offset:320
.LBB47_66:
	s_or_b64 exec, exec, s[4:5]
	scratch_load_dwordx2 v[100:101], off, off offset:312
	v_cmp_lt_u32_e64 s[2:3], 39, v0
	s_waitcnt vmcnt(0)
	ds_write_b64 v1, v[100:101]
	s_waitcnt lgkmcnt(0)
	; wave barrier
	s_and_saveexec_b64 s[4:5], s[2:3]
	s_cbranch_execz .LBB47_76
; %bb.67:
	s_andn2_b64 vcc, exec, s[6:7]
	s_cbranch_vccnz .LBB47_69
; %bb.68:
	scratch_load_dwordx2 v[100:101], v17, off
	ds_read_b64 v[102:103], v1
	s_waitcnt vmcnt(0) lgkmcnt(0)
	v_mul_f64 v[100:101], v[100:101], v[102:103]
	s_cbranch_execz .LBB47_70
	s_branch .LBB47_71
.LBB47_69:
                                        ; implicit-def: $vgpr100_vgpr101
.LBB47_70:
	ds_read_b64 v[100:101], v1
.LBB47_71:
	s_and_saveexec_b64 s[8:9], s[0:1]
	s_cbranch_execz .LBB47_75
; %bb.72:
	v_subrev_u32_e32 v102, 40, v0
	s_movk_i32 s30, 0x2c0
	s_mov_b64 s[0:1], 0
.LBB47_73:                              ; =>This Inner Loop Header: Depth=1
	scratch_load_dwordx2 v[104:105], off, s29
	v_mov_b32_e32 v103, s30
	ds_read_b64 v[106:107], v103
	v_add_u32_e32 v102, -1, v102
	s_add_i32 s30, s30, 8
	s_add_i32 s29, s29, 8
	v_cmp_eq_u32_e32 vcc, 0, v102
	s_or_b64 s[0:1], vcc, s[0:1]
	s_waitcnt vmcnt(0) lgkmcnt(0)
	v_fmac_f64_e32 v[100:101], v[104:105], v[106:107]
	s_andn2_b64 exec, exec, s[0:1]
	s_cbranch_execnz .LBB47_73
; %bb.74:
	s_or_b64 exec, exec, s[0:1]
.LBB47_75:
	s_or_b64 exec, exec, s[8:9]
	v_mov_b32_e32 v102, 0
	ds_read_b64 v[102:103], v102 offset:312
	s_waitcnt lgkmcnt(0)
	v_mul_f64 v[100:101], v[100:101], v[102:103]
	scratch_store_dwordx2 off, v[100:101], off offset:312
.LBB47_76:
	s_or_b64 exec, exec, s[4:5]
	scratch_load_dwordx2 v[100:101], off, off offset:304
	v_cmp_lt_u32_e64 s[0:1], 38, v0
	s_waitcnt vmcnt(0)
	ds_write_b64 v1, v[100:101]
	s_waitcnt lgkmcnt(0)
	; wave barrier
	s_and_saveexec_b64 s[4:5], s[0:1]
	s_cbranch_execz .LBB47_86
; %bb.77:
	s_andn2_b64 vcc, exec, s[6:7]
	s_cbranch_vccnz .LBB47_79
; %bb.78:
	scratch_load_dwordx2 v[100:101], v17, off
	ds_read_b64 v[102:103], v1
	s_waitcnt vmcnt(0) lgkmcnt(0)
	v_mul_f64 v[100:101], v[100:101], v[102:103]
	s_cbranch_execz .LBB47_80
	s_branch .LBB47_81
.LBB47_79:
                                        ; implicit-def: $vgpr100_vgpr101
.LBB47_80:
	ds_read_b64 v[100:101], v1
.LBB47_81:
	s_and_saveexec_b64 s[8:9], s[2:3]
	s_cbranch_execz .LBB47_85
; %bb.82:
	s_movk_i32 s29, 0x138
	v_subrev_u32_e32 v102, 39, v0
	s_movk_i32 s30, 0x2b8
	s_mov_b64 s[2:3], 0
.LBB47_83:                              ; =>This Inner Loop Header: Depth=1
	scratch_load_dwordx2 v[104:105], off, s29
	v_mov_b32_e32 v103, s30
	ds_read_b64 v[106:107], v103
	v_add_u32_e32 v102, -1, v102
	s_add_i32 s30, s30, 8
	s_add_i32 s29, s29, 8
	v_cmp_eq_u32_e32 vcc, 0, v102
	s_or_b64 s[2:3], vcc, s[2:3]
	s_waitcnt vmcnt(0) lgkmcnt(0)
	v_fmac_f64_e32 v[100:101], v[104:105], v[106:107]
	s_andn2_b64 exec, exec, s[2:3]
	s_cbranch_execnz .LBB47_83
; %bb.84:
	s_or_b64 exec, exec, s[2:3]
.LBB47_85:
	s_or_b64 exec, exec, s[8:9]
	v_mov_b32_e32 v102, 0
	ds_read_b64 v[102:103], v102 offset:304
	s_waitcnt lgkmcnt(0)
	v_mul_f64 v[100:101], v[100:101], v[102:103]
	scratch_store_dwordx2 off, v[100:101], off offset:304
.LBB47_86:
	s_or_b64 exec, exec, s[4:5]
	scratch_load_dwordx2 v[100:101], off, off offset:296
	v_cmp_lt_u32_e64 s[2:3], 37, v0
	s_waitcnt vmcnt(0)
	ds_write_b64 v1, v[100:101]
	s_waitcnt lgkmcnt(0)
	; wave barrier
	s_and_saveexec_b64 s[4:5], s[2:3]
	s_cbranch_execz .LBB47_96
; %bb.87:
	s_andn2_b64 vcc, exec, s[6:7]
	s_cbranch_vccnz .LBB47_89
; %bb.88:
	scratch_load_dwordx2 v[100:101], v17, off
	ds_read_b64 v[102:103], v1
	s_waitcnt vmcnt(0) lgkmcnt(0)
	v_mul_f64 v[100:101], v[100:101], v[102:103]
	s_cbranch_execz .LBB47_90
	s_branch .LBB47_91
.LBB47_89:
                                        ; implicit-def: $vgpr100_vgpr101
.LBB47_90:
	ds_read_b64 v[100:101], v1
.LBB47_91:
	s_and_saveexec_b64 s[8:9], s[0:1]
	s_cbranch_execz .LBB47_95
; %bb.92:
	v_subrev_u32_e32 v102, 38, v0
	s_movk_i32 s29, 0x2b0
	s_mov_b64 s[0:1], 0
.LBB47_93:                              ; =>This Inner Loop Header: Depth=1
	scratch_load_dwordx2 v[104:105], off, s28
	v_mov_b32_e32 v103, s29
	ds_read_b64 v[106:107], v103
	v_add_u32_e32 v102, -1, v102
	s_add_i32 s29, s29, 8
	s_add_i32 s28, s28, 8
	v_cmp_eq_u32_e32 vcc, 0, v102
	s_or_b64 s[0:1], vcc, s[0:1]
	s_waitcnt vmcnt(0) lgkmcnt(0)
	v_fmac_f64_e32 v[100:101], v[104:105], v[106:107]
	s_andn2_b64 exec, exec, s[0:1]
	s_cbranch_execnz .LBB47_93
; %bb.94:
	s_or_b64 exec, exec, s[0:1]
.LBB47_95:
	s_or_b64 exec, exec, s[8:9]
	v_mov_b32_e32 v102, 0
	ds_read_b64 v[102:103], v102 offset:296
	s_waitcnt lgkmcnt(0)
	v_mul_f64 v[100:101], v[100:101], v[102:103]
	scratch_store_dwordx2 off, v[100:101], off offset:296
.LBB47_96:
	s_or_b64 exec, exec, s[4:5]
	scratch_load_dwordx2 v[100:101], off, off offset:288
	v_cmp_lt_u32_e64 s[0:1], 36, v0
	s_waitcnt vmcnt(0)
	ds_write_b64 v1, v[100:101]
	s_waitcnt lgkmcnt(0)
	; wave barrier
	s_and_saveexec_b64 s[4:5], s[0:1]
	s_cbranch_execz .LBB47_106
; %bb.97:
	s_andn2_b64 vcc, exec, s[6:7]
	s_cbranch_vccnz .LBB47_99
; %bb.98:
	scratch_load_dwordx2 v[100:101], v17, off
	ds_read_b64 v[102:103], v1
	s_waitcnt vmcnt(0) lgkmcnt(0)
	v_mul_f64 v[100:101], v[100:101], v[102:103]
	s_cbranch_execz .LBB47_100
	s_branch .LBB47_101
.LBB47_99:
                                        ; implicit-def: $vgpr100_vgpr101
.LBB47_100:
	ds_read_b64 v[100:101], v1
.LBB47_101:
	s_and_saveexec_b64 s[8:9], s[2:3]
	s_cbranch_execz .LBB47_105
; %bb.102:
	s_movk_i32 s28, 0x128
	v_subrev_u32_e32 v102, 37, v0
	s_movk_i32 s29, 0x2a8
	s_mov_b64 s[2:3], 0
.LBB47_103:                             ; =>This Inner Loop Header: Depth=1
	scratch_load_dwordx2 v[104:105], off, s28
	v_mov_b32_e32 v103, s29
	ds_read_b64 v[106:107], v103
	v_add_u32_e32 v102, -1, v102
	s_add_i32 s29, s29, 8
	s_add_i32 s28, s28, 8
	v_cmp_eq_u32_e32 vcc, 0, v102
	s_or_b64 s[2:3], vcc, s[2:3]
	s_waitcnt vmcnt(0) lgkmcnt(0)
	v_fmac_f64_e32 v[100:101], v[104:105], v[106:107]
	s_andn2_b64 exec, exec, s[2:3]
	s_cbranch_execnz .LBB47_103
; %bb.104:
	s_or_b64 exec, exec, s[2:3]
.LBB47_105:
	s_or_b64 exec, exec, s[8:9]
	v_mov_b32_e32 v102, 0
	ds_read_b64 v[102:103], v102 offset:288
	s_waitcnt lgkmcnt(0)
	v_mul_f64 v[100:101], v[100:101], v[102:103]
	scratch_store_dwordx2 off, v[100:101], off offset:288
.LBB47_106:
	s_or_b64 exec, exec, s[4:5]
	scratch_load_dwordx2 v[100:101], off, off offset:280
	v_cmp_lt_u32_e64 s[2:3], 35, v0
	s_waitcnt vmcnt(0)
	ds_write_b64 v1, v[100:101]
	s_waitcnt lgkmcnt(0)
	; wave barrier
	s_and_saveexec_b64 s[4:5], s[2:3]
	s_cbranch_execz .LBB47_116
; %bb.107:
	s_andn2_b64 vcc, exec, s[6:7]
	s_cbranch_vccnz .LBB47_109
; %bb.108:
	scratch_load_dwordx2 v[100:101], v17, off
	ds_read_b64 v[102:103], v1
	s_waitcnt vmcnt(0) lgkmcnt(0)
	v_mul_f64 v[100:101], v[100:101], v[102:103]
	s_cbranch_execz .LBB47_110
	s_branch .LBB47_111
.LBB47_109:
                                        ; implicit-def: $vgpr100_vgpr101
.LBB47_110:
	ds_read_b64 v[100:101], v1
.LBB47_111:
	s_and_saveexec_b64 s[8:9], s[0:1]
	s_cbranch_execz .LBB47_115
; %bb.112:
	v_subrev_u32_e32 v102, 36, v0
	s_movk_i32 s28, 0x2a0
	s_mov_b64 s[0:1], 0
.LBB47_113:                             ; =>This Inner Loop Header: Depth=1
	scratch_load_dwordx2 v[104:105], off, s27
	v_mov_b32_e32 v103, s28
	ds_read_b64 v[106:107], v103
	v_add_u32_e32 v102, -1, v102
	s_add_i32 s28, s28, 8
	s_add_i32 s27, s27, 8
	v_cmp_eq_u32_e32 vcc, 0, v102
	s_or_b64 s[0:1], vcc, s[0:1]
	s_waitcnt vmcnt(0) lgkmcnt(0)
	v_fmac_f64_e32 v[100:101], v[104:105], v[106:107]
	s_andn2_b64 exec, exec, s[0:1]
	s_cbranch_execnz .LBB47_113
; %bb.114:
	s_or_b64 exec, exec, s[0:1]
.LBB47_115:
	s_or_b64 exec, exec, s[8:9]
	v_mov_b32_e32 v102, 0
	ds_read_b64 v[102:103], v102 offset:280
	s_waitcnt lgkmcnt(0)
	v_mul_f64 v[100:101], v[100:101], v[102:103]
	scratch_store_dwordx2 off, v[100:101], off offset:280
.LBB47_116:
	s_or_b64 exec, exec, s[4:5]
	scratch_load_dwordx2 v[100:101], off, off offset:272
	v_cmp_lt_u32_e64 s[0:1], 34, v0
	s_waitcnt vmcnt(0)
	ds_write_b64 v1, v[100:101]
	s_waitcnt lgkmcnt(0)
	; wave barrier
	s_and_saveexec_b64 s[4:5], s[0:1]
	s_cbranch_execz .LBB47_126
; %bb.117:
	s_andn2_b64 vcc, exec, s[6:7]
	s_cbranch_vccnz .LBB47_119
; %bb.118:
	scratch_load_dwordx2 v[100:101], v17, off
	ds_read_b64 v[102:103], v1
	s_waitcnt vmcnt(0) lgkmcnt(0)
	v_mul_f64 v[100:101], v[100:101], v[102:103]
	s_cbranch_execz .LBB47_120
	s_branch .LBB47_121
.LBB47_119:
                                        ; implicit-def: $vgpr100_vgpr101
.LBB47_120:
	ds_read_b64 v[100:101], v1
.LBB47_121:
	s_and_saveexec_b64 s[8:9], s[2:3]
	s_cbranch_execz .LBB47_125
; %bb.122:
	s_movk_i32 s27, 0x118
	v_subrev_u32_e32 v102, 35, v0
	s_movk_i32 s28, 0x298
	s_mov_b64 s[2:3], 0
.LBB47_123:                             ; =>This Inner Loop Header: Depth=1
	scratch_load_dwordx2 v[104:105], off, s27
	v_mov_b32_e32 v103, s28
	ds_read_b64 v[106:107], v103
	v_add_u32_e32 v102, -1, v102
	s_add_i32 s28, s28, 8
	s_add_i32 s27, s27, 8
	v_cmp_eq_u32_e32 vcc, 0, v102
	s_or_b64 s[2:3], vcc, s[2:3]
	s_waitcnt vmcnt(0) lgkmcnt(0)
	v_fmac_f64_e32 v[100:101], v[104:105], v[106:107]
	s_andn2_b64 exec, exec, s[2:3]
	s_cbranch_execnz .LBB47_123
; %bb.124:
	s_or_b64 exec, exec, s[2:3]
.LBB47_125:
	s_or_b64 exec, exec, s[8:9]
	v_mov_b32_e32 v102, 0
	ds_read_b64 v[102:103], v102 offset:272
	s_waitcnt lgkmcnt(0)
	v_mul_f64 v[100:101], v[100:101], v[102:103]
	scratch_store_dwordx2 off, v[100:101], off offset:272
.LBB47_126:
	s_or_b64 exec, exec, s[4:5]
	scratch_load_dwordx2 v[100:101], off, off offset:264
	v_cmp_lt_u32_e64 s[2:3], 33, v0
	s_waitcnt vmcnt(0)
	ds_write_b64 v1, v[100:101]
	s_waitcnt lgkmcnt(0)
	; wave barrier
	s_and_saveexec_b64 s[4:5], s[2:3]
	s_cbranch_execz .LBB47_136
; %bb.127:
	s_andn2_b64 vcc, exec, s[6:7]
	s_cbranch_vccnz .LBB47_129
; %bb.128:
	scratch_load_dwordx2 v[100:101], v17, off
	ds_read_b64 v[102:103], v1
	s_waitcnt vmcnt(0) lgkmcnt(0)
	v_mul_f64 v[100:101], v[100:101], v[102:103]
	s_cbranch_execz .LBB47_130
	s_branch .LBB47_131
.LBB47_129:
                                        ; implicit-def: $vgpr100_vgpr101
.LBB47_130:
	ds_read_b64 v[100:101], v1
.LBB47_131:
	s_and_saveexec_b64 s[8:9], s[0:1]
	s_cbranch_execz .LBB47_135
; %bb.132:
	v_subrev_u32_e32 v102, 34, v0
	s_movk_i32 s27, 0x290
	s_mov_b64 s[0:1], 0
.LBB47_133:                             ; =>This Inner Loop Header: Depth=1
	scratch_load_dwordx2 v[104:105], off, s26
	v_mov_b32_e32 v103, s27
	ds_read_b64 v[106:107], v103
	v_add_u32_e32 v102, -1, v102
	s_add_i32 s27, s27, 8
	s_add_i32 s26, s26, 8
	v_cmp_eq_u32_e32 vcc, 0, v102
	s_or_b64 s[0:1], vcc, s[0:1]
	s_waitcnt vmcnt(0) lgkmcnt(0)
	v_fmac_f64_e32 v[100:101], v[104:105], v[106:107]
	s_andn2_b64 exec, exec, s[0:1]
	s_cbranch_execnz .LBB47_133
; %bb.134:
	s_or_b64 exec, exec, s[0:1]
.LBB47_135:
	s_or_b64 exec, exec, s[8:9]
	v_mov_b32_e32 v102, 0
	ds_read_b64 v[102:103], v102 offset:264
	s_waitcnt lgkmcnt(0)
	v_mul_f64 v[100:101], v[100:101], v[102:103]
	scratch_store_dwordx2 off, v[100:101], off offset:264
.LBB47_136:
	s_or_b64 exec, exec, s[4:5]
	scratch_load_dwordx2 v[100:101], off, off offset:256
	v_cmp_lt_u32_e64 s[0:1], 32, v0
	s_waitcnt vmcnt(0)
	ds_write_b64 v1, v[100:101]
	s_waitcnt lgkmcnt(0)
	; wave barrier
	s_and_saveexec_b64 s[4:5], s[0:1]
	s_cbranch_execz .LBB47_146
; %bb.137:
	s_andn2_b64 vcc, exec, s[6:7]
	s_cbranch_vccnz .LBB47_139
; %bb.138:
	scratch_load_dwordx2 v[100:101], v17, off
	ds_read_b64 v[102:103], v1
	s_waitcnt vmcnt(0) lgkmcnt(0)
	v_mul_f64 v[100:101], v[100:101], v[102:103]
	s_cbranch_execz .LBB47_140
	s_branch .LBB47_141
.LBB47_139:
                                        ; implicit-def: $vgpr100_vgpr101
.LBB47_140:
	ds_read_b64 v[100:101], v1
.LBB47_141:
	s_and_saveexec_b64 s[8:9], s[2:3]
	s_cbranch_execz .LBB47_145
; %bb.142:
	s_movk_i32 s26, 0x108
	v_subrev_u32_e32 v102, 33, v0
	s_movk_i32 s27, 0x288
	s_mov_b64 s[2:3], 0
.LBB47_143:                             ; =>This Inner Loop Header: Depth=1
	scratch_load_dwordx2 v[104:105], off, s26
	v_mov_b32_e32 v103, s27
	ds_read_b64 v[106:107], v103
	v_add_u32_e32 v102, -1, v102
	s_add_i32 s27, s27, 8
	s_add_i32 s26, s26, 8
	v_cmp_eq_u32_e32 vcc, 0, v102
	s_or_b64 s[2:3], vcc, s[2:3]
	s_waitcnt vmcnt(0) lgkmcnt(0)
	v_fmac_f64_e32 v[100:101], v[104:105], v[106:107]
	s_andn2_b64 exec, exec, s[2:3]
	s_cbranch_execnz .LBB47_143
; %bb.144:
	s_or_b64 exec, exec, s[2:3]
.LBB47_145:
	s_or_b64 exec, exec, s[8:9]
	v_mov_b32_e32 v102, 0
	ds_read_b64 v[102:103], v102 offset:256
	s_waitcnt lgkmcnt(0)
	v_mul_f64 v[100:101], v[100:101], v[102:103]
	scratch_store_dwordx2 off, v[100:101], off offset:256
.LBB47_146:
	s_or_b64 exec, exec, s[4:5]
	scratch_load_dwordx2 v[100:101], off, off offset:248
	v_cmp_lt_u32_e64 s[2:3], 31, v0
	s_waitcnt vmcnt(0)
	ds_write_b64 v1, v[100:101]
	s_waitcnt lgkmcnt(0)
	; wave barrier
	s_and_saveexec_b64 s[4:5], s[2:3]
	s_cbranch_execz .LBB47_156
; %bb.147:
	s_andn2_b64 vcc, exec, s[6:7]
	s_cbranch_vccnz .LBB47_149
; %bb.148:
	scratch_load_dwordx2 v[100:101], v17, off
	ds_read_b64 v[102:103], v1
	s_waitcnt vmcnt(0) lgkmcnt(0)
	v_mul_f64 v[100:101], v[100:101], v[102:103]
	s_cbranch_execz .LBB47_150
	s_branch .LBB47_151
.LBB47_149:
                                        ; implicit-def: $vgpr100_vgpr101
.LBB47_150:
	ds_read_b64 v[100:101], v1
.LBB47_151:
	s_and_saveexec_b64 s[8:9], s[0:1]
	s_cbranch_execz .LBB47_155
; %bb.152:
	v_subrev_u32_e32 v102, 32, v0
	s_movk_i32 s26, 0x280
	s_mov_b64 s[0:1], 0
.LBB47_153:                             ; =>This Inner Loop Header: Depth=1
	scratch_load_dwordx2 v[104:105], off, s25
	v_mov_b32_e32 v103, s26
	ds_read_b64 v[106:107], v103
	v_add_u32_e32 v102, -1, v102
	s_add_i32 s26, s26, 8
	s_add_i32 s25, s25, 8
	v_cmp_eq_u32_e32 vcc, 0, v102
	s_or_b64 s[0:1], vcc, s[0:1]
	s_waitcnt vmcnt(0) lgkmcnt(0)
	v_fmac_f64_e32 v[100:101], v[104:105], v[106:107]
	s_andn2_b64 exec, exec, s[0:1]
	s_cbranch_execnz .LBB47_153
; %bb.154:
	s_or_b64 exec, exec, s[0:1]
.LBB47_155:
	s_or_b64 exec, exec, s[8:9]
	v_mov_b32_e32 v102, 0
	ds_read_b64 v[102:103], v102 offset:248
	s_waitcnt lgkmcnt(0)
	v_mul_f64 v[100:101], v[100:101], v[102:103]
	scratch_store_dwordx2 off, v[100:101], off offset:248
.LBB47_156:
	s_or_b64 exec, exec, s[4:5]
	scratch_load_dwordx2 v[100:101], off, off offset:240
	v_cmp_lt_u32_e64 s[0:1], 30, v0
	s_waitcnt vmcnt(0)
	ds_write_b64 v1, v[100:101]
	s_waitcnt lgkmcnt(0)
	; wave barrier
	s_and_saveexec_b64 s[4:5], s[0:1]
	s_cbranch_execz .LBB47_166
; %bb.157:
	s_andn2_b64 vcc, exec, s[6:7]
	s_cbranch_vccnz .LBB47_159
; %bb.158:
	scratch_load_dwordx2 v[100:101], v17, off
	ds_read_b64 v[102:103], v1
	s_waitcnt vmcnt(0) lgkmcnt(0)
	v_mul_f64 v[100:101], v[100:101], v[102:103]
	s_cbranch_execz .LBB47_160
	s_branch .LBB47_161
.LBB47_159:
                                        ; implicit-def: $vgpr100_vgpr101
.LBB47_160:
	ds_read_b64 v[100:101], v1
.LBB47_161:
	s_and_saveexec_b64 s[8:9], s[2:3]
	s_cbranch_execz .LBB47_165
; %bb.162:
	s_movk_i32 s25, 0xf8
	v_subrev_u32_e32 v102, 31, v0
	s_movk_i32 s26, 0x278
	s_mov_b64 s[2:3], 0
.LBB47_163:                             ; =>This Inner Loop Header: Depth=1
	scratch_load_dwordx2 v[104:105], off, s25
	v_mov_b32_e32 v103, s26
	ds_read_b64 v[106:107], v103
	v_add_u32_e32 v102, -1, v102
	s_add_i32 s26, s26, 8
	s_add_i32 s25, s25, 8
	v_cmp_eq_u32_e32 vcc, 0, v102
	s_or_b64 s[2:3], vcc, s[2:3]
	s_waitcnt vmcnt(0) lgkmcnt(0)
	v_fmac_f64_e32 v[100:101], v[104:105], v[106:107]
	s_andn2_b64 exec, exec, s[2:3]
	s_cbranch_execnz .LBB47_163
; %bb.164:
	s_or_b64 exec, exec, s[2:3]
.LBB47_165:
	s_or_b64 exec, exec, s[8:9]
	v_mov_b32_e32 v102, 0
	ds_read_b64 v[102:103], v102 offset:240
	s_waitcnt lgkmcnt(0)
	v_mul_f64 v[100:101], v[100:101], v[102:103]
	scratch_store_dwordx2 off, v[100:101], off offset:240
.LBB47_166:
	s_or_b64 exec, exec, s[4:5]
	scratch_load_dwordx2 v[100:101], off, off offset:232
	v_cmp_lt_u32_e64 s[2:3], 29, v0
	s_waitcnt vmcnt(0)
	ds_write_b64 v1, v[100:101]
	s_waitcnt lgkmcnt(0)
	; wave barrier
	s_and_saveexec_b64 s[4:5], s[2:3]
	s_cbranch_execz .LBB47_176
; %bb.167:
	s_andn2_b64 vcc, exec, s[6:7]
	s_cbranch_vccnz .LBB47_169
; %bb.168:
	scratch_load_dwordx2 v[100:101], v17, off
	ds_read_b64 v[102:103], v1
	s_waitcnt vmcnt(0) lgkmcnt(0)
	v_mul_f64 v[100:101], v[100:101], v[102:103]
	s_cbranch_execz .LBB47_170
	s_branch .LBB47_171
.LBB47_169:
                                        ; implicit-def: $vgpr100_vgpr101
.LBB47_170:
	ds_read_b64 v[100:101], v1
.LBB47_171:
	s_and_saveexec_b64 s[8:9], s[0:1]
	s_cbranch_execz .LBB47_175
; %bb.172:
	v_subrev_u32_e32 v102, 30, v0
	s_movk_i32 s25, 0x270
	s_mov_b64 s[0:1], 0
.LBB47_173:                             ; =>This Inner Loop Header: Depth=1
	scratch_load_dwordx2 v[104:105], off, s24
	v_mov_b32_e32 v103, s25
	ds_read_b64 v[106:107], v103
	v_add_u32_e32 v102, -1, v102
	s_add_i32 s25, s25, 8
	s_add_i32 s24, s24, 8
	v_cmp_eq_u32_e32 vcc, 0, v102
	s_or_b64 s[0:1], vcc, s[0:1]
	s_waitcnt vmcnt(0) lgkmcnt(0)
	v_fmac_f64_e32 v[100:101], v[104:105], v[106:107]
	s_andn2_b64 exec, exec, s[0:1]
	s_cbranch_execnz .LBB47_173
; %bb.174:
	s_or_b64 exec, exec, s[0:1]
.LBB47_175:
	s_or_b64 exec, exec, s[8:9]
	v_mov_b32_e32 v102, 0
	ds_read_b64 v[102:103], v102 offset:232
	s_waitcnt lgkmcnt(0)
	v_mul_f64 v[100:101], v[100:101], v[102:103]
	scratch_store_dwordx2 off, v[100:101], off offset:232
.LBB47_176:
	s_or_b64 exec, exec, s[4:5]
	scratch_load_dwordx2 v[100:101], off, off offset:224
	v_cmp_lt_u32_e64 s[0:1], 28, v0
	s_waitcnt vmcnt(0)
	ds_write_b64 v1, v[100:101]
	s_waitcnt lgkmcnt(0)
	; wave barrier
	s_and_saveexec_b64 s[4:5], s[0:1]
	s_cbranch_execz .LBB47_186
; %bb.177:
	s_andn2_b64 vcc, exec, s[6:7]
	s_cbranch_vccnz .LBB47_179
; %bb.178:
	scratch_load_dwordx2 v[100:101], v17, off
	ds_read_b64 v[102:103], v1
	s_waitcnt vmcnt(0) lgkmcnt(0)
	v_mul_f64 v[100:101], v[100:101], v[102:103]
	s_cbranch_execz .LBB47_180
	s_branch .LBB47_181
.LBB47_179:
                                        ; implicit-def: $vgpr100_vgpr101
.LBB47_180:
	ds_read_b64 v[100:101], v1
.LBB47_181:
	s_and_saveexec_b64 s[8:9], s[2:3]
	s_cbranch_execz .LBB47_185
; %bb.182:
	s_movk_i32 s24, 0xe8
	v_subrev_u32_e32 v102, 29, v0
	s_movk_i32 s25, 0x268
	s_mov_b64 s[2:3], 0
.LBB47_183:                             ; =>This Inner Loop Header: Depth=1
	scratch_load_dwordx2 v[104:105], off, s24
	v_mov_b32_e32 v103, s25
	ds_read_b64 v[106:107], v103
	v_add_u32_e32 v102, -1, v102
	s_add_i32 s25, s25, 8
	s_add_i32 s24, s24, 8
	v_cmp_eq_u32_e32 vcc, 0, v102
	s_or_b64 s[2:3], vcc, s[2:3]
	s_waitcnt vmcnt(0) lgkmcnt(0)
	v_fmac_f64_e32 v[100:101], v[104:105], v[106:107]
	s_andn2_b64 exec, exec, s[2:3]
	s_cbranch_execnz .LBB47_183
; %bb.184:
	s_or_b64 exec, exec, s[2:3]
.LBB47_185:
	s_or_b64 exec, exec, s[8:9]
	v_mov_b32_e32 v102, 0
	ds_read_b64 v[102:103], v102 offset:224
	s_waitcnt lgkmcnt(0)
	v_mul_f64 v[100:101], v[100:101], v[102:103]
	scratch_store_dwordx2 off, v[100:101], off offset:224
.LBB47_186:
	s_or_b64 exec, exec, s[4:5]
	scratch_load_dwordx2 v[100:101], off, off offset:216
	v_cmp_lt_u32_e64 s[2:3], 27, v0
	s_waitcnt vmcnt(0)
	ds_write_b64 v1, v[100:101]
	s_waitcnt lgkmcnt(0)
	; wave barrier
	s_and_saveexec_b64 s[4:5], s[2:3]
	s_cbranch_execz .LBB47_196
; %bb.187:
	s_andn2_b64 vcc, exec, s[6:7]
	s_cbranch_vccnz .LBB47_189
; %bb.188:
	scratch_load_dwordx2 v[100:101], v17, off
	ds_read_b64 v[102:103], v1
	s_waitcnt vmcnt(0) lgkmcnt(0)
	v_mul_f64 v[100:101], v[100:101], v[102:103]
	s_cbranch_execz .LBB47_190
	s_branch .LBB47_191
.LBB47_189:
                                        ; implicit-def: $vgpr100_vgpr101
.LBB47_190:
	ds_read_b64 v[100:101], v1
.LBB47_191:
	s_and_saveexec_b64 s[8:9], s[0:1]
	s_cbranch_execz .LBB47_195
; %bb.192:
	v_subrev_u32_e32 v102, 28, v0
	s_movk_i32 s24, 0x260
	s_mov_b64 s[0:1], 0
.LBB47_193:                             ; =>This Inner Loop Header: Depth=1
	scratch_load_dwordx2 v[104:105], off, s23
	v_mov_b32_e32 v103, s24
	ds_read_b64 v[106:107], v103
	v_add_u32_e32 v102, -1, v102
	s_add_i32 s24, s24, 8
	s_add_i32 s23, s23, 8
	v_cmp_eq_u32_e32 vcc, 0, v102
	s_or_b64 s[0:1], vcc, s[0:1]
	s_waitcnt vmcnt(0) lgkmcnt(0)
	v_fmac_f64_e32 v[100:101], v[104:105], v[106:107]
	s_andn2_b64 exec, exec, s[0:1]
	s_cbranch_execnz .LBB47_193
; %bb.194:
	s_or_b64 exec, exec, s[0:1]
.LBB47_195:
	s_or_b64 exec, exec, s[8:9]
	v_mov_b32_e32 v102, 0
	ds_read_b64 v[102:103], v102 offset:216
	s_waitcnt lgkmcnt(0)
	v_mul_f64 v[100:101], v[100:101], v[102:103]
	scratch_store_dwordx2 off, v[100:101], off offset:216
.LBB47_196:
	s_or_b64 exec, exec, s[4:5]
	scratch_load_dwordx2 v[100:101], off, off offset:208
	v_cmp_lt_u32_e64 s[0:1], 26, v0
	s_waitcnt vmcnt(0)
	ds_write_b64 v1, v[100:101]
	s_waitcnt lgkmcnt(0)
	; wave barrier
	s_and_saveexec_b64 s[4:5], s[0:1]
	s_cbranch_execz .LBB47_206
; %bb.197:
	s_andn2_b64 vcc, exec, s[6:7]
	s_cbranch_vccnz .LBB47_199
; %bb.198:
	scratch_load_dwordx2 v[100:101], v17, off
	ds_read_b64 v[102:103], v1
	s_waitcnt vmcnt(0) lgkmcnt(0)
	v_mul_f64 v[100:101], v[100:101], v[102:103]
	s_cbranch_execz .LBB47_200
	s_branch .LBB47_201
.LBB47_199:
                                        ; implicit-def: $vgpr100_vgpr101
.LBB47_200:
	ds_read_b64 v[100:101], v1
.LBB47_201:
	s_and_saveexec_b64 s[8:9], s[2:3]
	s_cbranch_execz .LBB47_205
; %bb.202:
	s_movk_i32 s23, 0xd8
	v_subrev_u32_e32 v102, 27, v0
	s_movk_i32 s24, 0x258
	s_mov_b64 s[2:3], 0
.LBB47_203:                             ; =>This Inner Loop Header: Depth=1
	scratch_load_dwordx2 v[104:105], off, s23
	v_mov_b32_e32 v103, s24
	ds_read_b64 v[106:107], v103
	v_add_u32_e32 v102, -1, v102
	s_add_i32 s24, s24, 8
	s_add_i32 s23, s23, 8
	v_cmp_eq_u32_e32 vcc, 0, v102
	s_or_b64 s[2:3], vcc, s[2:3]
	s_waitcnt vmcnt(0) lgkmcnt(0)
	v_fmac_f64_e32 v[100:101], v[104:105], v[106:107]
	s_andn2_b64 exec, exec, s[2:3]
	s_cbranch_execnz .LBB47_203
; %bb.204:
	s_or_b64 exec, exec, s[2:3]
.LBB47_205:
	s_or_b64 exec, exec, s[8:9]
	v_mov_b32_e32 v102, 0
	ds_read_b64 v[102:103], v102 offset:208
	s_waitcnt lgkmcnt(0)
	v_mul_f64 v[100:101], v[100:101], v[102:103]
	scratch_store_dwordx2 off, v[100:101], off offset:208
.LBB47_206:
	s_or_b64 exec, exec, s[4:5]
	scratch_load_dwordx2 v[100:101], off, off offset:200
	v_cmp_lt_u32_e64 s[2:3], 25, v0
	s_waitcnt vmcnt(0)
	ds_write_b64 v1, v[100:101]
	s_waitcnt lgkmcnt(0)
	; wave barrier
	s_and_saveexec_b64 s[4:5], s[2:3]
	s_cbranch_execz .LBB47_216
; %bb.207:
	s_andn2_b64 vcc, exec, s[6:7]
	s_cbranch_vccnz .LBB47_209
; %bb.208:
	scratch_load_dwordx2 v[100:101], v17, off
	ds_read_b64 v[102:103], v1
	s_waitcnt vmcnt(0) lgkmcnt(0)
	v_mul_f64 v[100:101], v[100:101], v[102:103]
	s_cbranch_execz .LBB47_210
	s_branch .LBB47_211
.LBB47_209:
                                        ; implicit-def: $vgpr100_vgpr101
.LBB47_210:
	ds_read_b64 v[100:101], v1
.LBB47_211:
	s_and_saveexec_b64 s[8:9], s[0:1]
	s_cbranch_execz .LBB47_215
; %bb.212:
	v_subrev_u32_e32 v102, 26, v0
	s_movk_i32 s23, 0x250
	s_mov_b64 s[0:1], 0
.LBB47_213:                             ; =>This Inner Loop Header: Depth=1
	scratch_load_dwordx2 v[104:105], off, s22
	v_mov_b32_e32 v103, s23
	ds_read_b64 v[106:107], v103
	v_add_u32_e32 v102, -1, v102
	s_add_i32 s23, s23, 8
	s_add_i32 s22, s22, 8
	v_cmp_eq_u32_e32 vcc, 0, v102
	s_or_b64 s[0:1], vcc, s[0:1]
	s_waitcnt vmcnt(0) lgkmcnt(0)
	v_fmac_f64_e32 v[100:101], v[104:105], v[106:107]
	s_andn2_b64 exec, exec, s[0:1]
	s_cbranch_execnz .LBB47_213
; %bb.214:
	s_or_b64 exec, exec, s[0:1]
.LBB47_215:
	s_or_b64 exec, exec, s[8:9]
	v_mov_b32_e32 v102, 0
	ds_read_b64 v[102:103], v102 offset:200
	s_waitcnt lgkmcnt(0)
	v_mul_f64 v[100:101], v[100:101], v[102:103]
	scratch_store_dwordx2 off, v[100:101], off offset:200
.LBB47_216:
	s_or_b64 exec, exec, s[4:5]
	scratch_load_dwordx2 v[100:101], off, off offset:192
	v_cmp_lt_u32_e64 s[0:1], 24, v0
	s_waitcnt vmcnt(0)
	ds_write_b64 v1, v[100:101]
	s_waitcnt lgkmcnt(0)
	; wave barrier
	s_and_saveexec_b64 s[4:5], s[0:1]
	s_cbranch_execz .LBB47_226
; %bb.217:
	s_andn2_b64 vcc, exec, s[6:7]
	s_cbranch_vccnz .LBB47_219
; %bb.218:
	scratch_load_dwordx2 v[100:101], v17, off
	ds_read_b64 v[102:103], v1
	s_waitcnt vmcnt(0) lgkmcnt(0)
	v_mul_f64 v[100:101], v[100:101], v[102:103]
	s_cbranch_execz .LBB47_220
	s_branch .LBB47_221
.LBB47_219:
                                        ; implicit-def: $vgpr100_vgpr101
.LBB47_220:
	ds_read_b64 v[100:101], v1
.LBB47_221:
	s_and_saveexec_b64 s[8:9], s[2:3]
	s_cbranch_execz .LBB47_225
; %bb.222:
	s_movk_i32 s22, 0xc8
	v_subrev_u32_e32 v102, 25, v0
	s_movk_i32 s23, 0x248
	s_mov_b64 s[2:3], 0
.LBB47_223:                             ; =>This Inner Loop Header: Depth=1
	scratch_load_dwordx2 v[104:105], off, s22
	v_mov_b32_e32 v103, s23
	ds_read_b64 v[106:107], v103
	v_add_u32_e32 v102, -1, v102
	s_add_i32 s23, s23, 8
	s_add_i32 s22, s22, 8
	v_cmp_eq_u32_e32 vcc, 0, v102
	s_or_b64 s[2:3], vcc, s[2:3]
	s_waitcnt vmcnt(0) lgkmcnt(0)
	v_fmac_f64_e32 v[100:101], v[104:105], v[106:107]
	s_andn2_b64 exec, exec, s[2:3]
	s_cbranch_execnz .LBB47_223
; %bb.224:
	s_or_b64 exec, exec, s[2:3]
.LBB47_225:
	s_or_b64 exec, exec, s[8:9]
	v_mov_b32_e32 v102, 0
	ds_read_b64 v[102:103], v102 offset:192
	s_waitcnt lgkmcnt(0)
	v_mul_f64 v[100:101], v[100:101], v[102:103]
	scratch_store_dwordx2 off, v[100:101], off offset:192
.LBB47_226:
	s_or_b64 exec, exec, s[4:5]
	scratch_load_dwordx2 v[100:101], off, off offset:184
	v_cmp_lt_u32_e64 s[2:3], 23, v0
	s_waitcnt vmcnt(0)
	ds_write_b64 v1, v[100:101]
	s_waitcnt lgkmcnt(0)
	; wave barrier
	s_and_saveexec_b64 s[4:5], s[2:3]
	s_cbranch_execz .LBB47_236
; %bb.227:
	s_andn2_b64 vcc, exec, s[6:7]
	s_cbranch_vccnz .LBB47_229
; %bb.228:
	scratch_load_dwordx2 v[100:101], v17, off
	ds_read_b64 v[102:103], v1
	s_waitcnt vmcnt(0) lgkmcnt(0)
	v_mul_f64 v[100:101], v[100:101], v[102:103]
	s_cbranch_execz .LBB47_230
	s_branch .LBB47_231
.LBB47_229:
                                        ; implicit-def: $vgpr100_vgpr101
.LBB47_230:
	ds_read_b64 v[100:101], v1
.LBB47_231:
	s_and_saveexec_b64 s[8:9], s[0:1]
	s_cbranch_execz .LBB47_235
; %bb.232:
	v_subrev_u32_e32 v102, 24, v0
	s_movk_i32 s22, 0x240
	s_mov_b64 s[0:1], 0
.LBB47_233:                             ; =>This Inner Loop Header: Depth=1
	scratch_load_dwordx2 v[104:105], off, s21
	v_mov_b32_e32 v103, s22
	ds_read_b64 v[106:107], v103
	v_add_u32_e32 v102, -1, v102
	s_add_i32 s22, s22, 8
	s_add_i32 s21, s21, 8
	v_cmp_eq_u32_e32 vcc, 0, v102
	s_or_b64 s[0:1], vcc, s[0:1]
	s_waitcnt vmcnt(0) lgkmcnt(0)
	v_fmac_f64_e32 v[100:101], v[104:105], v[106:107]
	s_andn2_b64 exec, exec, s[0:1]
	s_cbranch_execnz .LBB47_233
; %bb.234:
	s_or_b64 exec, exec, s[0:1]
.LBB47_235:
	s_or_b64 exec, exec, s[8:9]
	v_mov_b32_e32 v102, 0
	ds_read_b64 v[102:103], v102 offset:184
	s_waitcnt lgkmcnt(0)
	v_mul_f64 v[100:101], v[100:101], v[102:103]
	scratch_store_dwordx2 off, v[100:101], off offset:184
.LBB47_236:
	s_or_b64 exec, exec, s[4:5]
	scratch_load_dwordx2 v[100:101], off, off offset:176
	v_cmp_lt_u32_e64 s[0:1], 22, v0
	s_waitcnt vmcnt(0)
	ds_write_b64 v1, v[100:101]
	s_waitcnt lgkmcnt(0)
	; wave barrier
	s_and_saveexec_b64 s[4:5], s[0:1]
	s_cbranch_execz .LBB47_246
; %bb.237:
	s_andn2_b64 vcc, exec, s[6:7]
	s_cbranch_vccnz .LBB47_239
; %bb.238:
	scratch_load_dwordx2 v[100:101], v17, off
	ds_read_b64 v[102:103], v1
	s_waitcnt vmcnt(0) lgkmcnt(0)
	v_mul_f64 v[100:101], v[100:101], v[102:103]
	s_cbranch_execz .LBB47_240
	s_branch .LBB47_241
.LBB47_239:
                                        ; implicit-def: $vgpr100_vgpr101
.LBB47_240:
	ds_read_b64 v[100:101], v1
.LBB47_241:
	s_and_saveexec_b64 s[8:9], s[2:3]
	s_cbranch_execz .LBB47_245
; %bb.242:
	s_movk_i32 s21, 0xb8
	v_subrev_u32_e32 v102, 23, v0
	s_movk_i32 s22, 0x238
	s_mov_b64 s[2:3], 0
.LBB47_243:                             ; =>This Inner Loop Header: Depth=1
	scratch_load_dwordx2 v[104:105], off, s21
	v_mov_b32_e32 v103, s22
	ds_read_b64 v[106:107], v103
	v_add_u32_e32 v102, -1, v102
	s_add_i32 s22, s22, 8
	s_add_i32 s21, s21, 8
	v_cmp_eq_u32_e32 vcc, 0, v102
	s_or_b64 s[2:3], vcc, s[2:3]
	s_waitcnt vmcnt(0) lgkmcnt(0)
	v_fmac_f64_e32 v[100:101], v[104:105], v[106:107]
	s_andn2_b64 exec, exec, s[2:3]
	s_cbranch_execnz .LBB47_243
; %bb.244:
	s_or_b64 exec, exec, s[2:3]
.LBB47_245:
	s_or_b64 exec, exec, s[8:9]
	v_mov_b32_e32 v102, 0
	ds_read_b64 v[102:103], v102 offset:176
	s_waitcnt lgkmcnt(0)
	v_mul_f64 v[100:101], v[100:101], v[102:103]
	scratch_store_dwordx2 off, v[100:101], off offset:176
.LBB47_246:
	s_or_b64 exec, exec, s[4:5]
	scratch_load_dwordx2 v[100:101], off, off offset:168
	v_cmp_lt_u32_e64 s[2:3], 21, v0
	s_waitcnt vmcnt(0)
	ds_write_b64 v1, v[100:101]
	s_waitcnt lgkmcnt(0)
	; wave barrier
	s_and_saveexec_b64 s[4:5], s[2:3]
	s_cbranch_execz .LBB47_256
; %bb.247:
	s_andn2_b64 vcc, exec, s[6:7]
	s_cbranch_vccnz .LBB47_249
; %bb.248:
	scratch_load_dwordx2 v[100:101], v17, off
	ds_read_b64 v[102:103], v1
	s_waitcnt vmcnt(0) lgkmcnt(0)
	v_mul_f64 v[100:101], v[100:101], v[102:103]
	s_cbranch_execz .LBB47_250
	s_branch .LBB47_251
.LBB47_249:
                                        ; implicit-def: $vgpr100_vgpr101
.LBB47_250:
	ds_read_b64 v[100:101], v1
.LBB47_251:
	s_and_saveexec_b64 s[8:9], s[0:1]
	s_cbranch_execz .LBB47_255
; %bb.252:
	v_subrev_u32_e32 v102, 22, v0
	s_movk_i32 s21, 0x230
	s_mov_b64 s[0:1], 0
.LBB47_253:                             ; =>This Inner Loop Header: Depth=1
	scratch_load_dwordx2 v[104:105], off, s20
	v_mov_b32_e32 v103, s21
	ds_read_b64 v[106:107], v103
	v_add_u32_e32 v102, -1, v102
	s_add_i32 s21, s21, 8
	s_add_i32 s20, s20, 8
	v_cmp_eq_u32_e32 vcc, 0, v102
	s_or_b64 s[0:1], vcc, s[0:1]
	s_waitcnt vmcnt(0) lgkmcnt(0)
	v_fmac_f64_e32 v[100:101], v[104:105], v[106:107]
	s_andn2_b64 exec, exec, s[0:1]
	s_cbranch_execnz .LBB47_253
; %bb.254:
	s_or_b64 exec, exec, s[0:1]
.LBB47_255:
	s_or_b64 exec, exec, s[8:9]
	v_mov_b32_e32 v102, 0
	ds_read_b64 v[102:103], v102 offset:168
	s_waitcnt lgkmcnt(0)
	v_mul_f64 v[100:101], v[100:101], v[102:103]
	scratch_store_dwordx2 off, v[100:101], off offset:168
.LBB47_256:
	s_or_b64 exec, exec, s[4:5]
	scratch_load_dwordx2 v[100:101], off, off offset:160
	v_cmp_lt_u32_e64 s[0:1], 20, v0
	s_waitcnt vmcnt(0)
	ds_write_b64 v1, v[100:101]
	s_waitcnt lgkmcnt(0)
	; wave barrier
	s_and_saveexec_b64 s[4:5], s[0:1]
	s_cbranch_execz .LBB47_266
; %bb.257:
	s_andn2_b64 vcc, exec, s[6:7]
	s_cbranch_vccnz .LBB47_259
; %bb.258:
	scratch_load_dwordx2 v[100:101], v17, off
	ds_read_b64 v[102:103], v1
	s_waitcnt vmcnt(0) lgkmcnt(0)
	v_mul_f64 v[100:101], v[100:101], v[102:103]
	s_cbranch_execz .LBB47_260
	s_branch .LBB47_261
.LBB47_259:
                                        ; implicit-def: $vgpr100_vgpr101
.LBB47_260:
	ds_read_b64 v[100:101], v1
.LBB47_261:
	s_and_saveexec_b64 s[8:9], s[2:3]
	s_cbranch_execz .LBB47_265
; %bb.262:
	s_movk_i32 s20, 0xa8
	v_subrev_u32_e32 v102, 21, v0
	s_movk_i32 s21, 0x228
	s_mov_b64 s[2:3], 0
.LBB47_263:                             ; =>This Inner Loop Header: Depth=1
	scratch_load_dwordx2 v[104:105], off, s20
	v_mov_b32_e32 v103, s21
	ds_read_b64 v[106:107], v103
	v_add_u32_e32 v102, -1, v102
	s_add_i32 s21, s21, 8
	s_add_i32 s20, s20, 8
	v_cmp_eq_u32_e32 vcc, 0, v102
	s_or_b64 s[2:3], vcc, s[2:3]
	s_waitcnt vmcnt(0) lgkmcnt(0)
	v_fmac_f64_e32 v[100:101], v[104:105], v[106:107]
	s_andn2_b64 exec, exec, s[2:3]
	s_cbranch_execnz .LBB47_263
; %bb.264:
	s_or_b64 exec, exec, s[2:3]
.LBB47_265:
	s_or_b64 exec, exec, s[8:9]
	v_mov_b32_e32 v102, 0
	ds_read_b64 v[102:103], v102 offset:160
	s_waitcnt lgkmcnt(0)
	v_mul_f64 v[100:101], v[100:101], v[102:103]
	scratch_store_dwordx2 off, v[100:101], off offset:160
.LBB47_266:
	s_or_b64 exec, exec, s[4:5]
	scratch_load_dwordx2 v[100:101], off, off offset:152
	v_cmp_lt_u32_e64 s[2:3], 19, v0
	s_waitcnt vmcnt(0)
	ds_write_b64 v1, v[100:101]
	s_waitcnt lgkmcnt(0)
	; wave barrier
	s_and_saveexec_b64 s[4:5], s[2:3]
	s_cbranch_execz .LBB47_276
; %bb.267:
	s_andn2_b64 vcc, exec, s[6:7]
	s_cbranch_vccnz .LBB47_269
; %bb.268:
	scratch_load_dwordx2 v[100:101], v17, off
	ds_read_b64 v[102:103], v1
	s_waitcnt vmcnt(0) lgkmcnt(0)
	v_mul_f64 v[100:101], v[100:101], v[102:103]
	s_cbranch_execz .LBB47_270
	s_branch .LBB47_271
.LBB47_269:
                                        ; implicit-def: $vgpr100_vgpr101
.LBB47_270:
	ds_read_b64 v[100:101], v1
.LBB47_271:
	s_and_saveexec_b64 s[8:9], s[0:1]
	s_cbranch_execz .LBB47_275
; %bb.272:
	v_subrev_u32_e32 v102, 20, v0
	s_movk_i32 s20, 0x220
	s_mov_b64 s[0:1], 0
.LBB47_273:                             ; =>This Inner Loop Header: Depth=1
	scratch_load_dwordx2 v[104:105], off, s19
	v_mov_b32_e32 v103, s20
	ds_read_b64 v[106:107], v103
	v_add_u32_e32 v102, -1, v102
	s_add_i32 s20, s20, 8
	s_add_i32 s19, s19, 8
	v_cmp_eq_u32_e32 vcc, 0, v102
	s_or_b64 s[0:1], vcc, s[0:1]
	s_waitcnt vmcnt(0) lgkmcnt(0)
	v_fmac_f64_e32 v[100:101], v[104:105], v[106:107]
	s_andn2_b64 exec, exec, s[0:1]
	s_cbranch_execnz .LBB47_273
; %bb.274:
	s_or_b64 exec, exec, s[0:1]
.LBB47_275:
	s_or_b64 exec, exec, s[8:9]
	v_mov_b32_e32 v102, 0
	ds_read_b64 v[102:103], v102 offset:152
	s_waitcnt lgkmcnt(0)
	v_mul_f64 v[100:101], v[100:101], v[102:103]
	scratch_store_dwordx2 off, v[100:101], off offset:152
.LBB47_276:
	s_or_b64 exec, exec, s[4:5]
	scratch_load_dwordx2 v[100:101], off, off offset:144
	v_cmp_lt_u32_e64 s[0:1], 18, v0
	s_waitcnt vmcnt(0)
	ds_write_b64 v1, v[100:101]
	s_waitcnt lgkmcnt(0)
	; wave barrier
	s_and_saveexec_b64 s[4:5], s[0:1]
	s_cbranch_execz .LBB47_286
; %bb.277:
	s_andn2_b64 vcc, exec, s[6:7]
	s_cbranch_vccnz .LBB47_279
; %bb.278:
	scratch_load_dwordx2 v[100:101], v17, off
	ds_read_b64 v[102:103], v1
	s_waitcnt vmcnt(0) lgkmcnt(0)
	v_mul_f64 v[100:101], v[100:101], v[102:103]
	s_cbranch_execz .LBB47_280
	s_branch .LBB47_281
.LBB47_279:
                                        ; implicit-def: $vgpr100_vgpr101
.LBB47_280:
	ds_read_b64 v[100:101], v1
.LBB47_281:
	s_and_saveexec_b64 s[8:9], s[2:3]
	s_cbranch_execz .LBB47_285
; %bb.282:
	s_movk_i32 s19, 0x98
	v_subrev_u32_e32 v102, 19, v0
	s_movk_i32 s20, 0x218
	s_mov_b64 s[2:3], 0
.LBB47_283:                             ; =>This Inner Loop Header: Depth=1
	scratch_load_dwordx2 v[104:105], off, s19
	v_mov_b32_e32 v103, s20
	ds_read_b64 v[106:107], v103
	v_add_u32_e32 v102, -1, v102
	s_add_i32 s20, s20, 8
	s_add_i32 s19, s19, 8
	v_cmp_eq_u32_e32 vcc, 0, v102
	s_or_b64 s[2:3], vcc, s[2:3]
	s_waitcnt vmcnt(0) lgkmcnt(0)
	v_fmac_f64_e32 v[100:101], v[104:105], v[106:107]
	s_andn2_b64 exec, exec, s[2:3]
	s_cbranch_execnz .LBB47_283
; %bb.284:
	s_or_b64 exec, exec, s[2:3]
.LBB47_285:
	s_or_b64 exec, exec, s[8:9]
	v_mov_b32_e32 v102, 0
	ds_read_b64 v[102:103], v102 offset:144
	s_waitcnt lgkmcnt(0)
	v_mul_f64 v[100:101], v[100:101], v[102:103]
	scratch_store_dwordx2 off, v[100:101], off offset:144
.LBB47_286:
	s_or_b64 exec, exec, s[4:5]
	scratch_load_dwordx2 v[100:101], off, off offset:136
	v_cmp_lt_u32_e64 s[2:3], 17, v0
	s_waitcnt vmcnt(0)
	ds_write_b64 v1, v[100:101]
	s_waitcnt lgkmcnt(0)
	; wave barrier
	s_and_saveexec_b64 s[4:5], s[2:3]
	s_cbranch_execz .LBB47_296
; %bb.287:
	s_andn2_b64 vcc, exec, s[6:7]
	s_cbranch_vccnz .LBB47_289
; %bb.288:
	scratch_load_dwordx2 v[100:101], v17, off
	ds_read_b64 v[102:103], v1
	s_waitcnt vmcnt(0) lgkmcnt(0)
	v_mul_f64 v[100:101], v[100:101], v[102:103]
	s_cbranch_execz .LBB47_290
	s_branch .LBB47_291
.LBB47_289:
                                        ; implicit-def: $vgpr100_vgpr101
.LBB47_290:
	ds_read_b64 v[100:101], v1
.LBB47_291:
	s_and_saveexec_b64 s[8:9], s[0:1]
	s_cbranch_execz .LBB47_295
; %bb.292:
	v_subrev_u32_e32 v102, 18, v0
	s_movk_i32 s19, 0x210
	s_mov_b64 s[0:1], 0
.LBB47_293:                             ; =>This Inner Loop Header: Depth=1
	scratch_load_dwordx2 v[104:105], off, s18
	v_mov_b32_e32 v103, s19
	ds_read_b64 v[106:107], v103
	v_add_u32_e32 v102, -1, v102
	s_add_i32 s19, s19, 8
	s_add_i32 s18, s18, 8
	v_cmp_eq_u32_e32 vcc, 0, v102
	s_or_b64 s[0:1], vcc, s[0:1]
	s_waitcnt vmcnt(0) lgkmcnt(0)
	v_fmac_f64_e32 v[100:101], v[104:105], v[106:107]
	s_andn2_b64 exec, exec, s[0:1]
	s_cbranch_execnz .LBB47_293
; %bb.294:
	s_or_b64 exec, exec, s[0:1]
.LBB47_295:
	s_or_b64 exec, exec, s[8:9]
	v_mov_b32_e32 v102, 0
	ds_read_b64 v[102:103], v102 offset:136
	s_waitcnt lgkmcnt(0)
	v_mul_f64 v[100:101], v[100:101], v[102:103]
	scratch_store_dwordx2 off, v[100:101], off offset:136
.LBB47_296:
	s_or_b64 exec, exec, s[4:5]
	scratch_load_dwordx2 v[100:101], off, off offset:128
	v_cmp_lt_u32_e64 s[0:1], 16, v0
	s_waitcnt vmcnt(0)
	ds_write_b64 v1, v[100:101]
	s_waitcnt lgkmcnt(0)
	; wave barrier
	s_and_saveexec_b64 s[4:5], s[0:1]
	s_cbranch_execz .LBB47_306
; %bb.297:
	s_andn2_b64 vcc, exec, s[6:7]
	s_cbranch_vccnz .LBB47_299
; %bb.298:
	scratch_load_dwordx2 v[100:101], v17, off
	ds_read_b64 v[102:103], v1
	s_waitcnt vmcnt(0) lgkmcnt(0)
	v_mul_f64 v[100:101], v[100:101], v[102:103]
	s_cbranch_execz .LBB47_300
	s_branch .LBB47_301
.LBB47_299:
                                        ; implicit-def: $vgpr100_vgpr101
.LBB47_300:
	ds_read_b64 v[100:101], v1
.LBB47_301:
	s_and_saveexec_b64 s[8:9], s[2:3]
	s_cbranch_execz .LBB47_305
; %bb.302:
	s_movk_i32 s18, 0x88
	v_subrev_u32_e32 v102, 17, v0
	s_movk_i32 s19, 0x208
	s_mov_b64 s[2:3], 0
.LBB47_303:                             ; =>This Inner Loop Header: Depth=1
	scratch_load_dwordx2 v[104:105], off, s18
	v_mov_b32_e32 v103, s19
	ds_read_b64 v[106:107], v103
	v_add_u32_e32 v102, -1, v102
	s_add_i32 s19, s19, 8
	s_add_i32 s18, s18, 8
	v_cmp_eq_u32_e32 vcc, 0, v102
	s_or_b64 s[2:3], vcc, s[2:3]
	s_waitcnt vmcnt(0) lgkmcnt(0)
	v_fmac_f64_e32 v[100:101], v[104:105], v[106:107]
	s_andn2_b64 exec, exec, s[2:3]
	s_cbranch_execnz .LBB47_303
; %bb.304:
	s_or_b64 exec, exec, s[2:3]
.LBB47_305:
	s_or_b64 exec, exec, s[8:9]
	v_mov_b32_e32 v102, 0
	ds_read_b64 v[102:103], v102 offset:128
	s_waitcnt lgkmcnt(0)
	v_mul_f64 v[100:101], v[100:101], v[102:103]
	scratch_store_dwordx2 off, v[100:101], off offset:128
.LBB47_306:
	s_or_b64 exec, exec, s[4:5]
	scratch_load_dwordx2 v[100:101], off, off offset:120
	v_cmp_lt_u32_e64 s[2:3], 15, v0
	s_waitcnt vmcnt(0)
	ds_write_b64 v1, v[100:101]
	s_waitcnt lgkmcnt(0)
	; wave barrier
	s_and_saveexec_b64 s[4:5], s[2:3]
	s_cbranch_execz .LBB47_316
; %bb.307:
	s_andn2_b64 vcc, exec, s[6:7]
	s_cbranch_vccnz .LBB47_309
; %bb.308:
	scratch_load_dwordx2 v[100:101], v17, off
	ds_read_b64 v[102:103], v1
	s_waitcnt vmcnt(0) lgkmcnt(0)
	v_mul_f64 v[100:101], v[100:101], v[102:103]
	s_cbranch_execz .LBB47_310
	s_branch .LBB47_311
.LBB47_309:
                                        ; implicit-def: $vgpr100_vgpr101
.LBB47_310:
	ds_read_b64 v[100:101], v1
.LBB47_311:
	s_and_saveexec_b64 s[8:9], s[0:1]
	s_cbranch_execz .LBB47_315
; %bb.312:
	v_add_u32_e32 v102, -16, v0
	s_movk_i32 s18, 0x200
	s_mov_b64 s[0:1], 0
.LBB47_313:                             ; =>This Inner Loop Header: Depth=1
	scratch_load_dwordx2 v[104:105], off, s17
	v_mov_b32_e32 v103, s18
	ds_read_b64 v[106:107], v103
	v_add_u32_e32 v102, -1, v102
	s_add_i32 s18, s18, 8
	s_add_i32 s17, s17, 8
	v_cmp_eq_u32_e32 vcc, 0, v102
	s_or_b64 s[0:1], vcc, s[0:1]
	s_waitcnt vmcnt(0) lgkmcnt(0)
	v_fmac_f64_e32 v[100:101], v[104:105], v[106:107]
	s_andn2_b64 exec, exec, s[0:1]
	s_cbranch_execnz .LBB47_313
; %bb.314:
	s_or_b64 exec, exec, s[0:1]
.LBB47_315:
	s_or_b64 exec, exec, s[8:9]
	v_mov_b32_e32 v102, 0
	ds_read_b64 v[102:103], v102 offset:120
	s_waitcnt lgkmcnt(0)
	v_mul_f64 v[100:101], v[100:101], v[102:103]
	scratch_store_dwordx2 off, v[100:101], off offset:120
.LBB47_316:
	s_or_b64 exec, exec, s[4:5]
	scratch_load_dwordx2 v[100:101], off, off offset:112
	v_cmp_lt_u32_e64 s[0:1], 14, v0
	s_waitcnt vmcnt(0)
	ds_write_b64 v1, v[100:101]
	s_waitcnt lgkmcnt(0)
	; wave barrier
	s_and_saveexec_b64 s[4:5], s[0:1]
	s_cbranch_execz .LBB47_326
; %bb.317:
	s_andn2_b64 vcc, exec, s[6:7]
	s_cbranch_vccnz .LBB47_319
; %bb.318:
	scratch_load_dwordx2 v[100:101], v17, off
	ds_read_b64 v[102:103], v1
	s_waitcnt vmcnt(0) lgkmcnt(0)
	v_mul_f64 v[100:101], v[100:101], v[102:103]
	s_cbranch_execz .LBB47_320
	s_branch .LBB47_321
.LBB47_319:
                                        ; implicit-def: $vgpr100_vgpr101
.LBB47_320:
	ds_read_b64 v[100:101], v1
.LBB47_321:
	s_and_saveexec_b64 s[8:9], s[2:3]
	s_cbranch_execz .LBB47_325
; %bb.322:
	s_movk_i32 s17, 0x78
	v_add_u32_e32 v102, -15, v0
	s_movk_i32 s18, 0x1f8
	s_mov_b64 s[2:3], 0
.LBB47_323:                             ; =>This Inner Loop Header: Depth=1
	scratch_load_dwordx2 v[104:105], off, s17
	v_mov_b32_e32 v103, s18
	ds_read_b64 v[106:107], v103
	v_add_u32_e32 v102, -1, v102
	s_add_i32 s18, s18, 8
	s_add_i32 s17, s17, 8
	v_cmp_eq_u32_e32 vcc, 0, v102
	s_or_b64 s[2:3], vcc, s[2:3]
	s_waitcnt vmcnt(0) lgkmcnt(0)
	v_fmac_f64_e32 v[100:101], v[104:105], v[106:107]
	s_andn2_b64 exec, exec, s[2:3]
	s_cbranch_execnz .LBB47_323
; %bb.324:
	s_or_b64 exec, exec, s[2:3]
.LBB47_325:
	s_or_b64 exec, exec, s[8:9]
	v_mov_b32_e32 v102, 0
	ds_read_b64 v[102:103], v102 offset:112
	s_waitcnt lgkmcnt(0)
	v_mul_f64 v[100:101], v[100:101], v[102:103]
	scratch_store_dwordx2 off, v[100:101], off offset:112
.LBB47_326:
	s_or_b64 exec, exec, s[4:5]
	scratch_load_dwordx2 v[100:101], off, off offset:104
	v_cmp_lt_u32_e64 s[2:3], 13, v0
	s_waitcnt vmcnt(0)
	ds_write_b64 v1, v[100:101]
	s_waitcnt lgkmcnt(0)
	; wave barrier
	s_and_saveexec_b64 s[4:5], s[2:3]
	s_cbranch_execz .LBB47_336
; %bb.327:
	s_andn2_b64 vcc, exec, s[6:7]
	s_cbranch_vccnz .LBB47_329
; %bb.328:
	scratch_load_dwordx2 v[100:101], v17, off
	ds_read_b64 v[102:103], v1
	s_waitcnt vmcnt(0) lgkmcnt(0)
	v_mul_f64 v[100:101], v[100:101], v[102:103]
	s_cbranch_execz .LBB47_330
	s_branch .LBB47_331
.LBB47_329:
                                        ; implicit-def: $vgpr100_vgpr101
.LBB47_330:
	ds_read_b64 v[100:101], v1
.LBB47_331:
	s_and_saveexec_b64 s[8:9], s[0:1]
	s_cbranch_execz .LBB47_335
; %bb.332:
	v_add_u32_e32 v102, -14, v0
	s_movk_i32 s17, 0x1f0
	s_mov_b64 s[0:1], 0
.LBB47_333:                             ; =>This Inner Loop Header: Depth=1
	scratch_load_dwordx2 v[104:105], off, s16
	v_mov_b32_e32 v103, s17
	ds_read_b64 v[106:107], v103
	v_add_u32_e32 v102, -1, v102
	s_add_i32 s17, s17, 8
	s_add_i32 s16, s16, 8
	v_cmp_eq_u32_e32 vcc, 0, v102
	s_or_b64 s[0:1], vcc, s[0:1]
	s_waitcnt vmcnt(0) lgkmcnt(0)
	v_fmac_f64_e32 v[100:101], v[104:105], v[106:107]
	s_andn2_b64 exec, exec, s[0:1]
	s_cbranch_execnz .LBB47_333
; %bb.334:
	s_or_b64 exec, exec, s[0:1]
.LBB47_335:
	s_or_b64 exec, exec, s[8:9]
	v_mov_b32_e32 v102, 0
	ds_read_b64 v[102:103], v102 offset:104
	s_waitcnt lgkmcnt(0)
	v_mul_f64 v[100:101], v[100:101], v[102:103]
	scratch_store_dwordx2 off, v[100:101], off offset:104
.LBB47_336:
	s_or_b64 exec, exec, s[4:5]
	scratch_load_dwordx2 v[100:101], off, off offset:96
	v_cmp_lt_u32_e64 s[0:1], 12, v0
	s_waitcnt vmcnt(0)
	ds_write_b64 v1, v[100:101]
	s_waitcnt lgkmcnt(0)
	; wave barrier
	s_and_saveexec_b64 s[4:5], s[0:1]
	s_cbranch_execz .LBB47_346
; %bb.337:
	s_andn2_b64 vcc, exec, s[6:7]
	s_cbranch_vccnz .LBB47_339
; %bb.338:
	scratch_load_dwordx2 v[100:101], v17, off
	ds_read_b64 v[102:103], v1
	s_waitcnt vmcnt(0) lgkmcnt(0)
	v_mul_f64 v[100:101], v[100:101], v[102:103]
	s_cbranch_execz .LBB47_340
	s_branch .LBB47_341
.LBB47_339:
                                        ; implicit-def: $vgpr100_vgpr101
.LBB47_340:
	ds_read_b64 v[100:101], v1
.LBB47_341:
	s_and_saveexec_b64 s[8:9], s[2:3]
	s_cbranch_execz .LBB47_345
; %bb.342:
	s_movk_i32 s16, 0x68
	v_add_u32_e32 v102, -13, v0
	s_movk_i32 s17, 0x1e8
	s_mov_b64 s[2:3], 0
.LBB47_343:                             ; =>This Inner Loop Header: Depth=1
	scratch_load_dwordx2 v[104:105], off, s16
	v_mov_b32_e32 v103, s17
	ds_read_b64 v[106:107], v103
	v_add_u32_e32 v102, -1, v102
	s_add_i32 s17, s17, 8
	s_add_i32 s16, s16, 8
	v_cmp_eq_u32_e32 vcc, 0, v102
	s_or_b64 s[2:3], vcc, s[2:3]
	s_waitcnt vmcnt(0) lgkmcnt(0)
	v_fmac_f64_e32 v[100:101], v[104:105], v[106:107]
	s_andn2_b64 exec, exec, s[2:3]
	s_cbranch_execnz .LBB47_343
; %bb.344:
	s_or_b64 exec, exec, s[2:3]
.LBB47_345:
	s_or_b64 exec, exec, s[8:9]
	v_mov_b32_e32 v102, 0
	ds_read_b64 v[102:103], v102 offset:96
	s_waitcnt lgkmcnt(0)
	v_mul_f64 v[100:101], v[100:101], v[102:103]
	scratch_store_dwordx2 off, v[100:101], off offset:96
.LBB47_346:
	s_or_b64 exec, exec, s[4:5]
	scratch_load_dwordx2 v[100:101], off, off offset:88
	v_cmp_lt_u32_e64 s[2:3], 11, v0
	s_waitcnt vmcnt(0)
	ds_write_b64 v1, v[100:101]
	s_waitcnt lgkmcnt(0)
	; wave barrier
	s_and_saveexec_b64 s[4:5], s[2:3]
	s_cbranch_execz .LBB47_356
; %bb.347:
	s_andn2_b64 vcc, exec, s[6:7]
	s_cbranch_vccnz .LBB47_349
; %bb.348:
	scratch_load_dwordx2 v[100:101], v17, off
	ds_read_b64 v[102:103], v1
	s_waitcnt vmcnt(0) lgkmcnt(0)
	v_mul_f64 v[100:101], v[100:101], v[102:103]
	s_cbranch_execz .LBB47_350
	s_branch .LBB47_351
.LBB47_349:
                                        ; implicit-def: $vgpr100_vgpr101
.LBB47_350:
	ds_read_b64 v[100:101], v1
.LBB47_351:
	s_and_saveexec_b64 s[8:9], s[0:1]
	s_cbranch_execz .LBB47_355
; %bb.352:
	v_add_u32_e32 v102, -12, v0
	s_movk_i32 s16, 0x1e0
	s_mov_b64 s[0:1], 0
.LBB47_353:                             ; =>This Inner Loop Header: Depth=1
	scratch_load_dwordx2 v[104:105], off, s15
	v_mov_b32_e32 v103, s16
	ds_read_b64 v[106:107], v103
	v_add_u32_e32 v102, -1, v102
	s_add_i32 s16, s16, 8
	s_add_i32 s15, s15, 8
	v_cmp_eq_u32_e32 vcc, 0, v102
	s_or_b64 s[0:1], vcc, s[0:1]
	s_waitcnt vmcnt(0) lgkmcnt(0)
	v_fmac_f64_e32 v[100:101], v[104:105], v[106:107]
	s_andn2_b64 exec, exec, s[0:1]
	s_cbranch_execnz .LBB47_353
; %bb.354:
	s_or_b64 exec, exec, s[0:1]
.LBB47_355:
	s_or_b64 exec, exec, s[8:9]
	v_mov_b32_e32 v102, 0
	ds_read_b64 v[102:103], v102 offset:88
	s_waitcnt lgkmcnt(0)
	v_mul_f64 v[100:101], v[100:101], v[102:103]
	scratch_store_dwordx2 off, v[100:101], off offset:88
.LBB47_356:
	s_or_b64 exec, exec, s[4:5]
	scratch_load_dwordx2 v[100:101], off, off offset:80
	v_cmp_lt_u32_e64 s[0:1], 10, v0
	s_waitcnt vmcnt(0)
	ds_write_b64 v1, v[100:101]
	s_waitcnt lgkmcnt(0)
	; wave barrier
	s_and_saveexec_b64 s[4:5], s[0:1]
	s_cbranch_execz .LBB47_366
; %bb.357:
	s_andn2_b64 vcc, exec, s[6:7]
	s_cbranch_vccnz .LBB47_359
; %bb.358:
	scratch_load_dwordx2 v[100:101], v17, off
	ds_read_b64 v[102:103], v1
	s_waitcnt vmcnt(0) lgkmcnt(0)
	v_mul_f64 v[100:101], v[100:101], v[102:103]
	s_cbranch_execz .LBB47_360
	s_branch .LBB47_361
.LBB47_359:
                                        ; implicit-def: $vgpr100_vgpr101
.LBB47_360:
	ds_read_b64 v[100:101], v1
.LBB47_361:
	s_and_saveexec_b64 s[8:9], s[2:3]
	s_cbranch_execz .LBB47_365
; %bb.362:
	s_movk_i32 s15, 0x58
	v_add_u32_e32 v102, -11, v0
	s_movk_i32 s16, 0x1d8
	s_mov_b64 s[2:3], 0
.LBB47_363:                             ; =>This Inner Loop Header: Depth=1
	scratch_load_dwordx2 v[104:105], off, s15
	v_mov_b32_e32 v103, s16
	ds_read_b64 v[106:107], v103
	v_add_u32_e32 v102, -1, v102
	s_add_i32 s16, s16, 8
	s_add_i32 s15, s15, 8
	v_cmp_eq_u32_e32 vcc, 0, v102
	s_or_b64 s[2:3], vcc, s[2:3]
	s_waitcnt vmcnt(0) lgkmcnt(0)
	v_fmac_f64_e32 v[100:101], v[104:105], v[106:107]
	s_andn2_b64 exec, exec, s[2:3]
	s_cbranch_execnz .LBB47_363
; %bb.364:
	s_or_b64 exec, exec, s[2:3]
.LBB47_365:
	s_or_b64 exec, exec, s[8:9]
	v_mov_b32_e32 v102, 0
	ds_read_b64 v[102:103], v102 offset:80
	s_waitcnt lgkmcnt(0)
	v_mul_f64 v[100:101], v[100:101], v[102:103]
	scratch_store_dwordx2 off, v[100:101], off offset:80
.LBB47_366:
	s_or_b64 exec, exec, s[4:5]
	scratch_load_dwordx2 v[100:101], off, off offset:72
	v_cmp_lt_u32_e64 s[2:3], 9, v0
	s_waitcnt vmcnt(0)
	ds_write_b64 v1, v[100:101]
	s_waitcnt lgkmcnt(0)
	; wave barrier
	s_and_saveexec_b64 s[4:5], s[2:3]
	s_cbranch_execz .LBB47_376
; %bb.367:
	s_andn2_b64 vcc, exec, s[6:7]
	s_cbranch_vccnz .LBB47_369
; %bb.368:
	scratch_load_dwordx2 v[100:101], v17, off
	ds_read_b64 v[102:103], v1
	s_waitcnt vmcnt(0) lgkmcnt(0)
	v_mul_f64 v[100:101], v[100:101], v[102:103]
	s_cbranch_execz .LBB47_370
	s_branch .LBB47_371
.LBB47_369:
                                        ; implicit-def: $vgpr100_vgpr101
.LBB47_370:
	ds_read_b64 v[100:101], v1
.LBB47_371:
	s_and_saveexec_b64 s[8:9], s[0:1]
	s_cbranch_execz .LBB47_375
; %bb.372:
	v_add_u32_e32 v102, -10, v0
	s_movk_i32 s15, 0x1d0
	s_mov_b64 s[0:1], 0
.LBB47_373:                             ; =>This Inner Loop Header: Depth=1
	scratch_load_dwordx2 v[104:105], off, s14
	v_mov_b32_e32 v103, s15
	ds_read_b64 v[106:107], v103
	v_add_u32_e32 v102, -1, v102
	s_add_i32 s15, s15, 8
	s_add_i32 s14, s14, 8
	v_cmp_eq_u32_e32 vcc, 0, v102
	s_or_b64 s[0:1], vcc, s[0:1]
	s_waitcnt vmcnt(0) lgkmcnt(0)
	v_fmac_f64_e32 v[100:101], v[104:105], v[106:107]
	s_andn2_b64 exec, exec, s[0:1]
	s_cbranch_execnz .LBB47_373
; %bb.374:
	s_or_b64 exec, exec, s[0:1]
.LBB47_375:
	s_or_b64 exec, exec, s[8:9]
	v_mov_b32_e32 v102, 0
	ds_read_b64 v[102:103], v102 offset:72
	s_waitcnt lgkmcnt(0)
	v_mul_f64 v[100:101], v[100:101], v[102:103]
	scratch_store_dwordx2 off, v[100:101], off offset:72
.LBB47_376:
	s_or_b64 exec, exec, s[4:5]
	scratch_load_dwordx2 v[100:101], off, off offset:64
	v_cmp_lt_u32_e64 s[0:1], 8, v0
	s_waitcnt vmcnt(0)
	ds_write_b64 v1, v[100:101]
	s_waitcnt lgkmcnt(0)
	; wave barrier
	s_and_saveexec_b64 s[4:5], s[0:1]
	s_cbranch_execz .LBB47_386
; %bb.377:
	s_andn2_b64 vcc, exec, s[6:7]
	s_cbranch_vccnz .LBB47_379
; %bb.378:
	scratch_load_dwordx2 v[100:101], v17, off
	ds_read_b64 v[102:103], v1
	s_waitcnt vmcnt(0) lgkmcnt(0)
	v_mul_f64 v[100:101], v[100:101], v[102:103]
	s_cbranch_execz .LBB47_380
	s_branch .LBB47_381
.LBB47_379:
                                        ; implicit-def: $vgpr100_vgpr101
.LBB47_380:
	ds_read_b64 v[100:101], v1
.LBB47_381:
	s_and_saveexec_b64 s[8:9], s[2:3]
	s_cbranch_execz .LBB47_385
; %bb.382:
	s_movk_i32 s14, 0x48
	v_add_u32_e32 v102, -9, v0
	s_movk_i32 s15, 0x1c8
	s_mov_b64 s[2:3], 0
.LBB47_383:                             ; =>This Inner Loop Header: Depth=1
	scratch_load_dwordx2 v[104:105], off, s14
	v_mov_b32_e32 v103, s15
	ds_read_b64 v[106:107], v103
	v_add_u32_e32 v102, -1, v102
	s_add_i32 s15, s15, 8
	s_add_i32 s14, s14, 8
	v_cmp_eq_u32_e32 vcc, 0, v102
	s_or_b64 s[2:3], vcc, s[2:3]
	s_waitcnt vmcnt(0) lgkmcnt(0)
	v_fmac_f64_e32 v[100:101], v[104:105], v[106:107]
	s_andn2_b64 exec, exec, s[2:3]
	s_cbranch_execnz .LBB47_383
; %bb.384:
	s_or_b64 exec, exec, s[2:3]
.LBB47_385:
	s_or_b64 exec, exec, s[8:9]
	v_mov_b32_e32 v102, 0
	ds_read_b64 v[102:103], v102 offset:64
	s_waitcnt lgkmcnt(0)
	v_mul_f64 v[100:101], v[100:101], v[102:103]
	scratch_store_dwordx2 off, v[100:101], off offset:64
.LBB47_386:
	s_or_b64 exec, exec, s[4:5]
	scratch_load_dwordx2 v[100:101], off, off offset:56
	v_cmp_lt_u32_e64 s[2:3], 7, v0
	s_waitcnt vmcnt(0)
	ds_write_b64 v1, v[100:101]
	s_waitcnt lgkmcnt(0)
	; wave barrier
	s_and_saveexec_b64 s[4:5], s[2:3]
	s_cbranch_execz .LBB47_396
; %bb.387:
	s_andn2_b64 vcc, exec, s[6:7]
	s_cbranch_vccnz .LBB47_389
; %bb.388:
	scratch_load_dwordx2 v[100:101], v17, off
	ds_read_b64 v[102:103], v1
	s_waitcnt vmcnt(0) lgkmcnt(0)
	v_mul_f64 v[100:101], v[100:101], v[102:103]
	s_cbranch_execz .LBB47_390
	s_branch .LBB47_391
.LBB47_389:
                                        ; implicit-def: $vgpr100_vgpr101
.LBB47_390:
	ds_read_b64 v[100:101], v1
.LBB47_391:
	s_and_saveexec_b64 s[8:9], s[0:1]
	s_cbranch_execz .LBB47_395
; %bb.392:
	v_add_u32_e32 v102, -8, v0
	s_movk_i32 s14, 0x1c0
	s_mov_b64 s[0:1], 0
.LBB47_393:                             ; =>This Inner Loop Header: Depth=1
	scratch_load_dwordx2 v[104:105], off, s13
	v_mov_b32_e32 v103, s14
	ds_read_b64 v[106:107], v103
	v_add_u32_e32 v102, -1, v102
	s_add_i32 s14, s14, 8
	s_add_i32 s13, s13, 8
	v_cmp_eq_u32_e32 vcc, 0, v102
	s_or_b64 s[0:1], vcc, s[0:1]
	s_waitcnt vmcnt(0) lgkmcnt(0)
	v_fmac_f64_e32 v[100:101], v[104:105], v[106:107]
	s_andn2_b64 exec, exec, s[0:1]
	s_cbranch_execnz .LBB47_393
; %bb.394:
	s_or_b64 exec, exec, s[0:1]
.LBB47_395:
	s_or_b64 exec, exec, s[8:9]
	v_mov_b32_e32 v102, 0
	ds_read_b64 v[102:103], v102 offset:56
	s_waitcnt lgkmcnt(0)
	v_mul_f64 v[100:101], v[100:101], v[102:103]
	scratch_store_dwordx2 off, v[100:101], off offset:56
.LBB47_396:
	s_or_b64 exec, exec, s[4:5]
	scratch_load_dwordx2 v[100:101], off, off offset:48
	v_cmp_lt_u32_e64 s[0:1], 6, v0
	s_waitcnt vmcnt(0)
	ds_write_b64 v1, v[100:101]
	s_waitcnt lgkmcnt(0)
	; wave barrier
	s_and_saveexec_b64 s[4:5], s[0:1]
	s_cbranch_execz .LBB47_406
; %bb.397:
	s_andn2_b64 vcc, exec, s[6:7]
	s_cbranch_vccnz .LBB47_399
; %bb.398:
	scratch_load_dwordx2 v[100:101], v17, off
	ds_read_b64 v[102:103], v1
	s_waitcnt vmcnt(0) lgkmcnt(0)
	v_mul_f64 v[100:101], v[100:101], v[102:103]
	s_cbranch_execz .LBB47_400
	s_branch .LBB47_401
.LBB47_399:
                                        ; implicit-def: $vgpr100_vgpr101
.LBB47_400:
	ds_read_b64 v[100:101], v1
.LBB47_401:
	s_and_saveexec_b64 s[8:9], s[2:3]
	s_cbranch_execz .LBB47_405
; %bb.402:
	s_mov_b32 s13, 56
	v_add_u32_e32 v102, -7, v0
	s_movk_i32 s14, 0x1b8
	s_mov_b64 s[2:3], 0
.LBB47_403:                             ; =>This Inner Loop Header: Depth=1
	scratch_load_dwordx2 v[104:105], off, s13
	v_mov_b32_e32 v103, s14
	ds_read_b64 v[106:107], v103
	v_add_u32_e32 v102, -1, v102
	s_add_i32 s14, s14, 8
	s_add_i32 s13, s13, 8
	v_cmp_eq_u32_e32 vcc, 0, v102
	s_or_b64 s[2:3], vcc, s[2:3]
	s_waitcnt vmcnt(0) lgkmcnt(0)
	v_fmac_f64_e32 v[100:101], v[104:105], v[106:107]
	s_andn2_b64 exec, exec, s[2:3]
	s_cbranch_execnz .LBB47_403
; %bb.404:
	s_or_b64 exec, exec, s[2:3]
.LBB47_405:
	s_or_b64 exec, exec, s[8:9]
	v_mov_b32_e32 v102, 0
	ds_read_b64 v[102:103], v102 offset:48
	s_waitcnt lgkmcnt(0)
	v_mul_f64 v[100:101], v[100:101], v[102:103]
	scratch_store_dwordx2 off, v[100:101], off offset:48
.LBB47_406:
	s_or_b64 exec, exec, s[4:5]
	scratch_load_dwordx2 v[100:101], off, off offset:40
	v_cmp_lt_u32_e64 s[2:3], 5, v0
	s_waitcnt vmcnt(0)
	ds_write_b64 v1, v[100:101]
	s_waitcnt lgkmcnt(0)
	; wave barrier
	s_and_saveexec_b64 s[4:5], s[2:3]
	s_cbranch_execz .LBB47_416
; %bb.407:
	s_andn2_b64 vcc, exec, s[6:7]
	s_cbranch_vccnz .LBB47_409
; %bb.408:
	scratch_load_dwordx2 v[100:101], v17, off
	ds_read_b64 v[102:103], v1
	s_waitcnt vmcnt(0) lgkmcnt(0)
	v_mul_f64 v[100:101], v[100:101], v[102:103]
	s_cbranch_execz .LBB47_410
	s_branch .LBB47_411
.LBB47_409:
                                        ; implicit-def: $vgpr100_vgpr101
.LBB47_410:
	ds_read_b64 v[100:101], v1
.LBB47_411:
	s_and_saveexec_b64 s[8:9], s[0:1]
	s_cbranch_execz .LBB47_415
; %bb.412:
	v_add_u32_e32 v102, -6, v0
	s_movk_i32 s13, 0x1b0
	s_mov_b64 s[0:1], 0
.LBB47_413:                             ; =>This Inner Loop Header: Depth=1
	scratch_load_dwordx2 v[104:105], off, s12
	v_mov_b32_e32 v103, s13
	ds_read_b64 v[106:107], v103
	v_add_u32_e32 v102, -1, v102
	s_add_i32 s13, s13, 8
	s_add_i32 s12, s12, 8
	v_cmp_eq_u32_e32 vcc, 0, v102
	s_or_b64 s[0:1], vcc, s[0:1]
	s_waitcnt vmcnt(0) lgkmcnt(0)
	v_fmac_f64_e32 v[100:101], v[104:105], v[106:107]
	s_andn2_b64 exec, exec, s[0:1]
	s_cbranch_execnz .LBB47_413
; %bb.414:
	s_or_b64 exec, exec, s[0:1]
.LBB47_415:
	s_or_b64 exec, exec, s[8:9]
	v_mov_b32_e32 v102, 0
	ds_read_b64 v[102:103], v102 offset:40
	s_waitcnt lgkmcnt(0)
	v_mul_f64 v[100:101], v[100:101], v[102:103]
	scratch_store_dwordx2 off, v[100:101], off offset:40
.LBB47_416:
	s_or_b64 exec, exec, s[4:5]
	scratch_load_dwordx2 v[100:101], off, off offset:32
	v_cmp_lt_u32_e64 s[0:1], 4, v0
	s_waitcnt vmcnt(0)
	ds_write_b64 v1, v[100:101]
	s_waitcnt lgkmcnt(0)
	; wave barrier
	s_and_saveexec_b64 s[4:5], s[0:1]
	s_cbranch_execz .LBB47_426
; %bb.417:
	s_andn2_b64 vcc, exec, s[6:7]
	s_cbranch_vccnz .LBB47_419
; %bb.418:
	scratch_load_dwordx2 v[100:101], v17, off
	ds_read_b64 v[102:103], v1
	s_waitcnt vmcnt(0) lgkmcnt(0)
	v_mul_f64 v[100:101], v[100:101], v[102:103]
	s_cbranch_execz .LBB47_420
	s_branch .LBB47_421
.LBB47_419:
                                        ; implicit-def: $vgpr100_vgpr101
.LBB47_420:
	ds_read_b64 v[100:101], v1
.LBB47_421:
	s_and_saveexec_b64 s[8:9], s[2:3]
	s_cbranch_execz .LBB47_425
; %bb.422:
	s_mov_b32 s12, 40
	v_add_u32_e32 v102, -5, v0
	s_movk_i32 s13, 0x1a8
	s_mov_b64 s[2:3], 0
.LBB47_423:                             ; =>This Inner Loop Header: Depth=1
	scratch_load_dwordx2 v[104:105], off, s12
	v_mov_b32_e32 v103, s13
	ds_read_b64 v[106:107], v103
	v_add_u32_e32 v102, -1, v102
	s_add_i32 s13, s13, 8
	s_add_i32 s12, s12, 8
	v_cmp_eq_u32_e32 vcc, 0, v102
	s_or_b64 s[2:3], vcc, s[2:3]
	s_waitcnt vmcnt(0) lgkmcnt(0)
	v_fmac_f64_e32 v[100:101], v[104:105], v[106:107]
	s_andn2_b64 exec, exec, s[2:3]
	s_cbranch_execnz .LBB47_423
; %bb.424:
	s_or_b64 exec, exec, s[2:3]
.LBB47_425:
	s_or_b64 exec, exec, s[8:9]
	v_mov_b32_e32 v102, 0
	ds_read_b64 v[102:103], v102 offset:32
	s_waitcnt lgkmcnt(0)
	v_mul_f64 v[100:101], v[100:101], v[102:103]
	scratch_store_dwordx2 off, v[100:101], off offset:32
.LBB47_426:
	s_or_b64 exec, exec, s[4:5]
	scratch_load_dwordx2 v[100:101], off, off offset:24
	v_cmp_lt_u32_e64 s[2:3], 3, v0
	s_waitcnt vmcnt(0)
	ds_write_b64 v1, v[100:101]
	s_waitcnt lgkmcnt(0)
	; wave barrier
	s_and_saveexec_b64 s[4:5], s[2:3]
	s_cbranch_execz .LBB47_436
; %bb.427:
	s_andn2_b64 vcc, exec, s[6:7]
	s_cbranch_vccnz .LBB47_429
; %bb.428:
	scratch_load_dwordx2 v[100:101], v17, off
	ds_read_b64 v[102:103], v1
	s_waitcnt vmcnt(0) lgkmcnt(0)
	v_mul_f64 v[100:101], v[100:101], v[102:103]
	s_cbranch_execz .LBB47_430
	s_branch .LBB47_431
.LBB47_429:
                                        ; implicit-def: $vgpr100_vgpr101
.LBB47_430:
	ds_read_b64 v[100:101], v1
.LBB47_431:
	s_and_saveexec_b64 s[8:9], s[0:1]
	s_cbranch_execz .LBB47_435
; %bb.432:
	v_add_u32_e32 v102, -4, v0
	s_movk_i32 s12, 0x1a0
	s_mov_b64 s[0:1], 0
.LBB47_433:                             ; =>This Inner Loop Header: Depth=1
	scratch_load_dwordx2 v[104:105], off, s11
	v_mov_b32_e32 v103, s12
	ds_read_b64 v[106:107], v103
	v_add_u32_e32 v102, -1, v102
	s_add_i32 s12, s12, 8
	s_add_i32 s11, s11, 8
	v_cmp_eq_u32_e32 vcc, 0, v102
	s_or_b64 s[0:1], vcc, s[0:1]
	s_waitcnt vmcnt(0) lgkmcnt(0)
	v_fmac_f64_e32 v[100:101], v[104:105], v[106:107]
	s_andn2_b64 exec, exec, s[0:1]
	s_cbranch_execnz .LBB47_433
; %bb.434:
	s_or_b64 exec, exec, s[0:1]
.LBB47_435:
	s_or_b64 exec, exec, s[8:9]
	v_mov_b32_e32 v102, 0
	ds_read_b64 v[102:103], v102 offset:24
	s_waitcnt lgkmcnt(0)
	v_mul_f64 v[100:101], v[100:101], v[102:103]
	scratch_store_dwordx2 off, v[100:101], off offset:24
.LBB47_436:
	s_or_b64 exec, exec, s[4:5]
	scratch_load_dwordx2 v[100:101], off, off offset:16
	v_cmp_lt_u32_e64 s[0:1], 2, v0
	s_waitcnt vmcnt(0)
	ds_write_b64 v1, v[100:101]
	s_waitcnt lgkmcnt(0)
	; wave barrier
	s_and_saveexec_b64 s[4:5], s[0:1]
	s_cbranch_execz .LBB47_446
; %bb.437:
	s_andn2_b64 vcc, exec, s[6:7]
	s_cbranch_vccnz .LBB47_439
; %bb.438:
	scratch_load_dwordx2 v[100:101], v17, off
	ds_read_b64 v[102:103], v1
	s_waitcnt vmcnt(0) lgkmcnt(0)
	v_mul_f64 v[100:101], v[100:101], v[102:103]
	s_cbranch_execz .LBB47_440
	s_branch .LBB47_441
.LBB47_439:
                                        ; implicit-def: $vgpr100_vgpr101
.LBB47_440:
	ds_read_b64 v[100:101], v1
.LBB47_441:
	s_and_saveexec_b64 s[8:9], s[2:3]
	s_cbranch_execz .LBB47_445
; %bb.442:
	s_mov_b32 s11, 24
	v_add_u32_e32 v102, -3, v0
	s_movk_i32 s12, 0x198
	s_mov_b64 s[2:3], 0
.LBB47_443:                             ; =>This Inner Loop Header: Depth=1
	scratch_load_dwordx2 v[104:105], off, s11
	v_mov_b32_e32 v103, s12
	ds_read_b64 v[106:107], v103
	v_add_u32_e32 v102, -1, v102
	s_add_i32 s12, s12, 8
	s_add_i32 s11, s11, 8
	v_cmp_eq_u32_e32 vcc, 0, v102
	s_or_b64 s[2:3], vcc, s[2:3]
	s_waitcnt vmcnt(0) lgkmcnt(0)
	v_fmac_f64_e32 v[100:101], v[104:105], v[106:107]
	s_andn2_b64 exec, exec, s[2:3]
	s_cbranch_execnz .LBB47_443
; %bb.444:
	s_or_b64 exec, exec, s[2:3]
.LBB47_445:
	s_or_b64 exec, exec, s[8:9]
	v_mov_b32_e32 v102, 0
	ds_read_b64 v[102:103], v102 offset:16
	s_waitcnt lgkmcnt(0)
	v_mul_f64 v[100:101], v[100:101], v[102:103]
	scratch_store_dwordx2 off, v[100:101], off offset:16
.LBB47_446:
	s_or_b64 exec, exec, s[4:5]
	scratch_load_dwordx2 v[100:101], off, off offset:8
	v_cmp_lt_u32_e64 s[2:3], 1, v0
	s_waitcnt vmcnt(0)
	ds_write_b64 v1, v[100:101]
	s_waitcnt lgkmcnt(0)
	; wave barrier
	s_and_saveexec_b64 s[4:5], s[2:3]
	s_cbranch_execz .LBB47_456
; %bb.447:
	s_andn2_b64 vcc, exec, s[6:7]
	s_cbranch_vccnz .LBB47_449
; %bb.448:
	scratch_load_dwordx2 v[100:101], v17, off
	ds_read_b64 v[102:103], v1
	s_waitcnt vmcnt(0) lgkmcnt(0)
	v_mul_f64 v[100:101], v[100:101], v[102:103]
	s_cbranch_execz .LBB47_450
	s_branch .LBB47_451
.LBB47_449:
                                        ; implicit-def: $vgpr100_vgpr101
.LBB47_450:
	ds_read_b64 v[100:101], v1
.LBB47_451:
	s_and_saveexec_b64 s[8:9], s[0:1]
	s_cbranch_execz .LBB47_455
; %bb.452:
	v_add_u32_e32 v102, -2, v0
	s_movk_i32 s11, 0x190
	s_mov_b64 s[0:1], 0
.LBB47_453:                             ; =>This Inner Loop Header: Depth=1
	scratch_load_dwordx2 v[104:105], off, s10
	v_mov_b32_e32 v103, s11
	ds_read_b64 v[106:107], v103
	v_add_u32_e32 v102, -1, v102
	s_add_i32 s11, s11, 8
	s_add_i32 s10, s10, 8
	v_cmp_eq_u32_e32 vcc, 0, v102
	s_or_b64 s[0:1], vcc, s[0:1]
	s_waitcnt vmcnt(0) lgkmcnt(0)
	v_fmac_f64_e32 v[100:101], v[104:105], v[106:107]
	s_andn2_b64 exec, exec, s[0:1]
	s_cbranch_execnz .LBB47_453
; %bb.454:
	s_or_b64 exec, exec, s[0:1]
.LBB47_455:
	s_or_b64 exec, exec, s[8:9]
	v_mov_b32_e32 v102, 0
	ds_read_b64 v[102:103], v102 offset:8
	s_waitcnt lgkmcnt(0)
	v_mul_f64 v[100:101], v[100:101], v[102:103]
	scratch_store_dwordx2 off, v[100:101], off offset:8
.LBB47_456:
	s_or_b64 exec, exec, s[4:5]
	scratch_load_dwordx2 v[100:101], off, off
	v_cmp_ne_u32_e32 vcc, 0, v0
	s_waitcnt vmcnt(0)
	ds_write_b64 v1, v[100:101]
	s_waitcnt lgkmcnt(0)
	; wave barrier
	s_and_saveexec_b64 s[0:1], vcc
	s_cbranch_execz .LBB47_466
; %bb.457:
	s_andn2_b64 vcc, exec, s[6:7]
	s_cbranch_vccnz .LBB47_459
; %bb.458:
	scratch_load_dwordx2 v[100:101], v17, off
	ds_read_b64 v[102:103], v1
	s_waitcnt vmcnt(0) lgkmcnt(0)
	v_mul_f64 v[100:101], v[100:101], v[102:103]
	s_cbranch_execz .LBB47_460
	s_branch .LBB47_461
.LBB47_459:
                                        ; implicit-def: $vgpr100_vgpr101
.LBB47_460:
	ds_read_b64 v[100:101], v1
.LBB47_461:
	s_and_saveexec_b64 s[4:5], s[2:3]
	s_cbranch_execz .LBB47_465
; %bb.462:
	s_or_b32 s8, 0, 8
	v_add_u32_e32 v102, -1, v0
	s_movk_i32 s9, 0x188
	s_mov_b64 s[2:3], 0
.LBB47_463:                             ; =>This Inner Loop Header: Depth=1
	scratch_load_dwordx2 v[104:105], off, s8
	v_mov_b32_e32 v103, s9
	ds_read_b64 v[106:107], v103
	v_add_u32_e32 v102, -1, v102
	s_add_i32 s9, s9, 8
	s_add_i32 s8, s8, 8
	v_cmp_eq_u32_e32 vcc, 0, v102
	s_or_b64 s[2:3], vcc, s[2:3]
	s_waitcnt vmcnt(0) lgkmcnt(0)
	v_fmac_f64_e32 v[100:101], v[104:105], v[106:107]
	s_andn2_b64 exec, exec, s[2:3]
	s_cbranch_execnz .LBB47_463
; %bb.464:
	s_or_b64 exec, exec, s[2:3]
.LBB47_465:
	s_or_b64 exec, exec, s[4:5]
	v_mov_b32_e32 v102, 0
	ds_read_b64 v[102:103], v102
	s_waitcnt lgkmcnt(0)
	v_mul_f64 v[100:101], v[100:101], v[102:103]
	scratch_store_dwordx2 off, v[100:101], off
.LBB47_466:
	s_or_b64 exec, exec, s[0:1]
	s_mov_b64 s[0:1], 0
.LBB47_467:
	s_and_b64 vcc, exec, s[0:1]
	s_cbranch_vccz .LBB47_929
; %bb.468:
	scratch_load_dwordx2 v[100:101], off, off offset:8
	v_cmp_eq_u32_e64 s[2:3], 0, v0
	s_waitcnt vmcnt(0)
	ds_write_b64 v1, v[100:101]
	s_waitcnt lgkmcnt(0)
	; wave barrier
	s_and_saveexec_b64 s[0:1], s[2:3]
	s_cbranch_execz .LBB47_474
; %bb.469:
	s_and_b64 vcc, exec, s[6:7]
	s_cbranch_vccz .LBB47_471
; %bb.470:
	scratch_load_dwordx2 v[100:101], v17, off
	ds_read_b64 v[102:103], v1
	s_waitcnt vmcnt(0) lgkmcnt(0)
	v_mul_f64 v[100:101], v[100:101], v[102:103]
	s_cbranch_execz .LBB47_472
	s_branch .LBB47_473
.LBB47_471:
                                        ; implicit-def: $vgpr100_vgpr101
.LBB47_472:
	ds_read_b64 v[100:101], v1
.LBB47_473:
	v_mov_b32_e32 v102, 0
	ds_read_b64 v[102:103], v102 offset:8
	s_waitcnt lgkmcnt(0)
	v_mul_f64 v[100:101], v[100:101], v[102:103]
	scratch_store_dwordx2 off, v[100:101], off offset:8
.LBB47_474:
	s_or_b64 exec, exec, s[0:1]
	scratch_load_dwordx2 v[100:101], off, off offset:16
	v_cndmask_b32_e64 v102, 0, 1, s[6:7]
	v_cmp_gt_u32_e32 vcc, 2, v0
	v_cmp_ne_u32_e64 s[0:1], 1, v102
	s_waitcnt vmcnt(0)
	ds_write_b64 v1, v[100:101]
	s_waitcnt lgkmcnt(0)
	; wave barrier
	s_and_saveexec_b64 s[4:5], vcc
	s_cbranch_execz .LBB47_480
; %bb.475:
	s_and_b64 vcc, exec, s[0:1]
	s_cbranch_vccnz .LBB47_477
; %bb.476:
	scratch_load_dwordx2 v[100:101], v17, off
	ds_read_b64 v[102:103], v1
	s_waitcnt vmcnt(0) lgkmcnt(0)
	v_mul_f64 v[100:101], v[100:101], v[102:103]
	s_cbranch_execz .LBB47_478
	s_branch .LBB47_479
.LBB47_477:
                                        ; implicit-def: $vgpr100_vgpr101
.LBB47_478:
	ds_read_b64 v[100:101], v1
.LBB47_479:
	scratch_load_dwordx2 v[106:107], off, off offset:8
	v_mov_b32_e32 v102, 0
	ds_read2_b64 v[102:105], v102 offset0:2 offset1:49
	s_waitcnt vmcnt(0) lgkmcnt(0)
	v_fma_f64 v[104:105], v[106:107], v[104:105], v[100:101]
	v_cndmask_b32_e64 v101, v101, v105, s[2:3]
	v_cndmask_b32_e64 v100, v100, v104, s[2:3]
	v_mul_f64 v[100:101], v[100:101], v[102:103]
	scratch_store_dwordx2 off, v[100:101], off offset:16
.LBB47_480:
	s_or_b64 exec, exec, s[4:5]
	scratch_load_dwordx2 v[100:101], off, off offset:24
	v_cmp_gt_u32_e32 vcc, 3, v0
	s_waitcnt vmcnt(0)
	ds_write_b64 v1, v[100:101]
	s_waitcnt lgkmcnt(0)
	; wave barrier
	s_and_saveexec_b64 s[4:5], vcc
	s_cbranch_execz .LBB47_488
; %bb.481:
	s_and_b64 vcc, exec, s[0:1]
	s_cbranch_vccnz .LBB47_483
; %bb.482:
	scratch_load_dwordx2 v[100:101], v17, off
	ds_read_b64 v[102:103], v1
	s_waitcnt vmcnt(0) lgkmcnt(0)
	v_mul_f64 v[100:101], v[100:101], v[102:103]
	s_cbranch_execz .LBB47_484
	s_branch .LBB47_485
.LBB47_483:
                                        ; implicit-def: $vgpr100_vgpr101
.LBB47_484:
	ds_read_b64 v[100:101], v1
.LBB47_485:
	v_cmp_ne_u32_e32 vcc, 2, v0
	s_and_saveexec_b64 s[6:7], vcc
	s_cbranch_execz .LBB47_487
; %bb.486:
	scratch_load_dwordx2 v[102:103], v17, off offset:8
	scratch_load_dwordx2 v[104:105], off, off offset:16
	ds_read_b64 v[106:107], v1 offset:8
	v_mov_b32_e32 v108, 0
	ds_read_b64 v[108:109], v108 offset:400
	s_waitcnt vmcnt(1) lgkmcnt(1)
	v_fmac_f64_e32 v[100:101], v[102:103], v[106:107]
	s_waitcnt vmcnt(0) lgkmcnt(0)
	v_fma_f64 v[102:103], v[104:105], v[108:109], v[100:101]
	v_cndmask_b32_e64 v101, v101, v103, s[2:3]
	v_cndmask_b32_e64 v100, v100, v102, s[2:3]
.LBB47_487:
	s_or_b64 exec, exec, s[6:7]
	v_mov_b32_e32 v102, 0
	ds_read_b64 v[102:103], v102 offset:24
	s_waitcnt lgkmcnt(0)
	v_mul_f64 v[100:101], v[100:101], v[102:103]
	scratch_store_dwordx2 off, v[100:101], off offset:24
.LBB47_488:
	s_or_b64 exec, exec, s[4:5]
	scratch_load_dwordx2 v[100:101], off, off offset:32
	v_cmp_gt_u32_e32 vcc, 4, v0
	s_waitcnt vmcnt(0)
	ds_write_b64 v1, v[100:101]
	s_waitcnt lgkmcnt(0)
	; wave barrier
	s_and_saveexec_b64 s[2:3], vcc
	s_cbranch_execz .LBB47_498
; %bb.489:
	s_and_b64 vcc, exec, s[0:1]
	s_cbranch_vccnz .LBB47_491
; %bb.490:
	scratch_load_dwordx2 v[100:101], v17, off
	ds_read_b64 v[102:103], v1
	s_waitcnt vmcnt(0) lgkmcnt(0)
	v_mul_f64 v[100:101], v[100:101], v[102:103]
	s_cbranch_execz .LBB47_492
	s_branch .LBB47_493
.LBB47_491:
                                        ; implicit-def: $vgpr100_vgpr101
.LBB47_492:
	ds_read_b64 v[100:101], v1
.LBB47_493:
	v_cmp_ne_u32_e32 vcc, 3, v0
	s_and_saveexec_b64 s[4:5], vcc
	s_cbranch_execz .LBB47_497
; %bb.494:
	s_mov_b32 s6, 0
	v_add_u32_e32 v102, 0x188, v16
	v_add3_u32 v103, v16, s6, 8
	s_mov_b64 s[6:7], 0
	v_mov_b32_e32 v104, v0
.LBB47_495:                             ; =>This Inner Loop Header: Depth=1
	scratch_load_dwordx2 v[106:107], v103, off
	ds_read_b64 v[108:109], v102
	v_add_u32_e32 v104, 1, v104
	v_cmp_lt_u32_e32 vcc, 2, v104
	v_add_u32_e32 v102, 8, v102
	v_add_u32_e32 v103, 8, v103
	s_or_b64 s[6:7], vcc, s[6:7]
	s_waitcnt vmcnt(0) lgkmcnt(0)
	v_fmac_f64_e32 v[100:101], v[106:107], v[108:109]
	s_andn2_b64 exec, exec, s[6:7]
	s_cbranch_execnz .LBB47_495
; %bb.496:
	s_or_b64 exec, exec, s[6:7]
.LBB47_497:
	s_or_b64 exec, exec, s[4:5]
	v_mov_b32_e32 v102, 0
	ds_read_b64 v[102:103], v102 offset:32
	s_waitcnt lgkmcnt(0)
	v_mul_f64 v[100:101], v[100:101], v[102:103]
	scratch_store_dwordx2 off, v[100:101], off offset:32
.LBB47_498:
	s_or_b64 exec, exec, s[2:3]
	scratch_load_dwordx2 v[100:101], off, off offset:40
	v_cmp_gt_u32_e32 vcc, 5, v0
	s_waitcnt vmcnt(0)
	ds_write_b64 v1, v[100:101]
	s_waitcnt lgkmcnt(0)
	; wave barrier
	s_and_saveexec_b64 s[2:3], vcc
	s_cbranch_execz .LBB47_508
; %bb.499:
	s_and_b64 vcc, exec, s[0:1]
	s_cbranch_vccnz .LBB47_501
; %bb.500:
	scratch_load_dwordx2 v[100:101], v17, off
	ds_read_b64 v[102:103], v1
	s_waitcnt vmcnt(0) lgkmcnt(0)
	v_mul_f64 v[100:101], v[100:101], v[102:103]
	s_cbranch_execz .LBB47_502
	s_branch .LBB47_503
.LBB47_501:
                                        ; implicit-def: $vgpr100_vgpr101
.LBB47_502:
	ds_read_b64 v[100:101], v1
.LBB47_503:
	v_cmp_ne_u32_e32 vcc, 4, v0
	s_and_saveexec_b64 s[4:5], vcc
	s_cbranch_execz .LBB47_507
; %bb.504:
	s_mov_b32 s6, 0
	v_add_u32_e32 v102, 0x188, v16
	v_add3_u32 v103, v16, s6, 8
	s_mov_b64 s[6:7], 0
	v_mov_b32_e32 v104, v0
.LBB47_505:                             ; =>This Inner Loop Header: Depth=1
	scratch_load_dwordx2 v[106:107], v103, off
	ds_read_b64 v[108:109], v102
	v_add_u32_e32 v104, 1, v104
	v_cmp_lt_u32_e32 vcc, 3, v104
	v_add_u32_e32 v102, 8, v102
	v_add_u32_e32 v103, 8, v103
	s_or_b64 s[6:7], vcc, s[6:7]
	s_waitcnt vmcnt(0) lgkmcnt(0)
	v_fmac_f64_e32 v[100:101], v[106:107], v[108:109]
	s_andn2_b64 exec, exec, s[6:7]
	s_cbranch_execnz .LBB47_505
; %bb.506:
	s_or_b64 exec, exec, s[6:7]
.LBB47_507:
	s_or_b64 exec, exec, s[4:5]
	v_mov_b32_e32 v102, 0
	ds_read_b64 v[102:103], v102 offset:40
	s_waitcnt lgkmcnt(0)
	v_mul_f64 v[100:101], v[100:101], v[102:103]
	scratch_store_dwordx2 off, v[100:101], off offset:40
.LBB47_508:
	;; [unrolled: 55-line block ×42, first 2 shown]
	s_or_b64 exec, exec, s[2:3]
	scratch_load_dwordx2 v[100:101], off, off offset:368
	v_cmp_gt_u32_e64 s[2:3], 46, v0
	s_waitcnt vmcnt(0)
	ds_write_b64 v1, v[100:101]
	s_waitcnt lgkmcnt(0)
	; wave barrier
	s_and_saveexec_b64 s[4:5], s[2:3]
	s_cbranch_execz .LBB47_918
; %bb.909:
	s_and_b64 vcc, exec, s[0:1]
	s_cbranch_vccnz .LBB47_911
; %bb.910:
	scratch_load_dwordx2 v[100:101], v17, off
	ds_read_b64 v[102:103], v1
	s_waitcnt vmcnt(0) lgkmcnt(0)
	v_mul_f64 v[100:101], v[100:101], v[102:103]
	s_cbranch_execz .LBB47_912
	s_branch .LBB47_913
.LBB47_911:
                                        ; implicit-def: $vgpr100_vgpr101
.LBB47_912:
	ds_read_b64 v[100:101], v1
.LBB47_913:
	v_cmp_ne_u32_e32 vcc, 45, v0
	s_and_saveexec_b64 s[6:7], vcc
	s_cbranch_execz .LBB47_917
; %bb.914:
	s_mov_b32 s8, 0
	v_add_u32_e32 v102, 0x188, v16
	v_add3_u32 v103, v16, s8, 8
	s_mov_b64 s[8:9], 0
	v_mov_b32_e32 v104, v0
.LBB47_915:                             ; =>This Inner Loop Header: Depth=1
	scratch_load_dwordx2 v[106:107], v103, off
	ds_read_b64 v[108:109], v102
	v_add_u32_e32 v104, 1, v104
	v_cmp_lt_u32_e32 vcc, 44, v104
	v_add_u32_e32 v102, 8, v102
	v_add_u32_e32 v103, 8, v103
	s_or_b64 s[8:9], vcc, s[8:9]
	s_waitcnt vmcnt(0) lgkmcnt(0)
	v_fmac_f64_e32 v[100:101], v[106:107], v[108:109]
	s_andn2_b64 exec, exec, s[8:9]
	s_cbranch_execnz .LBB47_915
; %bb.916:
	s_or_b64 exec, exec, s[8:9]
.LBB47_917:
	s_or_b64 exec, exec, s[6:7]
	v_mov_b32_e32 v102, 0
	ds_read_b64 v[102:103], v102 offset:368
	s_waitcnt lgkmcnt(0)
	v_mul_f64 v[100:101], v[100:101], v[102:103]
	scratch_store_dwordx2 off, v[100:101], off offset:368
.LBB47_918:
	s_or_b64 exec, exec, s[4:5]
	scratch_load_dwordx2 v[100:101], off, off offset:376
	v_cmp_ne_u32_e32 vcc, 47, v0
	s_waitcnt vmcnt(0)
	ds_write_b64 v1, v[100:101]
	s_waitcnt lgkmcnt(0)
	; wave barrier
	s_and_saveexec_b64 s[4:5], vcc
	s_cbranch_execz .LBB47_928
; %bb.919:
	s_and_b64 vcc, exec, s[0:1]
	s_cbranch_vccnz .LBB47_921
; %bb.920:
	scratch_load_dwordx2 v[100:101], v17, off
	ds_read_b64 v[102:103], v1
	s_waitcnt vmcnt(0) lgkmcnt(0)
	v_mul_f64 v[100:101], v[100:101], v[102:103]
	s_cbranch_execz .LBB47_922
	s_branch .LBB47_923
.LBB47_921:
                                        ; implicit-def: $vgpr100_vgpr101
.LBB47_922:
	ds_read_b64 v[100:101], v1
.LBB47_923:
	s_and_saveexec_b64 s[0:1], s[2:3]
	s_cbranch_execz .LBB47_927
; %bb.924:
	s_mov_b32 s2, 0
	v_add_u32_e32 v1, 0x188, v16
	v_add3_u32 v16, v16, s2, 8
	s_mov_b64 s[2:3], 0
.LBB47_925:                             ; =>This Inner Loop Header: Depth=1
	scratch_load_dwordx2 v[102:103], v16, off
	ds_read_b64 v[104:105], v1
	v_add_u32_e32 v0, 1, v0
	v_cmp_lt_u32_e32 vcc, 45, v0
	v_add_u32_e32 v1, 8, v1
	v_add_u32_e32 v16, 8, v16
	s_or_b64 s[2:3], vcc, s[2:3]
	s_waitcnt vmcnt(0) lgkmcnt(0)
	v_fmac_f64_e32 v[100:101], v[102:103], v[104:105]
	s_andn2_b64 exec, exec, s[2:3]
	s_cbranch_execnz .LBB47_925
; %bb.926:
	s_or_b64 exec, exec, s[2:3]
.LBB47_927:
	s_or_b64 exec, exec, s[0:1]
	v_mov_b32_e32 v0, 0
	ds_read_b64 v[0:1], v0 offset:376
	s_waitcnt lgkmcnt(0)
	v_mul_f64 v[0:1], v[100:101], v[0:1]
	scratch_store_dwordx2 off, v[0:1], off offset:376
.LBB47_928:
	s_or_b64 exec, exec, s[4:5]
.LBB47_929:
	scratch_load_dwordx4 v[100:103], off, off
	s_waitcnt vmcnt(0)
	global_store_dwordx2 v[2:3], v[100:101], off
	global_store_dwordx2 v[4:5], v[102:103], off
	scratch_load_dwordx4 v[0:3], off, off offset:16
	s_waitcnt vmcnt(0)
	global_store_dwordx2 v[6:7], v[0:1], off
	global_store_dwordx2 v[8:9], v[2:3], off
	scratch_load_dwordx4 v[0:3], off, off offset:32
	s_waitcnt vmcnt(0)
	global_store_dwordx2 v[10:11], v[0:1], off
	global_store_dwordx2 v[12:13], v[2:3], off
	scratch_load_dwordx4 v[0:3], off, off offset:48
	s_waitcnt vmcnt(0)
	global_store_dwordx2 v[14:15], v[0:1], off
	global_store_dwordx2 v[18:19], v[2:3], off
	scratch_load_dwordx4 v[0:3], off, off offset:64
	s_waitcnt vmcnt(0)
	global_store_dwordx2 v[20:21], v[0:1], off
	global_store_dwordx2 v[22:23], v[2:3], off
	scratch_load_dwordx4 v[0:3], off, off offset:80
	s_waitcnt vmcnt(0)
	global_store_dwordx2 v[24:25], v[0:1], off
	global_store_dwordx2 v[26:27], v[2:3], off
	scratch_load_dwordx4 v[0:3], off, off offset:96
	s_waitcnt vmcnt(0)
	global_store_dwordx2 v[28:29], v[0:1], off
	global_store_dwordx2 v[30:31], v[2:3], off
	scratch_load_dwordx4 v[0:3], off, off offset:112
	s_waitcnt vmcnt(0)
	global_store_dwordx2 v[32:33], v[0:1], off
	global_store_dwordx2 v[34:35], v[2:3], off
	scratch_load_dwordx4 v[0:3], off, off offset:128
	s_waitcnt vmcnt(0)
	global_store_dwordx2 v[36:37], v[0:1], off
	global_store_dwordx2 v[38:39], v[2:3], off
	scratch_load_dwordx4 v[0:3], off, off offset:144
	s_waitcnt vmcnt(0)
	global_store_dwordx2 v[40:41], v[0:1], off
	global_store_dwordx2 v[42:43], v[2:3], off
	scratch_load_dwordx4 v[0:3], off, off offset:160
	s_waitcnt vmcnt(0)
	global_store_dwordx2 v[44:45], v[0:1], off
	global_store_dwordx2 v[46:47], v[2:3], off
	scratch_load_dwordx4 v[0:3], off, off offset:176
	s_waitcnt vmcnt(0)
	global_store_dwordx2 v[48:49], v[0:1], off
	global_store_dwordx2 v[50:51], v[2:3], off
	scratch_load_dwordx4 v[0:3], off, off offset:192
	s_waitcnt vmcnt(0)
	global_store_dwordx2 v[52:53], v[0:1], off
	global_store_dwordx2 v[54:55], v[2:3], off
	scratch_load_dwordx4 v[0:3], off, off offset:208
	s_waitcnt vmcnt(0)
	global_store_dwordx2 v[56:57], v[0:1], off
	global_store_dwordx2 v[58:59], v[2:3], off
	scratch_load_dwordx4 v[0:3], off, off offset:224
	s_waitcnt vmcnt(0)
	global_store_dwordx2 v[60:61], v[0:1], off
	global_store_dwordx2 v[62:63], v[2:3], off
	scratch_load_dwordx4 v[0:3], off, off offset:240
	s_waitcnt vmcnt(0)
	global_store_dwordx2 v[64:65], v[0:1], off
	global_store_dwordx2 v[66:67], v[2:3], off
	scratch_load_dwordx4 v[0:3], off, off offset:256
	s_waitcnt vmcnt(0)
	global_store_dwordx2 v[68:69], v[0:1], off
	global_store_dwordx2 v[70:71], v[2:3], off
	scratch_load_dwordx4 v[0:3], off, off offset:272
	s_waitcnt vmcnt(0)
	global_store_dwordx2 v[72:73], v[0:1], off
	global_store_dwordx2 v[74:75], v[2:3], off
	scratch_load_dwordx4 v[0:3], off, off offset:288
	s_waitcnt vmcnt(0)
	global_store_dwordx2 v[76:77], v[0:1], off
	global_store_dwordx2 v[78:79], v[2:3], off
	scratch_load_dwordx4 v[0:3], off, off offset:304
	s_waitcnt vmcnt(0)
	global_store_dwordx2 v[80:81], v[0:1], off
	global_store_dwordx2 v[82:83], v[2:3], off
	scratch_load_dwordx4 v[0:3], off, off offset:320
	s_waitcnt vmcnt(0)
	global_store_dwordx2 v[86:87], v[0:1], off
	global_store_dwordx2 v[90:91], v[2:3], off
	scratch_load_dwordx4 v[0:3], off, off offset:336
	s_waitcnt vmcnt(0)
	global_store_dwordx2 v[92:93], v[0:1], off
	global_store_dwordx2 v[94:95], v[2:3], off
	scratch_load_dwordx4 v[0:3], off, off offset:352
	s_waitcnt vmcnt(0)
	global_store_dwordx2 v[96:97], v[0:1], off
	global_store_dwordx2 v[98:99], v[2:3], off
	scratch_load_dwordx4 v[0:3], off, off offset:368
	s_waitcnt vmcnt(0)
	global_store_dwordx2 v[84:85], v[0:1], off
	global_store_dwordx2 v[88:89], v[2:3], off
.LBB47_930:
	s_endpgm
	.section	.rodata,"a",@progbits
	.p2align	6, 0x0
	.amdhsa_kernel _ZN9rocsolver6v33100L18trti2_kernel_smallILi48EdPdEEv13rocblas_fill_17rocblas_diagonal_T1_iil
		.amdhsa_group_segment_fixed_size 768
		.amdhsa_private_segment_fixed_size 400
		.amdhsa_kernarg_size 32
		.amdhsa_user_sgpr_count 2
		.amdhsa_user_sgpr_dispatch_ptr 0
		.amdhsa_user_sgpr_queue_ptr 0
		.amdhsa_user_sgpr_kernarg_segment_ptr 1
		.amdhsa_user_sgpr_dispatch_id 0
		.amdhsa_user_sgpr_kernarg_preload_length 0
		.amdhsa_user_sgpr_kernarg_preload_offset 0
		.amdhsa_user_sgpr_private_segment_size 0
		.amdhsa_uses_dynamic_stack 0
		.amdhsa_enable_private_segment 1
		.amdhsa_system_sgpr_workgroup_id_x 1
		.amdhsa_system_sgpr_workgroup_id_y 0
		.amdhsa_system_sgpr_workgroup_id_z 0
		.amdhsa_system_sgpr_workgroup_info 0
		.amdhsa_system_vgpr_workitem_id 0
		.amdhsa_next_free_vgpr 110
		.amdhsa_next_free_sgpr 35
		.amdhsa_accum_offset 112
		.amdhsa_reserve_vcc 1
		.amdhsa_float_round_mode_32 0
		.amdhsa_float_round_mode_16_64 0
		.amdhsa_float_denorm_mode_32 3
		.amdhsa_float_denorm_mode_16_64 3
		.amdhsa_dx10_clamp 1
		.amdhsa_ieee_mode 1
		.amdhsa_fp16_overflow 0
		.amdhsa_tg_split 0
		.amdhsa_exception_fp_ieee_invalid_op 0
		.amdhsa_exception_fp_denorm_src 0
		.amdhsa_exception_fp_ieee_div_zero 0
		.amdhsa_exception_fp_ieee_overflow 0
		.amdhsa_exception_fp_ieee_underflow 0
		.amdhsa_exception_fp_ieee_inexact 0
		.amdhsa_exception_int_div_zero 0
	.end_amdhsa_kernel
	.section	.text._ZN9rocsolver6v33100L18trti2_kernel_smallILi48EdPdEEv13rocblas_fill_17rocblas_diagonal_T1_iil,"axG",@progbits,_ZN9rocsolver6v33100L18trti2_kernel_smallILi48EdPdEEv13rocblas_fill_17rocblas_diagonal_T1_iil,comdat
.Lfunc_end47:
	.size	_ZN9rocsolver6v33100L18trti2_kernel_smallILi48EdPdEEv13rocblas_fill_17rocblas_diagonal_T1_iil, .Lfunc_end47-_ZN9rocsolver6v33100L18trti2_kernel_smallILi48EdPdEEv13rocblas_fill_17rocblas_diagonal_T1_iil
                                        ; -- End function
	.set _ZN9rocsolver6v33100L18trti2_kernel_smallILi48EdPdEEv13rocblas_fill_17rocblas_diagonal_T1_iil.num_vgpr, 110
	.set _ZN9rocsolver6v33100L18trti2_kernel_smallILi48EdPdEEv13rocblas_fill_17rocblas_diagonal_T1_iil.num_agpr, 0
	.set _ZN9rocsolver6v33100L18trti2_kernel_smallILi48EdPdEEv13rocblas_fill_17rocblas_diagonal_T1_iil.numbered_sgpr, 35
	.set _ZN9rocsolver6v33100L18trti2_kernel_smallILi48EdPdEEv13rocblas_fill_17rocblas_diagonal_T1_iil.num_named_barrier, 0
	.set _ZN9rocsolver6v33100L18trti2_kernel_smallILi48EdPdEEv13rocblas_fill_17rocblas_diagonal_T1_iil.private_seg_size, 400
	.set _ZN9rocsolver6v33100L18trti2_kernel_smallILi48EdPdEEv13rocblas_fill_17rocblas_diagonal_T1_iil.uses_vcc, 1
	.set _ZN9rocsolver6v33100L18trti2_kernel_smallILi48EdPdEEv13rocblas_fill_17rocblas_diagonal_T1_iil.uses_flat_scratch, 0
	.set _ZN9rocsolver6v33100L18trti2_kernel_smallILi48EdPdEEv13rocblas_fill_17rocblas_diagonal_T1_iil.has_dyn_sized_stack, 0
	.set _ZN9rocsolver6v33100L18trti2_kernel_smallILi48EdPdEEv13rocblas_fill_17rocblas_diagonal_T1_iil.has_recursion, 0
	.set _ZN9rocsolver6v33100L18trti2_kernel_smallILi48EdPdEEv13rocblas_fill_17rocblas_diagonal_T1_iil.has_indirect_call, 0
	.section	.AMDGPU.csdata,"",@progbits
; Kernel info:
; codeLenInByte = 22844
; TotalNumSgprs: 41
; NumVgprs: 110
; NumAgprs: 0
; TotalNumVgprs: 110
; ScratchSize: 400
; MemoryBound: 0
; FloatMode: 240
; IeeeMode: 1
; LDSByteSize: 768 bytes/workgroup (compile time only)
; SGPRBlocks: 5
; VGPRBlocks: 13
; NumSGPRsForWavesPerEU: 41
; NumVGPRsForWavesPerEU: 110
; AccumOffset: 112
; Occupancy: 4
; WaveLimiterHint : 0
; COMPUTE_PGM_RSRC2:SCRATCH_EN: 1
; COMPUTE_PGM_RSRC2:USER_SGPR: 2
; COMPUTE_PGM_RSRC2:TRAP_HANDLER: 0
; COMPUTE_PGM_RSRC2:TGID_X_EN: 1
; COMPUTE_PGM_RSRC2:TGID_Y_EN: 0
; COMPUTE_PGM_RSRC2:TGID_Z_EN: 0
; COMPUTE_PGM_RSRC2:TIDIG_COMP_CNT: 0
; COMPUTE_PGM_RSRC3_GFX90A:ACCUM_OFFSET: 27
; COMPUTE_PGM_RSRC3_GFX90A:TG_SPLIT: 0
	.section	.text._ZN9rocsolver6v33100L18trti2_kernel_smallILi49EdPdEEv13rocblas_fill_17rocblas_diagonal_T1_iil,"axG",@progbits,_ZN9rocsolver6v33100L18trti2_kernel_smallILi49EdPdEEv13rocblas_fill_17rocblas_diagonal_T1_iil,comdat
	.globl	_ZN9rocsolver6v33100L18trti2_kernel_smallILi49EdPdEEv13rocblas_fill_17rocblas_diagonal_T1_iil ; -- Begin function _ZN9rocsolver6v33100L18trti2_kernel_smallILi49EdPdEEv13rocblas_fill_17rocblas_diagonal_T1_iil
	.p2align	8
	.type	_ZN9rocsolver6v33100L18trti2_kernel_smallILi49EdPdEEv13rocblas_fill_17rocblas_diagonal_T1_iil,@function
_ZN9rocsolver6v33100L18trti2_kernel_smallILi49EdPdEEv13rocblas_fill_17rocblas_diagonal_T1_iil: ; @_ZN9rocsolver6v33100L18trti2_kernel_smallILi49EdPdEEv13rocblas_fill_17rocblas_diagonal_T1_iil
; %bb.0:
	v_cmp_gt_u32_e32 vcc, 49, v0
	s_and_saveexec_b64 s[4:5], vcc
	s_cbranch_execz .LBB48_950
; %bb.1:
	s_load_dwordx8 s[4:11], s[0:1], 0x0
	s_ashr_i32 s3, s2, 31
	v_lshlrev_b32_e32 v10, 3, v0
	v_mov_b32_e32 v11, 0
	s_waitcnt lgkmcnt(0)
	s_ashr_i32 s1, s8, 31
	s_mov_b32 s0, s8
	s_mul_hi_u32 s8, s10, s2
	s_mul_i32 s3, s10, s3
	s_add_i32 s3, s8, s3
	s_mul_i32 s8, s11, s2
	s_add_i32 s3, s3, s8
	s_mul_i32 s2, s10, s2
	s_lshl_b64 s[2:3], s[2:3], 3
	s_add_u32 s2, s6, s2
	s_addc_u32 s3, s7, s3
	s_lshl_b64 s[0:1], s[0:1], 3
	s_add_u32 s0, s2, s0
	s_addc_u32 s1, s3, s1
	v_lshl_add_u64 v[2:3], s[0:1], 0, v[10:11]
	s_ashr_i32 s3, s9, 31
	s_mov_b32 s2, s9
	v_lshl_add_u64 v[4:5], s[2:3], 3, v[2:3]
	global_load_dwordx2 v[6:7], v10, s[0:1]
	global_load_dwordx2 v[8:9], v[4:5], off
	s_add_i32 s2, s9, s9
	s_cmpk_lg_i32 s5, 0x84
	s_cselect_b64 s[6:7], -1, 0
	s_cmpk_eq_i32 s5, 0x84
	s_waitcnt vmcnt(0)
	scratch_store_dwordx4 off, v[6:9], off
	s_nop 1
	v_add_u32_e32 v8, s2, v0
	v_add_u32_e32 v12, s9, v8
	v_ashrrev_i32_e32 v9, 31, v8
	v_ashrrev_i32_e32 v13, 31, v12
	v_lshl_add_u64 v[6:7], v[8:9], 3, s[0:1]
	v_lshl_add_u64 v[8:9], v[12:13], 3, s[0:1]
	global_load_dwordx2 v[14:15], v[6:7], off
	global_load_dwordx2 v[16:17], v[8:9], off
	s_waitcnt vmcnt(0)
	scratch_store_dwordx4 off, v[14:17], off offset:16
	s_nop 1
	v_add_u32_e32 v14, s9, v12
	v_add_u32_e32 v16, s9, v14
	v_ashrrev_i32_e32 v15, 31, v14
	v_ashrrev_i32_e32 v17, 31, v16
	v_lshl_add_u64 v[12:13], v[14:15], 3, s[0:1]
	v_lshl_add_u64 v[14:15], v[16:17], 3, s[0:1]
	global_load_dwordx2 v[18:19], v[12:13], off
	global_load_dwordx2 v[20:21], v[14:15], off
	s_waitcnt vmcnt(0)
	scratch_store_dwordx4 off, v[18:21], off offset:32
	;; [unrolled: 11-line block ×21, first 2 shown]
	s_nop 1
	v_add_u32_e32 v94, s9, v92
	v_ashrrev_i32_e32 v95, 31, v94
	v_lshl_add_u64 v[92:93], v[94:95], 3, s[0:1]
	v_add_u32_e32 v94, s9, v94
	v_ashrrev_i32_e32 v95, 31, v94
	v_lshl_add_u64 v[96:97], v[94:95], 3, s[0:1]
	global_load_dwordx2 v[98:99], v[92:93], off
	global_load_dwordx2 v[100:101], v[96:97], off
	v_add_u32_e32 v94, s9, v94
	v_ashrrev_i32_e32 v95, 31, v94
	s_waitcnt vmcnt(0)
	scratch_store_dwordx4 off, v[98:101], off offset:352
	s_nop 1
	v_lshl_add_u64 v[98:99], v[94:95], 3, s[0:1]
	v_add_u32_e32 v94, s9, v94
	v_ashrrev_i32_e32 v95, 31, v94
	v_lshl_add_u64 v[100:101], v[94:95], 3, s[0:1]
	global_load_dwordx2 v[102:103], v[98:99], off
	global_load_dwordx2 v[104:105], v[100:101], off
	v_add_u32_e32 v94, s9, v94
	v_ashrrev_i32_e32 v95, 31, v94
	v_lshl_add_u64 v[94:95], v[94:95], 3, s[0:1]
	s_waitcnt vmcnt(0)
	scratch_store_dwordx4 off, v[102:105], off offset:368
	global_load_dwordx2 v[102:103], v[94:95], off
	s_waitcnt vmcnt(0)
	scratch_store_dwordx2 off, v[102:103], off offset:384
	v_mov_b64_e32 v[102:103], -1.0
	s_cbranch_scc1 .LBB48_3
; %bb.2:
	scratch_load_dwordx2 v[102:103], v10, off
	s_waitcnt vmcnt(0)
	v_div_scale_f64 v[104:105], s[0:1], v[102:103], v[102:103], 1.0
	v_rcp_f64_e32 v[106:107], v[104:105]
	v_div_scale_f64 v[108:109], vcc, 1.0, v[102:103], 1.0
	v_fma_f64 v[110:111], -v[104:105], v[106:107], 1.0
	v_fmac_f64_e32 v[106:107], v[106:107], v[110:111]
	v_fma_f64 v[110:111], -v[104:105], v[106:107], 1.0
	v_fmac_f64_e32 v[106:107], v[106:107], v[110:111]
	v_mul_f64 v[110:111], v[108:109], v[106:107]
	v_fma_f64 v[104:105], -v[104:105], v[110:111], v[108:109]
	v_div_fmas_f64 v[104:105], v[104:105], v[106:107], v[110:111]
	v_div_fixup_f64 v[102:103], v[104:105], v[102:103], 1.0
	scratch_store_dwordx2 v10, v[102:103], off
	v_xor_b32_e32 v103, 0x80000000, v103
.LBB48_3:
	s_cmpk_eq_i32 s4, 0x79
	v_add_u32_e32 v1, 0x190, v10
	v_mov_b32_e32 v11, v10
	s_mov_b64 s[0:1], -1
	ds_write_b64 v10, v[102:103]
	s_cbranch_scc1 .LBB48_477
; %bb.4:
	scratch_load_dwordx2 v[102:103], off, off offset:376
	s_movk_i32 s8, 0x50
	s_movk_i32 s9, 0x60
	;; [unrolled: 1-line block ×19, first 2 shown]
	v_cmp_eq_u32_e64 s[0:1], 48, v0
	s_waitcnt vmcnt(0)
	ds_write_b64 v1, v[102:103]
	s_waitcnt lgkmcnt(0)
	; wave barrier
	s_and_saveexec_b64 s[2:3], s[0:1]
	s_cbranch_execz .LBB48_10
; %bb.5:
	s_and_b64 vcc, exec, s[6:7]
	s_cbranch_vccz .LBB48_7
; %bb.6:
	scratch_load_dwordx2 v[102:103], v11, off
	ds_read_b64 v[104:105], v1
	s_waitcnt vmcnt(0) lgkmcnt(0)
	v_mul_f64 v[102:103], v[102:103], v[104:105]
	s_cbranch_execz .LBB48_8
	s_branch .LBB48_9
.LBB48_7:
                                        ; implicit-def: $vgpr102_vgpr103
.LBB48_8:
	ds_read_b64 v[102:103], v1
.LBB48_9:
	v_mov_b32_e32 v104, 0
	ds_read_b64 v[104:105], v104 offset:376
	s_waitcnt lgkmcnt(0)
	v_mul_f64 v[102:103], v[102:103], v[104:105]
	scratch_store_dwordx2 off, v[102:103], off offset:376
.LBB48_10:
	s_or_b64 exec, exec, s[2:3]
	scratch_load_dwordx2 v[102:103], off, off offset:368
	s_mov_b32 s10, 16
	s_mov_b32 s11, 32
	;; [unrolled: 1-line block ×6, first 2 shown]
	v_cmp_lt_u32_e64 s[4:5], 46, v0
	s_waitcnt vmcnt(0)
	ds_write_b64 v1, v[102:103]
	s_waitcnt lgkmcnt(0)
	; wave barrier
	s_and_saveexec_b64 s[2:3], s[4:5]
	s_cbranch_execz .LBB48_16
; %bb.11:
	s_andn2_b64 vcc, exec, s[6:7]
	s_cbranch_vccnz .LBB48_13
; %bb.12:
	scratch_load_dwordx2 v[102:103], v11, off
	ds_read_b64 v[104:105], v1
	s_waitcnt vmcnt(0) lgkmcnt(0)
	v_mul_f64 v[102:103], v[102:103], v[104:105]
	s_cbranch_execz .LBB48_14
	s_branch .LBB48_15
.LBB48_13:
                                        ; implicit-def: $vgpr102_vgpr103
.LBB48_14:
	ds_read_b64 v[102:103], v1
.LBB48_15:
	scratch_load_dwordx2 v[108:109], off, off offset:376
	v_mov_b32_e32 v104, 0
	ds_read2_b64 v[104:107], v104 offset0:46 offset1:97
	s_waitcnt vmcnt(0) lgkmcnt(0)
	v_fma_f64 v[106:107], v[108:109], v[106:107], v[102:103]
	v_cndmask_b32_e64 v103, v103, v107, s[0:1]
	v_cndmask_b32_e64 v102, v102, v106, s[0:1]
	v_mul_f64 v[102:103], v[102:103], v[104:105]
	scratch_store_dwordx2 off, v[102:103], off offset:368
.LBB48_16:
	s_or_b64 exec, exec, s[2:3]
	scratch_load_dwordx2 v[102:103], off, off offset:360
	v_cmp_lt_u32_e64 s[2:3], 45, v0
	s_waitcnt vmcnt(0)
	ds_write_b64 v1, v[102:103]
	s_waitcnt lgkmcnt(0)
	; wave barrier
	s_and_saveexec_b64 s[0:1], s[2:3]
	s_cbranch_execz .LBB48_26
; %bb.17:
	s_andn2_b64 vcc, exec, s[6:7]
	s_cbranch_vccnz .LBB48_19
; %bb.18:
	scratch_load_dwordx2 v[102:103], v11, off
	ds_read_b64 v[104:105], v1
	s_waitcnt vmcnt(0) lgkmcnt(0)
	v_mul_f64 v[102:103], v[102:103], v[104:105]
	s_cbranch_execz .LBB48_20
	s_branch .LBB48_21
.LBB48_19:
                                        ; implicit-def: $vgpr102_vgpr103
.LBB48_20:
	ds_read_b64 v[102:103], v1
.LBB48_21:
	s_and_saveexec_b64 s[8:9], s[4:5]
	s_cbranch_execz .LBB48_25
; %bb.22:
	v_subrev_u32_e32 v104, 46, v0
	s_movk_i32 s34, 0x300
	s_mov_b64 s[4:5], 0
.LBB48_23:                              ; =>This Inner Loop Header: Depth=1
	scratch_load_dwordx2 v[106:107], off, s33
	v_mov_b32_e32 v105, s34
	ds_read_b64 v[108:109], v105
	v_add_u32_e32 v104, -1, v104
	s_add_i32 s34, s34, 8
	s_add_i32 s33, s33, 8
	v_cmp_eq_u32_e32 vcc, 0, v104
	s_or_b64 s[4:5], vcc, s[4:5]
	s_waitcnt vmcnt(0) lgkmcnt(0)
	v_fmac_f64_e32 v[102:103], v[106:107], v[108:109]
	s_andn2_b64 exec, exec, s[4:5]
	s_cbranch_execnz .LBB48_23
; %bb.24:
	s_or_b64 exec, exec, s[4:5]
.LBB48_25:
	s_or_b64 exec, exec, s[8:9]
	v_mov_b32_e32 v104, 0
	ds_read_b64 v[104:105], v104 offset:360
	s_waitcnt lgkmcnt(0)
	v_mul_f64 v[102:103], v[102:103], v[104:105]
	scratch_store_dwordx2 off, v[102:103], off offset:360
.LBB48_26:
	s_or_b64 exec, exec, s[0:1]
	scratch_load_dwordx2 v[102:103], off, off offset:352
	v_cmp_lt_u32_e64 s[0:1], 44, v0
	s_waitcnt vmcnt(0)
	ds_write_b64 v1, v[102:103]
	s_waitcnt lgkmcnt(0)
	; wave barrier
	s_and_saveexec_b64 s[4:5], s[0:1]
	s_cbranch_execz .LBB48_36
; %bb.27:
	s_andn2_b64 vcc, exec, s[6:7]
	s_cbranch_vccnz .LBB48_29
; %bb.28:
	scratch_load_dwordx2 v[102:103], v11, off
	ds_read_b64 v[104:105], v1
	s_waitcnt vmcnt(0) lgkmcnt(0)
	v_mul_f64 v[102:103], v[102:103], v[104:105]
	s_cbranch_execz .LBB48_30
	s_branch .LBB48_31
.LBB48_29:
                                        ; implicit-def: $vgpr102_vgpr103
.LBB48_30:
	ds_read_b64 v[102:103], v1
.LBB48_31:
	s_and_saveexec_b64 s[8:9], s[2:3]
	s_cbranch_execz .LBB48_35
; %bb.32:
	s_movk_i32 s33, 0x168
	v_subrev_u32_e32 v104, 45, v0
	s_movk_i32 s34, 0x2f8
	s_mov_b64 s[2:3], 0
.LBB48_33:                              ; =>This Inner Loop Header: Depth=1
	scratch_load_dwordx2 v[106:107], off, s33
	v_mov_b32_e32 v105, s34
	ds_read_b64 v[108:109], v105
	v_add_u32_e32 v104, -1, v104
	s_add_i32 s34, s34, 8
	s_add_i32 s33, s33, 8
	v_cmp_eq_u32_e32 vcc, 0, v104
	s_or_b64 s[2:3], vcc, s[2:3]
	s_waitcnt vmcnt(0) lgkmcnt(0)
	v_fmac_f64_e32 v[102:103], v[106:107], v[108:109]
	s_andn2_b64 exec, exec, s[2:3]
	s_cbranch_execnz .LBB48_33
; %bb.34:
	s_or_b64 exec, exec, s[2:3]
.LBB48_35:
	s_or_b64 exec, exec, s[8:9]
	v_mov_b32_e32 v104, 0
	ds_read_b64 v[104:105], v104 offset:352
	s_waitcnt lgkmcnt(0)
	v_mul_f64 v[102:103], v[102:103], v[104:105]
	scratch_store_dwordx2 off, v[102:103], off offset:352
.LBB48_36:
	s_or_b64 exec, exec, s[4:5]
	scratch_load_dwordx2 v[102:103], off, off offset:344
	v_cmp_lt_u32_e64 s[2:3], 43, v0
	s_waitcnt vmcnt(0)
	ds_write_b64 v1, v[102:103]
	s_waitcnt lgkmcnt(0)
	; wave barrier
	s_and_saveexec_b64 s[4:5], s[2:3]
	s_cbranch_execz .LBB48_46
; %bb.37:
	s_andn2_b64 vcc, exec, s[6:7]
	s_cbranch_vccnz .LBB48_39
; %bb.38:
	scratch_load_dwordx2 v[102:103], v11, off
	ds_read_b64 v[104:105], v1
	s_waitcnt vmcnt(0) lgkmcnt(0)
	v_mul_f64 v[102:103], v[102:103], v[104:105]
	s_cbranch_execz .LBB48_40
	s_branch .LBB48_41
.LBB48_39:
                                        ; implicit-def: $vgpr102_vgpr103
.LBB48_40:
	ds_read_b64 v[102:103], v1
.LBB48_41:
	s_and_saveexec_b64 s[8:9], s[0:1]
	s_cbranch_execz .LBB48_45
; %bb.42:
	v_subrev_u32_e32 v104, 44, v0
	s_movk_i32 s33, 0x2f0
	s_mov_b64 s[0:1], 0
.LBB48_43:                              ; =>This Inner Loop Header: Depth=1
	scratch_load_dwordx2 v[106:107], off, s31
	v_mov_b32_e32 v105, s33
	ds_read_b64 v[108:109], v105
	v_add_u32_e32 v104, -1, v104
	s_add_i32 s33, s33, 8
	s_add_i32 s31, s31, 8
	v_cmp_eq_u32_e32 vcc, 0, v104
	s_or_b64 s[0:1], vcc, s[0:1]
	s_waitcnt vmcnt(0) lgkmcnt(0)
	v_fmac_f64_e32 v[102:103], v[106:107], v[108:109]
	s_andn2_b64 exec, exec, s[0:1]
	s_cbranch_execnz .LBB48_43
; %bb.44:
	s_or_b64 exec, exec, s[0:1]
.LBB48_45:
	s_or_b64 exec, exec, s[8:9]
	v_mov_b32_e32 v104, 0
	ds_read_b64 v[104:105], v104 offset:344
	s_waitcnt lgkmcnt(0)
	v_mul_f64 v[102:103], v[102:103], v[104:105]
	scratch_store_dwordx2 off, v[102:103], off offset:344
.LBB48_46:
	s_or_b64 exec, exec, s[4:5]
	scratch_load_dwordx2 v[102:103], off, off offset:336
	v_cmp_lt_u32_e64 s[0:1], 42, v0
	s_waitcnt vmcnt(0)
	ds_write_b64 v1, v[102:103]
	s_waitcnt lgkmcnt(0)
	; wave barrier
	s_and_saveexec_b64 s[4:5], s[0:1]
	s_cbranch_execz .LBB48_56
; %bb.47:
	s_andn2_b64 vcc, exec, s[6:7]
	s_cbranch_vccnz .LBB48_49
; %bb.48:
	scratch_load_dwordx2 v[102:103], v11, off
	ds_read_b64 v[104:105], v1
	s_waitcnt vmcnt(0) lgkmcnt(0)
	v_mul_f64 v[102:103], v[102:103], v[104:105]
	s_cbranch_execz .LBB48_50
	s_branch .LBB48_51
.LBB48_49:
                                        ; implicit-def: $vgpr102_vgpr103
.LBB48_50:
	ds_read_b64 v[102:103], v1
.LBB48_51:
	s_and_saveexec_b64 s[8:9], s[2:3]
	s_cbranch_execz .LBB48_55
; %bb.52:
	s_movk_i32 s31, 0x158
	v_subrev_u32_e32 v104, 43, v0
	s_movk_i32 s33, 0x2e8
	s_mov_b64 s[2:3], 0
.LBB48_53:                              ; =>This Inner Loop Header: Depth=1
	scratch_load_dwordx2 v[106:107], off, s31
	v_mov_b32_e32 v105, s33
	ds_read_b64 v[108:109], v105
	v_add_u32_e32 v104, -1, v104
	s_add_i32 s33, s33, 8
	s_add_i32 s31, s31, 8
	v_cmp_eq_u32_e32 vcc, 0, v104
	s_or_b64 s[2:3], vcc, s[2:3]
	s_waitcnt vmcnt(0) lgkmcnt(0)
	v_fmac_f64_e32 v[102:103], v[106:107], v[108:109]
	s_andn2_b64 exec, exec, s[2:3]
	s_cbranch_execnz .LBB48_53
; %bb.54:
	s_or_b64 exec, exec, s[2:3]
.LBB48_55:
	s_or_b64 exec, exec, s[8:9]
	v_mov_b32_e32 v104, 0
	ds_read_b64 v[104:105], v104 offset:336
	s_waitcnt lgkmcnt(0)
	v_mul_f64 v[102:103], v[102:103], v[104:105]
	scratch_store_dwordx2 off, v[102:103], off offset:336
.LBB48_56:
	s_or_b64 exec, exec, s[4:5]
	scratch_load_dwordx2 v[102:103], off, off offset:328
	v_cmp_lt_u32_e64 s[2:3], 41, v0
	s_waitcnt vmcnt(0)
	ds_write_b64 v1, v[102:103]
	s_waitcnt lgkmcnt(0)
	; wave barrier
	s_and_saveexec_b64 s[4:5], s[2:3]
	s_cbranch_execz .LBB48_66
; %bb.57:
	s_andn2_b64 vcc, exec, s[6:7]
	s_cbranch_vccnz .LBB48_59
; %bb.58:
	scratch_load_dwordx2 v[102:103], v11, off
	ds_read_b64 v[104:105], v1
	s_waitcnt vmcnt(0) lgkmcnt(0)
	v_mul_f64 v[102:103], v[102:103], v[104:105]
	s_cbranch_execz .LBB48_60
	s_branch .LBB48_61
.LBB48_59:
                                        ; implicit-def: $vgpr102_vgpr103
.LBB48_60:
	ds_read_b64 v[102:103], v1
.LBB48_61:
	s_and_saveexec_b64 s[8:9], s[0:1]
	s_cbranch_execz .LBB48_65
; %bb.62:
	v_subrev_u32_e32 v104, 42, v0
	s_movk_i32 s31, 0x2e0
	s_mov_b64 s[0:1], 0
.LBB48_63:                              ; =>This Inner Loop Header: Depth=1
	scratch_load_dwordx2 v[106:107], off, s30
	v_mov_b32_e32 v105, s31
	ds_read_b64 v[108:109], v105
	v_add_u32_e32 v104, -1, v104
	s_add_i32 s31, s31, 8
	s_add_i32 s30, s30, 8
	v_cmp_eq_u32_e32 vcc, 0, v104
	s_or_b64 s[0:1], vcc, s[0:1]
	s_waitcnt vmcnt(0) lgkmcnt(0)
	v_fmac_f64_e32 v[102:103], v[106:107], v[108:109]
	s_andn2_b64 exec, exec, s[0:1]
	s_cbranch_execnz .LBB48_63
; %bb.64:
	s_or_b64 exec, exec, s[0:1]
.LBB48_65:
	s_or_b64 exec, exec, s[8:9]
	v_mov_b32_e32 v104, 0
	ds_read_b64 v[104:105], v104 offset:328
	s_waitcnt lgkmcnt(0)
	v_mul_f64 v[102:103], v[102:103], v[104:105]
	scratch_store_dwordx2 off, v[102:103], off offset:328
.LBB48_66:
	s_or_b64 exec, exec, s[4:5]
	scratch_load_dwordx2 v[102:103], off, off offset:320
	v_cmp_lt_u32_e64 s[0:1], 40, v0
	s_waitcnt vmcnt(0)
	ds_write_b64 v1, v[102:103]
	s_waitcnt lgkmcnt(0)
	; wave barrier
	s_and_saveexec_b64 s[4:5], s[0:1]
	s_cbranch_execz .LBB48_76
; %bb.67:
	s_andn2_b64 vcc, exec, s[6:7]
	s_cbranch_vccnz .LBB48_69
; %bb.68:
	scratch_load_dwordx2 v[102:103], v11, off
	ds_read_b64 v[104:105], v1
	s_waitcnt vmcnt(0) lgkmcnt(0)
	v_mul_f64 v[102:103], v[102:103], v[104:105]
	s_cbranch_execz .LBB48_70
	s_branch .LBB48_71
.LBB48_69:
                                        ; implicit-def: $vgpr102_vgpr103
.LBB48_70:
	ds_read_b64 v[102:103], v1
.LBB48_71:
	s_and_saveexec_b64 s[8:9], s[2:3]
	s_cbranch_execz .LBB48_75
; %bb.72:
	s_movk_i32 s30, 0x148
	v_subrev_u32_e32 v104, 41, v0
	s_movk_i32 s31, 0x2d8
	s_mov_b64 s[2:3], 0
.LBB48_73:                              ; =>This Inner Loop Header: Depth=1
	scratch_load_dwordx2 v[106:107], off, s30
	v_mov_b32_e32 v105, s31
	ds_read_b64 v[108:109], v105
	v_add_u32_e32 v104, -1, v104
	s_add_i32 s31, s31, 8
	s_add_i32 s30, s30, 8
	v_cmp_eq_u32_e32 vcc, 0, v104
	s_or_b64 s[2:3], vcc, s[2:3]
	s_waitcnt vmcnt(0) lgkmcnt(0)
	v_fmac_f64_e32 v[102:103], v[106:107], v[108:109]
	s_andn2_b64 exec, exec, s[2:3]
	s_cbranch_execnz .LBB48_73
; %bb.74:
	s_or_b64 exec, exec, s[2:3]
.LBB48_75:
	s_or_b64 exec, exec, s[8:9]
	v_mov_b32_e32 v104, 0
	ds_read_b64 v[104:105], v104 offset:320
	s_waitcnt lgkmcnt(0)
	v_mul_f64 v[102:103], v[102:103], v[104:105]
	scratch_store_dwordx2 off, v[102:103], off offset:320
.LBB48_76:
	s_or_b64 exec, exec, s[4:5]
	scratch_load_dwordx2 v[102:103], off, off offset:312
	v_cmp_lt_u32_e64 s[2:3], 39, v0
	s_waitcnt vmcnt(0)
	ds_write_b64 v1, v[102:103]
	s_waitcnt lgkmcnt(0)
	; wave barrier
	s_and_saveexec_b64 s[4:5], s[2:3]
	s_cbranch_execz .LBB48_86
; %bb.77:
	s_andn2_b64 vcc, exec, s[6:7]
	s_cbranch_vccnz .LBB48_79
; %bb.78:
	scratch_load_dwordx2 v[102:103], v11, off
	ds_read_b64 v[104:105], v1
	s_waitcnt vmcnt(0) lgkmcnt(0)
	v_mul_f64 v[102:103], v[102:103], v[104:105]
	s_cbranch_execz .LBB48_80
	s_branch .LBB48_81
.LBB48_79:
                                        ; implicit-def: $vgpr102_vgpr103
.LBB48_80:
	ds_read_b64 v[102:103], v1
.LBB48_81:
	s_and_saveexec_b64 s[8:9], s[0:1]
	s_cbranch_execz .LBB48_85
; %bb.82:
	v_subrev_u32_e32 v104, 40, v0
	s_movk_i32 s30, 0x2d0
	s_mov_b64 s[0:1], 0
.LBB48_83:                              ; =>This Inner Loop Header: Depth=1
	scratch_load_dwordx2 v[106:107], off, s29
	v_mov_b32_e32 v105, s30
	ds_read_b64 v[108:109], v105
	v_add_u32_e32 v104, -1, v104
	s_add_i32 s30, s30, 8
	s_add_i32 s29, s29, 8
	v_cmp_eq_u32_e32 vcc, 0, v104
	s_or_b64 s[0:1], vcc, s[0:1]
	s_waitcnt vmcnt(0) lgkmcnt(0)
	v_fmac_f64_e32 v[102:103], v[106:107], v[108:109]
	s_andn2_b64 exec, exec, s[0:1]
	s_cbranch_execnz .LBB48_83
; %bb.84:
	s_or_b64 exec, exec, s[0:1]
.LBB48_85:
	s_or_b64 exec, exec, s[8:9]
	v_mov_b32_e32 v104, 0
	ds_read_b64 v[104:105], v104 offset:312
	s_waitcnt lgkmcnt(0)
	v_mul_f64 v[102:103], v[102:103], v[104:105]
	scratch_store_dwordx2 off, v[102:103], off offset:312
.LBB48_86:
	s_or_b64 exec, exec, s[4:5]
	scratch_load_dwordx2 v[102:103], off, off offset:304
	v_cmp_lt_u32_e64 s[0:1], 38, v0
	s_waitcnt vmcnt(0)
	ds_write_b64 v1, v[102:103]
	s_waitcnt lgkmcnt(0)
	; wave barrier
	s_and_saveexec_b64 s[4:5], s[0:1]
	s_cbranch_execz .LBB48_96
; %bb.87:
	s_andn2_b64 vcc, exec, s[6:7]
	s_cbranch_vccnz .LBB48_89
; %bb.88:
	scratch_load_dwordx2 v[102:103], v11, off
	ds_read_b64 v[104:105], v1
	s_waitcnt vmcnt(0) lgkmcnt(0)
	v_mul_f64 v[102:103], v[102:103], v[104:105]
	s_cbranch_execz .LBB48_90
	s_branch .LBB48_91
.LBB48_89:
                                        ; implicit-def: $vgpr102_vgpr103
.LBB48_90:
	ds_read_b64 v[102:103], v1
.LBB48_91:
	s_and_saveexec_b64 s[8:9], s[2:3]
	s_cbranch_execz .LBB48_95
; %bb.92:
	s_movk_i32 s29, 0x138
	v_subrev_u32_e32 v104, 39, v0
	s_movk_i32 s30, 0x2c8
	s_mov_b64 s[2:3], 0
.LBB48_93:                              ; =>This Inner Loop Header: Depth=1
	scratch_load_dwordx2 v[106:107], off, s29
	v_mov_b32_e32 v105, s30
	ds_read_b64 v[108:109], v105
	v_add_u32_e32 v104, -1, v104
	s_add_i32 s30, s30, 8
	s_add_i32 s29, s29, 8
	v_cmp_eq_u32_e32 vcc, 0, v104
	s_or_b64 s[2:3], vcc, s[2:3]
	s_waitcnt vmcnt(0) lgkmcnt(0)
	v_fmac_f64_e32 v[102:103], v[106:107], v[108:109]
	s_andn2_b64 exec, exec, s[2:3]
	s_cbranch_execnz .LBB48_93
; %bb.94:
	s_or_b64 exec, exec, s[2:3]
.LBB48_95:
	s_or_b64 exec, exec, s[8:9]
	v_mov_b32_e32 v104, 0
	ds_read_b64 v[104:105], v104 offset:304
	s_waitcnt lgkmcnt(0)
	v_mul_f64 v[102:103], v[102:103], v[104:105]
	scratch_store_dwordx2 off, v[102:103], off offset:304
.LBB48_96:
	s_or_b64 exec, exec, s[4:5]
	scratch_load_dwordx2 v[102:103], off, off offset:296
	v_cmp_lt_u32_e64 s[2:3], 37, v0
	s_waitcnt vmcnt(0)
	ds_write_b64 v1, v[102:103]
	s_waitcnt lgkmcnt(0)
	; wave barrier
	s_and_saveexec_b64 s[4:5], s[2:3]
	s_cbranch_execz .LBB48_106
; %bb.97:
	s_andn2_b64 vcc, exec, s[6:7]
	s_cbranch_vccnz .LBB48_99
; %bb.98:
	scratch_load_dwordx2 v[102:103], v11, off
	ds_read_b64 v[104:105], v1
	s_waitcnt vmcnt(0) lgkmcnt(0)
	v_mul_f64 v[102:103], v[102:103], v[104:105]
	s_cbranch_execz .LBB48_100
	s_branch .LBB48_101
.LBB48_99:
                                        ; implicit-def: $vgpr102_vgpr103
.LBB48_100:
	ds_read_b64 v[102:103], v1
.LBB48_101:
	s_and_saveexec_b64 s[8:9], s[0:1]
	s_cbranch_execz .LBB48_105
; %bb.102:
	v_subrev_u32_e32 v104, 38, v0
	s_movk_i32 s29, 0x2c0
	s_mov_b64 s[0:1], 0
.LBB48_103:                             ; =>This Inner Loop Header: Depth=1
	scratch_load_dwordx2 v[106:107], off, s28
	v_mov_b32_e32 v105, s29
	ds_read_b64 v[108:109], v105
	v_add_u32_e32 v104, -1, v104
	s_add_i32 s29, s29, 8
	s_add_i32 s28, s28, 8
	v_cmp_eq_u32_e32 vcc, 0, v104
	s_or_b64 s[0:1], vcc, s[0:1]
	s_waitcnt vmcnt(0) lgkmcnt(0)
	v_fmac_f64_e32 v[102:103], v[106:107], v[108:109]
	s_andn2_b64 exec, exec, s[0:1]
	s_cbranch_execnz .LBB48_103
; %bb.104:
	s_or_b64 exec, exec, s[0:1]
.LBB48_105:
	s_or_b64 exec, exec, s[8:9]
	v_mov_b32_e32 v104, 0
	ds_read_b64 v[104:105], v104 offset:296
	s_waitcnt lgkmcnt(0)
	v_mul_f64 v[102:103], v[102:103], v[104:105]
	scratch_store_dwordx2 off, v[102:103], off offset:296
.LBB48_106:
	s_or_b64 exec, exec, s[4:5]
	scratch_load_dwordx2 v[102:103], off, off offset:288
	v_cmp_lt_u32_e64 s[0:1], 36, v0
	s_waitcnt vmcnt(0)
	ds_write_b64 v1, v[102:103]
	s_waitcnt lgkmcnt(0)
	; wave barrier
	s_and_saveexec_b64 s[4:5], s[0:1]
	s_cbranch_execz .LBB48_116
; %bb.107:
	s_andn2_b64 vcc, exec, s[6:7]
	s_cbranch_vccnz .LBB48_109
; %bb.108:
	scratch_load_dwordx2 v[102:103], v11, off
	ds_read_b64 v[104:105], v1
	s_waitcnt vmcnt(0) lgkmcnt(0)
	v_mul_f64 v[102:103], v[102:103], v[104:105]
	s_cbranch_execz .LBB48_110
	s_branch .LBB48_111
.LBB48_109:
                                        ; implicit-def: $vgpr102_vgpr103
.LBB48_110:
	ds_read_b64 v[102:103], v1
.LBB48_111:
	s_and_saveexec_b64 s[8:9], s[2:3]
	s_cbranch_execz .LBB48_115
; %bb.112:
	s_movk_i32 s28, 0x128
	v_subrev_u32_e32 v104, 37, v0
	s_movk_i32 s29, 0x2b8
	s_mov_b64 s[2:3], 0
.LBB48_113:                             ; =>This Inner Loop Header: Depth=1
	scratch_load_dwordx2 v[106:107], off, s28
	v_mov_b32_e32 v105, s29
	ds_read_b64 v[108:109], v105
	v_add_u32_e32 v104, -1, v104
	s_add_i32 s29, s29, 8
	s_add_i32 s28, s28, 8
	v_cmp_eq_u32_e32 vcc, 0, v104
	s_or_b64 s[2:3], vcc, s[2:3]
	s_waitcnt vmcnt(0) lgkmcnt(0)
	v_fmac_f64_e32 v[102:103], v[106:107], v[108:109]
	s_andn2_b64 exec, exec, s[2:3]
	s_cbranch_execnz .LBB48_113
; %bb.114:
	s_or_b64 exec, exec, s[2:3]
.LBB48_115:
	s_or_b64 exec, exec, s[8:9]
	v_mov_b32_e32 v104, 0
	ds_read_b64 v[104:105], v104 offset:288
	s_waitcnt lgkmcnt(0)
	v_mul_f64 v[102:103], v[102:103], v[104:105]
	scratch_store_dwordx2 off, v[102:103], off offset:288
.LBB48_116:
	s_or_b64 exec, exec, s[4:5]
	scratch_load_dwordx2 v[102:103], off, off offset:280
	v_cmp_lt_u32_e64 s[2:3], 35, v0
	s_waitcnt vmcnt(0)
	ds_write_b64 v1, v[102:103]
	s_waitcnt lgkmcnt(0)
	; wave barrier
	s_and_saveexec_b64 s[4:5], s[2:3]
	s_cbranch_execz .LBB48_126
; %bb.117:
	s_andn2_b64 vcc, exec, s[6:7]
	s_cbranch_vccnz .LBB48_119
; %bb.118:
	scratch_load_dwordx2 v[102:103], v11, off
	ds_read_b64 v[104:105], v1
	s_waitcnt vmcnt(0) lgkmcnt(0)
	v_mul_f64 v[102:103], v[102:103], v[104:105]
	s_cbranch_execz .LBB48_120
	s_branch .LBB48_121
.LBB48_119:
                                        ; implicit-def: $vgpr102_vgpr103
.LBB48_120:
	ds_read_b64 v[102:103], v1
.LBB48_121:
	s_and_saveexec_b64 s[8:9], s[0:1]
	s_cbranch_execz .LBB48_125
; %bb.122:
	v_subrev_u32_e32 v104, 36, v0
	s_movk_i32 s28, 0x2b0
	s_mov_b64 s[0:1], 0
.LBB48_123:                             ; =>This Inner Loop Header: Depth=1
	scratch_load_dwordx2 v[106:107], off, s27
	v_mov_b32_e32 v105, s28
	ds_read_b64 v[108:109], v105
	v_add_u32_e32 v104, -1, v104
	s_add_i32 s28, s28, 8
	s_add_i32 s27, s27, 8
	v_cmp_eq_u32_e32 vcc, 0, v104
	s_or_b64 s[0:1], vcc, s[0:1]
	s_waitcnt vmcnt(0) lgkmcnt(0)
	v_fmac_f64_e32 v[102:103], v[106:107], v[108:109]
	s_andn2_b64 exec, exec, s[0:1]
	s_cbranch_execnz .LBB48_123
; %bb.124:
	s_or_b64 exec, exec, s[0:1]
.LBB48_125:
	s_or_b64 exec, exec, s[8:9]
	v_mov_b32_e32 v104, 0
	ds_read_b64 v[104:105], v104 offset:280
	s_waitcnt lgkmcnt(0)
	v_mul_f64 v[102:103], v[102:103], v[104:105]
	scratch_store_dwordx2 off, v[102:103], off offset:280
.LBB48_126:
	s_or_b64 exec, exec, s[4:5]
	scratch_load_dwordx2 v[102:103], off, off offset:272
	v_cmp_lt_u32_e64 s[0:1], 34, v0
	s_waitcnt vmcnt(0)
	ds_write_b64 v1, v[102:103]
	s_waitcnt lgkmcnt(0)
	; wave barrier
	s_and_saveexec_b64 s[4:5], s[0:1]
	s_cbranch_execz .LBB48_136
; %bb.127:
	s_andn2_b64 vcc, exec, s[6:7]
	s_cbranch_vccnz .LBB48_129
; %bb.128:
	scratch_load_dwordx2 v[102:103], v11, off
	ds_read_b64 v[104:105], v1
	s_waitcnt vmcnt(0) lgkmcnt(0)
	v_mul_f64 v[102:103], v[102:103], v[104:105]
	s_cbranch_execz .LBB48_130
	s_branch .LBB48_131
.LBB48_129:
                                        ; implicit-def: $vgpr102_vgpr103
.LBB48_130:
	ds_read_b64 v[102:103], v1
.LBB48_131:
	s_and_saveexec_b64 s[8:9], s[2:3]
	s_cbranch_execz .LBB48_135
; %bb.132:
	s_movk_i32 s27, 0x118
	v_subrev_u32_e32 v104, 35, v0
	s_movk_i32 s28, 0x2a8
	s_mov_b64 s[2:3], 0
.LBB48_133:                             ; =>This Inner Loop Header: Depth=1
	scratch_load_dwordx2 v[106:107], off, s27
	v_mov_b32_e32 v105, s28
	ds_read_b64 v[108:109], v105
	v_add_u32_e32 v104, -1, v104
	s_add_i32 s28, s28, 8
	s_add_i32 s27, s27, 8
	v_cmp_eq_u32_e32 vcc, 0, v104
	s_or_b64 s[2:3], vcc, s[2:3]
	s_waitcnt vmcnt(0) lgkmcnt(0)
	v_fmac_f64_e32 v[102:103], v[106:107], v[108:109]
	s_andn2_b64 exec, exec, s[2:3]
	s_cbranch_execnz .LBB48_133
; %bb.134:
	s_or_b64 exec, exec, s[2:3]
.LBB48_135:
	s_or_b64 exec, exec, s[8:9]
	v_mov_b32_e32 v104, 0
	ds_read_b64 v[104:105], v104 offset:272
	s_waitcnt lgkmcnt(0)
	v_mul_f64 v[102:103], v[102:103], v[104:105]
	scratch_store_dwordx2 off, v[102:103], off offset:272
.LBB48_136:
	s_or_b64 exec, exec, s[4:5]
	scratch_load_dwordx2 v[102:103], off, off offset:264
	v_cmp_lt_u32_e64 s[2:3], 33, v0
	s_waitcnt vmcnt(0)
	ds_write_b64 v1, v[102:103]
	s_waitcnt lgkmcnt(0)
	; wave barrier
	s_and_saveexec_b64 s[4:5], s[2:3]
	s_cbranch_execz .LBB48_146
; %bb.137:
	s_andn2_b64 vcc, exec, s[6:7]
	s_cbranch_vccnz .LBB48_139
; %bb.138:
	scratch_load_dwordx2 v[102:103], v11, off
	ds_read_b64 v[104:105], v1
	s_waitcnt vmcnt(0) lgkmcnt(0)
	v_mul_f64 v[102:103], v[102:103], v[104:105]
	s_cbranch_execz .LBB48_140
	s_branch .LBB48_141
.LBB48_139:
                                        ; implicit-def: $vgpr102_vgpr103
.LBB48_140:
	ds_read_b64 v[102:103], v1
.LBB48_141:
	s_and_saveexec_b64 s[8:9], s[0:1]
	s_cbranch_execz .LBB48_145
; %bb.142:
	v_subrev_u32_e32 v104, 34, v0
	s_movk_i32 s27, 0x2a0
	s_mov_b64 s[0:1], 0
.LBB48_143:                             ; =>This Inner Loop Header: Depth=1
	scratch_load_dwordx2 v[106:107], off, s26
	v_mov_b32_e32 v105, s27
	ds_read_b64 v[108:109], v105
	v_add_u32_e32 v104, -1, v104
	s_add_i32 s27, s27, 8
	s_add_i32 s26, s26, 8
	v_cmp_eq_u32_e32 vcc, 0, v104
	s_or_b64 s[0:1], vcc, s[0:1]
	s_waitcnt vmcnt(0) lgkmcnt(0)
	v_fmac_f64_e32 v[102:103], v[106:107], v[108:109]
	s_andn2_b64 exec, exec, s[0:1]
	s_cbranch_execnz .LBB48_143
; %bb.144:
	s_or_b64 exec, exec, s[0:1]
.LBB48_145:
	s_or_b64 exec, exec, s[8:9]
	v_mov_b32_e32 v104, 0
	ds_read_b64 v[104:105], v104 offset:264
	s_waitcnt lgkmcnt(0)
	v_mul_f64 v[102:103], v[102:103], v[104:105]
	scratch_store_dwordx2 off, v[102:103], off offset:264
.LBB48_146:
	s_or_b64 exec, exec, s[4:5]
	scratch_load_dwordx2 v[102:103], off, off offset:256
	v_cmp_lt_u32_e64 s[0:1], 32, v0
	s_waitcnt vmcnt(0)
	ds_write_b64 v1, v[102:103]
	s_waitcnt lgkmcnt(0)
	; wave barrier
	s_and_saveexec_b64 s[4:5], s[0:1]
	s_cbranch_execz .LBB48_156
; %bb.147:
	s_andn2_b64 vcc, exec, s[6:7]
	s_cbranch_vccnz .LBB48_149
; %bb.148:
	scratch_load_dwordx2 v[102:103], v11, off
	ds_read_b64 v[104:105], v1
	s_waitcnt vmcnt(0) lgkmcnt(0)
	v_mul_f64 v[102:103], v[102:103], v[104:105]
	s_cbranch_execz .LBB48_150
	s_branch .LBB48_151
.LBB48_149:
                                        ; implicit-def: $vgpr102_vgpr103
.LBB48_150:
	ds_read_b64 v[102:103], v1
.LBB48_151:
	s_and_saveexec_b64 s[8:9], s[2:3]
	s_cbranch_execz .LBB48_155
; %bb.152:
	s_movk_i32 s26, 0x108
	v_subrev_u32_e32 v104, 33, v0
	s_movk_i32 s27, 0x298
	s_mov_b64 s[2:3], 0
.LBB48_153:                             ; =>This Inner Loop Header: Depth=1
	scratch_load_dwordx2 v[106:107], off, s26
	v_mov_b32_e32 v105, s27
	ds_read_b64 v[108:109], v105
	v_add_u32_e32 v104, -1, v104
	s_add_i32 s27, s27, 8
	s_add_i32 s26, s26, 8
	v_cmp_eq_u32_e32 vcc, 0, v104
	s_or_b64 s[2:3], vcc, s[2:3]
	s_waitcnt vmcnt(0) lgkmcnt(0)
	v_fmac_f64_e32 v[102:103], v[106:107], v[108:109]
	s_andn2_b64 exec, exec, s[2:3]
	s_cbranch_execnz .LBB48_153
; %bb.154:
	s_or_b64 exec, exec, s[2:3]
.LBB48_155:
	s_or_b64 exec, exec, s[8:9]
	v_mov_b32_e32 v104, 0
	ds_read_b64 v[104:105], v104 offset:256
	s_waitcnt lgkmcnt(0)
	v_mul_f64 v[102:103], v[102:103], v[104:105]
	scratch_store_dwordx2 off, v[102:103], off offset:256
.LBB48_156:
	s_or_b64 exec, exec, s[4:5]
	scratch_load_dwordx2 v[102:103], off, off offset:248
	v_cmp_lt_u32_e64 s[2:3], 31, v0
	s_waitcnt vmcnt(0)
	ds_write_b64 v1, v[102:103]
	s_waitcnt lgkmcnt(0)
	; wave barrier
	s_and_saveexec_b64 s[4:5], s[2:3]
	s_cbranch_execz .LBB48_166
; %bb.157:
	s_andn2_b64 vcc, exec, s[6:7]
	s_cbranch_vccnz .LBB48_159
; %bb.158:
	scratch_load_dwordx2 v[102:103], v11, off
	ds_read_b64 v[104:105], v1
	s_waitcnt vmcnt(0) lgkmcnt(0)
	v_mul_f64 v[102:103], v[102:103], v[104:105]
	s_cbranch_execz .LBB48_160
	s_branch .LBB48_161
.LBB48_159:
                                        ; implicit-def: $vgpr102_vgpr103
.LBB48_160:
	ds_read_b64 v[102:103], v1
.LBB48_161:
	s_and_saveexec_b64 s[8:9], s[0:1]
	s_cbranch_execz .LBB48_165
; %bb.162:
	v_subrev_u32_e32 v104, 32, v0
	s_movk_i32 s26, 0x290
	s_mov_b64 s[0:1], 0
.LBB48_163:                             ; =>This Inner Loop Header: Depth=1
	scratch_load_dwordx2 v[106:107], off, s25
	v_mov_b32_e32 v105, s26
	ds_read_b64 v[108:109], v105
	v_add_u32_e32 v104, -1, v104
	s_add_i32 s26, s26, 8
	s_add_i32 s25, s25, 8
	v_cmp_eq_u32_e32 vcc, 0, v104
	s_or_b64 s[0:1], vcc, s[0:1]
	s_waitcnt vmcnt(0) lgkmcnt(0)
	v_fmac_f64_e32 v[102:103], v[106:107], v[108:109]
	s_andn2_b64 exec, exec, s[0:1]
	s_cbranch_execnz .LBB48_163
; %bb.164:
	s_or_b64 exec, exec, s[0:1]
.LBB48_165:
	s_or_b64 exec, exec, s[8:9]
	v_mov_b32_e32 v104, 0
	ds_read_b64 v[104:105], v104 offset:248
	s_waitcnt lgkmcnt(0)
	v_mul_f64 v[102:103], v[102:103], v[104:105]
	scratch_store_dwordx2 off, v[102:103], off offset:248
.LBB48_166:
	s_or_b64 exec, exec, s[4:5]
	scratch_load_dwordx2 v[102:103], off, off offset:240
	v_cmp_lt_u32_e64 s[0:1], 30, v0
	s_waitcnt vmcnt(0)
	ds_write_b64 v1, v[102:103]
	s_waitcnt lgkmcnt(0)
	; wave barrier
	s_and_saveexec_b64 s[4:5], s[0:1]
	s_cbranch_execz .LBB48_176
; %bb.167:
	s_andn2_b64 vcc, exec, s[6:7]
	s_cbranch_vccnz .LBB48_169
; %bb.168:
	scratch_load_dwordx2 v[102:103], v11, off
	ds_read_b64 v[104:105], v1
	s_waitcnt vmcnt(0) lgkmcnt(0)
	v_mul_f64 v[102:103], v[102:103], v[104:105]
	s_cbranch_execz .LBB48_170
	s_branch .LBB48_171
.LBB48_169:
                                        ; implicit-def: $vgpr102_vgpr103
.LBB48_170:
	ds_read_b64 v[102:103], v1
.LBB48_171:
	s_and_saveexec_b64 s[8:9], s[2:3]
	s_cbranch_execz .LBB48_175
; %bb.172:
	s_movk_i32 s25, 0xf8
	v_subrev_u32_e32 v104, 31, v0
	s_movk_i32 s26, 0x288
	s_mov_b64 s[2:3], 0
.LBB48_173:                             ; =>This Inner Loop Header: Depth=1
	scratch_load_dwordx2 v[106:107], off, s25
	v_mov_b32_e32 v105, s26
	ds_read_b64 v[108:109], v105
	v_add_u32_e32 v104, -1, v104
	s_add_i32 s26, s26, 8
	s_add_i32 s25, s25, 8
	v_cmp_eq_u32_e32 vcc, 0, v104
	s_or_b64 s[2:3], vcc, s[2:3]
	s_waitcnt vmcnt(0) lgkmcnt(0)
	v_fmac_f64_e32 v[102:103], v[106:107], v[108:109]
	s_andn2_b64 exec, exec, s[2:3]
	s_cbranch_execnz .LBB48_173
; %bb.174:
	s_or_b64 exec, exec, s[2:3]
.LBB48_175:
	s_or_b64 exec, exec, s[8:9]
	v_mov_b32_e32 v104, 0
	ds_read_b64 v[104:105], v104 offset:240
	s_waitcnt lgkmcnt(0)
	v_mul_f64 v[102:103], v[102:103], v[104:105]
	scratch_store_dwordx2 off, v[102:103], off offset:240
.LBB48_176:
	s_or_b64 exec, exec, s[4:5]
	scratch_load_dwordx2 v[102:103], off, off offset:232
	v_cmp_lt_u32_e64 s[2:3], 29, v0
	s_waitcnt vmcnt(0)
	ds_write_b64 v1, v[102:103]
	s_waitcnt lgkmcnt(0)
	; wave barrier
	s_and_saveexec_b64 s[4:5], s[2:3]
	s_cbranch_execz .LBB48_186
; %bb.177:
	s_andn2_b64 vcc, exec, s[6:7]
	s_cbranch_vccnz .LBB48_179
; %bb.178:
	scratch_load_dwordx2 v[102:103], v11, off
	ds_read_b64 v[104:105], v1
	s_waitcnt vmcnt(0) lgkmcnt(0)
	v_mul_f64 v[102:103], v[102:103], v[104:105]
	s_cbranch_execz .LBB48_180
	s_branch .LBB48_181
.LBB48_179:
                                        ; implicit-def: $vgpr102_vgpr103
.LBB48_180:
	ds_read_b64 v[102:103], v1
.LBB48_181:
	s_and_saveexec_b64 s[8:9], s[0:1]
	s_cbranch_execz .LBB48_185
; %bb.182:
	v_subrev_u32_e32 v104, 30, v0
	s_movk_i32 s25, 0x280
	s_mov_b64 s[0:1], 0
.LBB48_183:                             ; =>This Inner Loop Header: Depth=1
	scratch_load_dwordx2 v[106:107], off, s24
	v_mov_b32_e32 v105, s25
	ds_read_b64 v[108:109], v105
	v_add_u32_e32 v104, -1, v104
	s_add_i32 s25, s25, 8
	s_add_i32 s24, s24, 8
	v_cmp_eq_u32_e32 vcc, 0, v104
	s_or_b64 s[0:1], vcc, s[0:1]
	s_waitcnt vmcnt(0) lgkmcnt(0)
	v_fmac_f64_e32 v[102:103], v[106:107], v[108:109]
	s_andn2_b64 exec, exec, s[0:1]
	s_cbranch_execnz .LBB48_183
; %bb.184:
	s_or_b64 exec, exec, s[0:1]
.LBB48_185:
	s_or_b64 exec, exec, s[8:9]
	v_mov_b32_e32 v104, 0
	ds_read_b64 v[104:105], v104 offset:232
	s_waitcnt lgkmcnt(0)
	v_mul_f64 v[102:103], v[102:103], v[104:105]
	scratch_store_dwordx2 off, v[102:103], off offset:232
.LBB48_186:
	s_or_b64 exec, exec, s[4:5]
	scratch_load_dwordx2 v[102:103], off, off offset:224
	v_cmp_lt_u32_e64 s[0:1], 28, v0
	s_waitcnt vmcnt(0)
	ds_write_b64 v1, v[102:103]
	s_waitcnt lgkmcnt(0)
	; wave barrier
	s_and_saveexec_b64 s[4:5], s[0:1]
	s_cbranch_execz .LBB48_196
; %bb.187:
	s_andn2_b64 vcc, exec, s[6:7]
	s_cbranch_vccnz .LBB48_189
; %bb.188:
	scratch_load_dwordx2 v[102:103], v11, off
	ds_read_b64 v[104:105], v1
	s_waitcnt vmcnt(0) lgkmcnt(0)
	v_mul_f64 v[102:103], v[102:103], v[104:105]
	s_cbranch_execz .LBB48_190
	s_branch .LBB48_191
.LBB48_189:
                                        ; implicit-def: $vgpr102_vgpr103
.LBB48_190:
	ds_read_b64 v[102:103], v1
.LBB48_191:
	s_and_saveexec_b64 s[8:9], s[2:3]
	s_cbranch_execz .LBB48_195
; %bb.192:
	s_movk_i32 s24, 0xe8
	v_subrev_u32_e32 v104, 29, v0
	s_movk_i32 s25, 0x278
	s_mov_b64 s[2:3], 0
.LBB48_193:                             ; =>This Inner Loop Header: Depth=1
	scratch_load_dwordx2 v[106:107], off, s24
	v_mov_b32_e32 v105, s25
	ds_read_b64 v[108:109], v105
	v_add_u32_e32 v104, -1, v104
	s_add_i32 s25, s25, 8
	s_add_i32 s24, s24, 8
	v_cmp_eq_u32_e32 vcc, 0, v104
	s_or_b64 s[2:3], vcc, s[2:3]
	s_waitcnt vmcnt(0) lgkmcnt(0)
	v_fmac_f64_e32 v[102:103], v[106:107], v[108:109]
	s_andn2_b64 exec, exec, s[2:3]
	s_cbranch_execnz .LBB48_193
; %bb.194:
	s_or_b64 exec, exec, s[2:3]
.LBB48_195:
	s_or_b64 exec, exec, s[8:9]
	v_mov_b32_e32 v104, 0
	ds_read_b64 v[104:105], v104 offset:224
	s_waitcnt lgkmcnt(0)
	v_mul_f64 v[102:103], v[102:103], v[104:105]
	scratch_store_dwordx2 off, v[102:103], off offset:224
.LBB48_196:
	s_or_b64 exec, exec, s[4:5]
	scratch_load_dwordx2 v[102:103], off, off offset:216
	v_cmp_lt_u32_e64 s[2:3], 27, v0
	s_waitcnt vmcnt(0)
	ds_write_b64 v1, v[102:103]
	s_waitcnt lgkmcnt(0)
	; wave barrier
	s_and_saveexec_b64 s[4:5], s[2:3]
	s_cbranch_execz .LBB48_206
; %bb.197:
	s_andn2_b64 vcc, exec, s[6:7]
	s_cbranch_vccnz .LBB48_199
; %bb.198:
	scratch_load_dwordx2 v[102:103], v11, off
	ds_read_b64 v[104:105], v1
	s_waitcnt vmcnt(0) lgkmcnt(0)
	v_mul_f64 v[102:103], v[102:103], v[104:105]
	s_cbranch_execz .LBB48_200
	s_branch .LBB48_201
.LBB48_199:
                                        ; implicit-def: $vgpr102_vgpr103
.LBB48_200:
	ds_read_b64 v[102:103], v1
.LBB48_201:
	s_and_saveexec_b64 s[8:9], s[0:1]
	s_cbranch_execz .LBB48_205
; %bb.202:
	v_subrev_u32_e32 v104, 28, v0
	s_movk_i32 s24, 0x270
	s_mov_b64 s[0:1], 0
.LBB48_203:                             ; =>This Inner Loop Header: Depth=1
	scratch_load_dwordx2 v[106:107], off, s23
	v_mov_b32_e32 v105, s24
	ds_read_b64 v[108:109], v105
	v_add_u32_e32 v104, -1, v104
	s_add_i32 s24, s24, 8
	s_add_i32 s23, s23, 8
	v_cmp_eq_u32_e32 vcc, 0, v104
	s_or_b64 s[0:1], vcc, s[0:1]
	s_waitcnt vmcnt(0) lgkmcnt(0)
	v_fmac_f64_e32 v[102:103], v[106:107], v[108:109]
	s_andn2_b64 exec, exec, s[0:1]
	s_cbranch_execnz .LBB48_203
; %bb.204:
	s_or_b64 exec, exec, s[0:1]
.LBB48_205:
	s_or_b64 exec, exec, s[8:9]
	v_mov_b32_e32 v104, 0
	ds_read_b64 v[104:105], v104 offset:216
	s_waitcnt lgkmcnt(0)
	v_mul_f64 v[102:103], v[102:103], v[104:105]
	scratch_store_dwordx2 off, v[102:103], off offset:216
.LBB48_206:
	s_or_b64 exec, exec, s[4:5]
	scratch_load_dwordx2 v[102:103], off, off offset:208
	v_cmp_lt_u32_e64 s[0:1], 26, v0
	s_waitcnt vmcnt(0)
	ds_write_b64 v1, v[102:103]
	s_waitcnt lgkmcnt(0)
	; wave barrier
	s_and_saveexec_b64 s[4:5], s[0:1]
	s_cbranch_execz .LBB48_216
; %bb.207:
	s_andn2_b64 vcc, exec, s[6:7]
	s_cbranch_vccnz .LBB48_209
; %bb.208:
	scratch_load_dwordx2 v[102:103], v11, off
	ds_read_b64 v[104:105], v1
	s_waitcnt vmcnt(0) lgkmcnt(0)
	v_mul_f64 v[102:103], v[102:103], v[104:105]
	s_cbranch_execz .LBB48_210
	s_branch .LBB48_211
.LBB48_209:
                                        ; implicit-def: $vgpr102_vgpr103
.LBB48_210:
	ds_read_b64 v[102:103], v1
.LBB48_211:
	s_and_saveexec_b64 s[8:9], s[2:3]
	s_cbranch_execz .LBB48_215
; %bb.212:
	s_movk_i32 s23, 0xd8
	v_subrev_u32_e32 v104, 27, v0
	s_movk_i32 s24, 0x268
	s_mov_b64 s[2:3], 0
.LBB48_213:                             ; =>This Inner Loop Header: Depth=1
	scratch_load_dwordx2 v[106:107], off, s23
	v_mov_b32_e32 v105, s24
	ds_read_b64 v[108:109], v105
	v_add_u32_e32 v104, -1, v104
	s_add_i32 s24, s24, 8
	s_add_i32 s23, s23, 8
	v_cmp_eq_u32_e32 vcc, 0, v104
	s_or_b64 s[2:3], vcc, s[2:3]
	s_waitcnt vmcnt(0) lgkmcnt(0)
	v_fmac_f64_e32 v[102:103], v[106:107], v[108:109]
	s_andn2_b64 exec, exec, s[2:3]
	s_cbranch_execnz .LBB48_213
; %bb.214:
	s_or_b64 exec, exec, s[2:3]
.LBB48_215:
	s_or_b64 exec, exec, s[8:9]
	v_mov_b32_e32 v104, 0
	ds_read_b64 v[104:105], v104 offset:208
	s_waitcnt lgkmcnt(0)
	v_mul_f64 v[102:103], v[102:103], v[104:105]
	scratch_store_dwordx2 off, v[102:103], off offset:208
.LBB48_216:
	s_or_b64 exec, exec, s[4:5]
	scratch_load_dwordx2 v[102:103], off, off offset:200
	v_cmp_lt_u32_e64 s[2:3], 25, v0
	s_waitcnt vmcnt(0)
	ds_write_b64 v1, v[102:103]
	s_waitcnt lgkmcnt(0)
	; wave barrier
	s_and_saveexec_b64 s[4:5], s[2:3]
	s_cbranch_execz .LBB48_226
; %bb.217:
	s_andn2_b64 vcc, exec, s[6:7]
	s_cbranch_vccnz .LBB48_219
; %bb.218:
	scratch_load_dwordx2 v[102:103], v11, off
	ds_read_b64 v[104:105], v1
	s_waitcnt vmcnt(0) lgkmcnt(0)
	v_mul_f64 v[102:103], v[102:103], v[104:105]
	s_cbranch_execz .LBB48_220
	s_branch .LBB48_221
.LBB48_219:
                                        ; implicit-def: $vgpr102_vgpr103
.LBB48_220:
	ds_read_b64 v[102:103], v1
.LBB48_221:
	s_and_saveexec_b64 s[8:9], s[0:1]
	s_cbranch_execz .LBB48_225
; %bb.222:
	v_subrev_u32_e32 v104, 26, v0
	s_movk_i32 s23, 0x260
	s_mov_b64 s[0:1], 0
.LBB48_223:                             ; =>This Inner Loop Header: Depth=1
	scratch_load_dwordx2 v[106:107], off, s22
	v_mov_b32_e32 v105, s23
	ds_read_b64 v[108:109], v105
	v_add_u32_e32 v104, -1, v104
	s_add_i32 s23, s23, 8
	s_add_i32 s22, s22, 8
	v_cmp_eq_u32_e32 vcc, 0, v104
	s_or_b64 s[0:1], vcc, s[0:1]
	s_waitcnt vmcnt(0) lgkmcnt(0)
	v_fmac_f64_e32 v[102:103], v[106:107], v[108:109]
	s_andn2_b64 exec, exec, s[0:1]
	s_cbranch_execnz .LBB48_223
; %bb.224:
	s_or_b64 exec, exec, s[0:1]
.LBB48_225:
	s_or_b64 exec, exec, s[8:9]
	v_mov_b32_e32 v104, 0
	ds_read_b64 v[104:105], v104 offset:200
	s_waitcnt lgkmcnt(0)
	v_mul_f64 v[102:103], v[102:103], v[104:105]
	scratch_store_dwordx2 off, v[102:103], off offset:200
.LBB48_226:
	s_or_b64 exec, exec, s[4:5]
	scratch_load_dwordx2 v[102:103], off, off offset:192
	v_cmp_lt_u32_e64 s[0:1], 24, v0
	s_waitcnt vmcnt(0)
	ds_write_b64 v1, v[102:103]
	s_waitcnt lgkmcnt(0)
	; wave barrier
	s_and_saveexec_b64 s[4:5], s[0:1]
	s_cbranch_execz .LBB48_236
; %bb.227:
	s_andn2_b64 vcc, exec, s[6:7]
	s_cbranch_vccnz .LBB48_229
; %bb.228:
	scratch_load_dwordx2 v[102:103], v11, off
	ds_read_b64 v[104:105], v1
	s_waitcnt vmcnt(0) lgkmcnt(0)
	v_mul_f64 v[102:103], v[102:103], v[104:105]
	s_cbranch_execz .LBB48_230
	s_branch .LBB48_231
.LBB48_229:
                                        ; implicit-def: $vgpr102_vgpr103
.LBB48_230:
	ds_read_b64 v[102:103], v1
.LBB48_231:
	s_and_saveexec_b64 s[8:9], s[2:3]
	s_cbranch_execz .LBB48_235
; %bb.232:
	s_movk_i32 s22, 0xc8
	v_subrev_u32_e32 v104, 25, v0
	s_movk_i32 s23, 0x258
	s_mov_b64 s[2:3], 0
.LBB48_233:                             ; =>This Inner Loop Header: Depth=1
	scratch_load_dwordx2 v[106:107], off, s22
	v_mov_b32_e32 v105, s23
	ds_read_b64 v[108:109], v105
	v_add_u32_e32 v104, -1, v104
	s_add_i32 s23, s23, 8
	s_add_i32 s22, s22, 8
	v_cmp_eq_u32_e32 vcc, 0, v104
	s_or_b64 s[2:3], vcc, s[2:3]
	s_waitcnt vmcnt(0) lgkmcnt(0)
	v_fmac_f64_e32 v[102:103], v[106:107], v[108:109]
	s_andn2_b64 exec, exec, s[2:3]
	s_cbranch_execnz .LBB48_233
; %bb.234:
	s_or_b64 exec, exec, s[2:3]
.LBB48_235:
	s_or_b64 exec, exec, s[8:9]
	v_mov_b32_e32 v104, 0
	ds_read_b64 v[104:105], v104 offset:192
	s_waitcnt lgkmcnt(0)
	v_mul_f64 v[102:103], v[102:103], v[104:105]
	scratch_store_dwordx2 off, v[102:103], off offset:192
.LBB48_236:
	s_or_b64 exec, exec, s[4:5]
	scratch_load_dwordx2 v[102:103], off, off offset:184
	v_cmp_lt_u32_e64 s[2:3], 23, v0
	s_waitcnt vmcnt(0)
	ds_write_b64 v1, v[102:103]
	s_waitcnt lgkmcnt(0)
	; wave barrier
	s_and_saveexec_b64 s[4:5], s[2:3]
	s_cbranch_execz .LBB48_246
; %bb.237:
	s_andn2_b64 vcc, exec, s[6:7]
	s_cbranch_vccnz .LBB48_239
; %bb.238:
	scratch_load_dwordx2 v[102:103], v11, off
	ds_read_b64 v[104:105], v1
	s_waitcnt vmcnt(0) lgkmcnt(0)
	v_mul_f64 v[102:103], v[102:103], v[104:105]
	s_cbranch_execz .LBB48_240
	s_branch .LBB48_241
.LBB48_239:
                                        ; implicit-def: $vgpr102_vgpr103
.LBB48_240:
	ds_read_b64 v[102:103], v1
.LBB48_241:
	s_and_saveexec_b64 s[8:9], s[0:1]
	s_cbranch_execz .LBB48_245
; %bb.242:
	v_subrev_u32_e32 v104, 24, v0
	s_movk_i32 s22, 0x250
	s_mov_b64 s[0:1], 0
.LBB48_243:                             ; =>This Inner Loop Header: Depth=1
	scratch_load_dwordx2 v[106:107], off, s21
	v_mov_b32_e32 v105, s22
	ds_read_b64 v[108:109], v105
	v_add_u32_e32 v104, -1, v104
	s_add_i32 s22, s22, 8
	s_add_i32 s21, s21, 8
	v_cmp_eq_u32_e32 vcc, 0, v104
	s_or_b64 s[0:1], vcc, s[0:1]
	s_waitcnt vmcnt(0) lgkmcnt(0)
	v_fmac_f64_e32 v[102:103], v[106:107], v[108:109]
	s_andn2_b64 exec, exec, s[0:1]
	s_cbranch_execnz .LBB48_243
; %bb.244:
	s_or_b64 exec, exec, s[0:1]
.LBB48_245:
	s_or_b64 exec, exec, s[8:9]
	v_mov_b32_e32 v104, 0
	ds_read_b64 v[104:105], v104 offset:184
	s_waitcnt lgkmcnt(0)
	v_mul_f64 v[102:103], v[102:103], v[104:105]
	scratch_store_dwordx2 off, v[102:103], off offset:184
.LBB48_246:
	s_or_b64 exec, exec, s[4:5]
	scratch_load_dwordx2 v[102:103], off, off offset:176
	v_cmp_lt_u32_e64 s[0:1], 22, v0
	s_waitcnt vmcnt(0)
	ds_write_b64 v1, v[102:103]
	s_waitcnt lgkmcnt(0)
	; wave barrier
	s_and_saveexec_b64 s[4:5], s[0:1]
	s_cbranch_execz .LBB48_256
; %bb.247:
	s_andn2_b64 vcc, exec, s[6:7]
	s_cbranch_vccnz .LBB48_249
; %bb.248:
	scratch_load_dwordx2 v[102:103], v11, off
	ds_read_b64 v[104:105], v1
	s_waitcnt vmcnt(0) lgkmcnt(0)
	v_mul_f64 v[102:103], v[102:103], v[104:105]
	s_cbranch_execz .LBB48_250
	s_branch .LBB48_251
.LBB48_249:
                                        ; implicit-def: $vgpr102_vgpr103
.LBB48_250:
	ds_read_b64 v[102:103], v1
.LBB48_251:
	s_and_saveexec_b64 s[8:9], s[2:3]
	s_cbranch_execz .LBB48_255
; %bb.252:
	s_movk_i32 s21, 0xb8
	v_subrev_u32_e32 v104, 23, v0
	s_movk_i32 s22, 0x248
	s_mov_b64 s[2:3], 0
.LBB48_253:                             ; =>This Inner Loop Header: Depth=1
	scratch_load_dwordx2 v[106:107], off, s21
	v_mov_b32_e32 v105, s22
	ds_read_b64 v[108:109], v105
	v_add_u32_e32 v104, -1, v104
	s_add_i32 s22, s22, 8
	s_add_i32 s21, s21, 8
	v_cmp_eq_u32_e32 vcc, 0, v104
	s_or_b64 s[2:3], vcc, s[2:3]
	s_waitcnt vmcnt(0) lgkmcnt(0)
	v_fmac_f64_e32 v[102:103], v[106:107], v[108:109]
	s_andn2_b64 exec, exec, s[2:3]
	s_cbranch_execnz .LBB48_253
; %bb.254:
	s_or_b64 exec, exec, s[2:3]
.LBB48_255:
	s_or_b64 exec, exec, s[8:9]
	v_mov_b32_e32 v104, 0
	ds_read_b64 v[104:105], v104 offset:176
	s_waitcnt lgkmcnt(0)
	v_mul_f64 v[102:103], v[102:103], v[104:105]
	scratch_store_dwordx2 off, v[102:103], off offset:176
.LBB48_256:
	s_or_b64 exec, exec, s[4:5]
	scratch_load_dwordx2 v[102:103], off, off offset:168
	v_cmp_lt_u32_e64 s[2:3], 21, v0
	s_waitcnt vmcnt(0)
	ds_write_b64 v1, v[102:103]
	s_waitcnt lgkmcnt(0)
	; wave barrier
	s_and_saveexec_b64 s[4:5], s[2:3]
	s_cbranch_execz .LBB48_266
; %bb.257:
	s_andn2_b64 vcc, exec, s[6:7]
	s_cbranch_vccnz .LBB48_259
; %bb.258:
	scratch_load_dwordx2 v[102:103], v11, off
	ds_read_b64 v[104:105], v1
	s_waitcnt vmcnt(0) lgkmcnt(0)
	v_mul_f64 v[102:103], v[102:103], v[104:105]
	s_cbranch_execz .LBB48_260
	s_branch .LBB48_261
.LBB48_259:
                                        ; implicit-def: $vgpr102_vgpr103
.LBB48_260:
	ds_read_b64 v[102:103], v1
.LBB48_261:
	s_and_saveexec_b64 s[8:9], s[0:1]
	s_cbranch_execz .LBB48_265
; %bb.262:
	v_subrev_u32_e32 v104, 22, v0
	s_movk_i32 s21, 0x240
	s_mov_b64 s[0:1], 0
.LBB48_263:                             ; =>This Inner Loop Header: Depth=1
	scratch_load_dwordx2 v[106:107], off, s20
	v_mov_b32_e32 v105, s21
	ds_read_b64 v[108:109], v105
	v_add_u32_e32 v104, -1, v104
	s_add_i32 s21, s21, 8
	s_add_i32 s20, s20, 8
	v_cmp_eq_u32_e32 vcc, 0, v104
	s_or_b64 s[0:1], vcc, s[0:1]
	s_waitcnt vmcnt(0) lgkmcnt(0)
	v_fmac_f64_e32 v[102:103], v[106:107], v[108:109]
	s_andn2_b64 exec, exec, s[0:1]
	s_cbranch_execnz .LBB48_263
; %bb.264:
	s_or_b64 exec, exec, s[0:1]
.LBB48_265:
	s_or_b64 exec, exec, s[8:9]
	v_mov_b32_e32 v104, 0
	ds_read_b64 v[104:105], v104 offset:168
	s_waitcnt lgkmcnt(0)
	v_mul_f64 v[102:103], v[102:103], v[104:105]
	scratch_store_dwordx2 off, v[102:103], off offset:168
.LBB48_266:
	s_or_b64 exec, exec, s[4:5]
	scratch_load_dwordx2 v[102:103], off, off offset:160
	v_cmp_lt_u32_e64 s[0:1], 20, v0
	s_waitcnt vmcnt(0)
	ds_write_b64 v1, v[102:103]
	s_waitcnt lgkmcnt(0)
	; wave barrier
	s_and_saveexec_b64 s[4:5], s[0:1]
	s_cbranch_execz .LBB48_276
; %bb.267:
	s_andn2_b64 vcc, exec, s[6:7]
	s_cbranch_vccnz .LBB48_269
; %bb.268:
	scratch_load_dwordx2 v[102:103], v11, off
	ds_read_b64 v[104:105], v1
	s_waitcnt vmcnt(0) lgkmcnt(0)
	v_mul_f64 v[102:103], v[102:103], v[104:105]
	s_cbranch_execz .LBB48_270
	s_branch .LBB48_271
.LBB48_269:
                                        ; implicit-def: $vgpr102_vgpr103
.LBB48_270:
	ds_read_b64 v[102:103], v1
.LBB48_271:
	s_and_saveexec_b64 s[8:9], s[2:3]
	s_cbranch_execz .LBB48_275
; %bb.272:
	s_movk_i32 s20, 0xa8
	v_subrev_u32_e32 v104, 21, v0
	s_movk_i32 s21, 0x238
	s_mov_b64 s[2:3], 0
.LBB48_273:                             ; =>This Inner Loop Header: Depth=1
	scratch_load_dwordx2 v[106:107], off, s20
	v_mov_b32_e32 v105, s21
	ds_read_b64 v[108:109], v105
	v_add_u32_e32 v104, -1, v104
	s_add_i32 s21, s21, 8
	s_add_i32 s20, s20, 8
	v_cmp_eq_u32_e32 vcc, 0, v104
	s_or_b64 s[2:3], vcc, s[2:3]
	s_waitcnt vmcnt(0) lgkmcnt(0)
	v_fmac_f64_e32 v[102:103], v[106:107], v[108:109]
	s_andn2_b64 exec, exec, s[2:3]
	s_cbranch_execnz .LBB48_273
; %bb.274:
	s_or_b64 exec, exec, s[2:3]
.LBB48_275:
	s_or_b64 exec, exec, s[8:9]
	v_mov_b32_e32 v104, 0
	ds_read_b64 v[104:105], v104 offset:160
	s_waitcnt lgkmcnt(0)
	v_mul_f64 v[102:103], v[102:103], v[104:105]
	scratch_store_dwordx2 off, v[102:103], off offset:160
.LBB48_276:
	s_or_b64 exec, exec, s[4:5]
	scratch_load_dwordx2 v[102:103], off, off offset:152
	v_cmp_lt_u32_e64 s[2:3], 19, v0
	s_waitcnt vmcnt(0)
	ds_write_b64 v1, v[102:103]
	s_waitcnt lgkmcnt(0)
	; wave barrier
	s_and_saveexec_b64 s[4:5], s[2:3]
	s_cbranch_execz .LBB48_286
; %bb.277:
	s_andn2_b64 vcc, exec, s[6:7]
	s_cbranch_vccnz .LBB48_279
; %bb.278:
	scratch_load_dwordx2 v[102:103], v11, off
	ds_read_b64 v[104:105], v1
	s_waitcnt vmcnt(0) lgkmcnt(0)
	v_mul_f64 v[102:103], v[102:103], v[104:105]
	s_cbranch_execz .LBB48_280
	s_branch .LBB48_281
.LBB48_279:
                                        ; implicit-def: $vgpr102_vgpr103
.LBB48_280:
	ds_read_b64 v[102:103], v1
.LBB48_281:
	s_and_saveexec_b64 s[8:9], s[0:1]
	s_cbranch_execz .LBB48_285
; %bb.282:
	v_subrev_u32_e32 v104, 20, v0
	s_movk_i32 s20, 0x230
	s_mov_b64 s[0:1], 0
.LBB48_283:                             ; =>This Inner Loop Header: Depth=1
	scratch_load_dwordx2 v[106:107], off, s19
	v_mov_b32_e32 v105, s20
	ds_read_b64 v[108:109], v105
	v_add_u32_e32 v104, -1, v104
	s_add_i32 s20, s20, 8
	s_add_i32 s19, s19, 8
	v_cmp_eq_u32_e32 vcc, 0, v104
	s_or_b64 s[0:1], vcc, s[0:1]
	s_waitcnt vmcnt(0) lgkmcnt(0)
	v_fmac_f64_e32 v[102:103], v[106:107], v[108:109]
	s_andn2_b64 exec, exec, s[0:1]
	s_cbranch_execnz .LBB48_283
; %bb.284:
	s_or_b64 exec, exec, s[0:1]
.LBB48_285:
	s_or_b64 exec, exec, s[8:9]
	v_mov_b32_e32 v104, 0
	ds_read_b64 v[104:105], v104 offset:152
	s_waitcnt lgkmcnt(0)
	v_mul_f64 v[102:103], v[102:103], v[104:105]
	scratch_store_dwordx2 off, v[102:103], off offset:152
.LBB48_286:
	s_or_b64 exec, exec, s[4:5]
	scratch_load_dwordx2 v[102:103], off, off offset:144
	v_cmp_lt_u32_e64 s[0:1], 18, v0
	s_waitcnt vmcnt(0)
	ds_write_b64 v1, v[102:103]
	s_waitcnt lgkmcnt(0)
	; wave barrier
	s_and_saveexec_b64 s[4:5], s[0:1]
	s_cbranch_execz .LBB48_296
; %bb.287:
	s_andn2_b64 vcc, exec, s[6:7]
	s_cbranch_vccnz .LBB48_289
; %bb.288:
	scratch_load_dwordx2 v[102:103], v11, off
	ds_read_b64 v[104:105], v1
	s_waitcnt vmcnt(0) lgkmcnt(0)
	v_mul_f64 v[102:103], v[102:103], v[104:105]
	s_cbranch_execz .LBB48_290
	s_branch .LBB48_291
.LBB48_289:
                                        ; implicit-def: $vgpr102_vgpr103
.LBB48_290:
	ds_read_b64 v[102:103], v1
.LBB48_291:
	s_and_saveexec_b64 s[8:9], s[2:3]
	s_cbranch_execz .LBB48_295
; %bb.292:
	s_movk_i32 s19, 0x98
	v_subrev_u32_e32 v104, 19, v0
	s_movk_i32 s20, 0x228
	s_mov_b64 s[2:3], 0
.LBB48_293:                             ; =>This Inner Loop Header: Depth=1
	scratch_load_dwordx2 v[106:107], off, s19
	v_mov_b32_e32 v105, s20
	ds_read_b64 v[108:109], v105
	v_add_u32_e32 v104, -1, v104
	s_add_i32 s20, s20, 8
	s_add_i32 s19, s19, 8
	v_cmp_eq_u32_e32 vcc, 0, v104
	s_or_b64 s[2:3], vcc, s[2:3]
	s_waitcnt vmcnt(0) lgkmcnt(0)
	v_fmac_f64_e32 v[102:103], v[106:107], v[108:109]
	s_andn2_b64 exec, exec, s[2:3]
	s_cbranch_execnz .LBB48_293
; %bb.294:
	s_or_b64 exec, exec, s[2:3]
.LBB48_295:
	s_or_b64 exec, exec, s[8:9]
	v_mov_b32_e32 v104, 0
	ds_read_b64 v[104:105], v104 offset:144
	s_waitcnt lgkmcnt(0)
	v_mul_f64 v[102:103], v[102:103], v[104:105]
	scratch_store_dwordx2 off, v[102:103], off offset:144
.LBB48_296:
	s_or_b64 exec, exec, s[4:5]
	scratch_load_dwordx2 v[102:103], off, off offset:136
	v_cmp_lt_u32_e64 s[2:3], 17, v0
	s_waitcnt vmcnt(0)
	ds_write_b64 v1, v[102:103]
	s_waitcnt lgkmcnt(0)
	; wave barrier
	s_and_saveexec_b64 s[4:5], s[2:3]
	s_cbranch_execz .LBB48_306
; %bb.297:
	s_andn2_b64 vcc, exec, s[6:7]
	s_cbranch_vccnz .LBB48_299
; %bb.298:
	scratch_load_dwordx2 v[102:103], v11, off
	ds_read_b64 v[104:105], v1
	s_waitcnt vmcnt(0) lgkmcnt(0)
	v_mul_f64 v[102:103], v[102:103], v[104:105]
	s_cbranch_execz .LBB48_300
	s_branch .LBB48_301
.LBB48_299:
                                        ; implicit-def: $vgpr102_vgpr103
.LBB48_300:
	ds_read_b64 v[102:103], v1
.LBB48_301:
	s_and_saveexec_b64 s[8:9], s[0:1]
	s_cbranch_execz .LBB48_305
; %bb.302:
	v_subrev_u32_e32 v104, 18, v0
	s_movk_i32 s19, 0x220
	s_mov_b64 s[0:1], 0
.LBB48_303:                             ; =>This Inner Loop Header: Depth=1
	scratch_load_dwordx2 v[106:107], off, s18
	v_mov_b32_e32 v105, s19
	ds_read_b64 v[108:109], v105
	v_add_u32_e32 v104, -1, v104
	s_add_i32 s19, s19, 8
	s_add_i32 s18, s18, 8
	v_cmp_eq_u32_e32 vcc, 0, v104
	s_or_b64 s[0:1], vcc, s[0:1]
	s_waitcnt vmcnt(0) lgkmcnt(0)
	v_fmac_f64_e32 v[102:103], v[106:107], v[108:109]
	s_andn2_b64 exec, exec, s[0:1]
	s_cbranch_execnz .LBB48_303
; %bb.304:
	s_or_b64 exec, exec, s[0:1]
.LBB48_305:
	s_or_b64 exec, exec, s[8:9]
	v_mov_b32_e32 v104, 0
	ds_read_b64 v[104:105], v104 offset:136
	s_waitcnt lgkmcnt(0)
	v_mul_f64 v[102:103], v[102:103], v[104:105]
	scratch_store_dwordx2 off, v[102:103], off offset:136
.LBB48_306:
	s_or_b64 exec, exec, s[4:5]
	scratch_load_dwordx2 v[102:103], off, off offset:128
	v_cmp_lt_u32_e64 s[0:1], 16, v0
	s_waitcnt vmcnt(0)
	ds_write_b64 v1, v[102:103]
	s_waitcnt lgkmcnt(0)
	; wave barrier
	s_and_saveexec_b64 s[4:5], s[0:1]
	s_cbranch_execz .LBB48_316
; %bb.307:
	s_andn2_b64 vcc, exec, s[6:7]
	s_cbranch_vccnz .LBB48_309
; %bb.308:
	scratch_load_dwordx2 v[102:103], v11, off
	ds_read_b64 v[104:105], v1
	s_waitcnt vmcnt(0) lgkmcnt(0)
	v_mul_f64 v[102:103], v[102:103], v[104:105]
	s_cbranch_execz .LBB48_310
	s_branch .LBB48_311
.LBB48_309:
                                        ; implicit-def: $vgpr102_vgpr103
.LBB48_310:
	ds_read_b64 v[102:103], v1
.LBB48_311:
	s_and_saveexec_b64 s[8:9], s[2:3]
	s_cbranch_execz .LBB48_315
; %bb.312:
	s_movk_i32 s18, 0x88
	v_subrev_u32_e32 v104, 17, v0
	s_movk_i32 s19, 0x218
	s_mov_b64 s[2:3], 0
.LBB48_313:                             ; =>This Inner Loop Header: Depth=1
	scratch_load_dwordx2 v[106:107], off, s18
	v_mov_b32_e32 v105, s19
	ds_read_b64 v[108:109], v105
	v_add_u32_e32 v104, -1, v104
	s_add_i32 s19, s19, 8
	s_add_i32 s18, s18, 8
	v_cmp_eq_u32_e32 vcc, 0, v104
	s_or_b64 s[2:3], vcc, s[2:3]
	s_waitcnt vmcnt(0) lgkmcnt(0)
	v_fmac_f64_e32 v[102:103], v[106:107], v[108:109]
	s_andn2_b64 exec, exec, s[2:3]
	s_cbranch_execnz .LBB48_313
; %bb.314:
	s_or_b64 exec, exec, s[2:3]
.LBB48_315:
	s_or_b64 exec, exec, s[8:9]
	v_mov_b32_e32 v104, 0
	ds_read_b64 v[104:105], v104 offset:128
	s_waitcnt lgkmcnt(0)
	v_mul_f64 v[102:103], v[102:103], v[104:105]
	scratch_store_dwordx2 off, v[102:103], off offset:128
.LBB48_316:
	s_or_b64 exec, exec, s[4:5]
	scratch_load_dwordx2 v[102:103], off, off offset:120
	v_cmp_lt_u32_e64 s[2:3], 15, v0
	s_waitcnt vmcnt(0)
	ds_write_b64 v1, v[102:103]
	s_waitcnt lgkmcnt(0)
	; wave barrier
	s_and_saveexec_b64 s[4:5], s[2:3]
	s_cbranch_execz .LBB48_326
; %bb.317:
	s_andn2_b64 vcc, exec, s[6:7]
	s_cbranch_vccnz .LBB48_319
; %bb.318:
	scratch_load_dwordx2 v[102:103], v11, off
	ds_read_b64 v[104:105], v1
	s_waitcnt vmcnt(0) lgkmcnt(0)
	v_mul_f64 v[102:103], v[102:103], v[104:105]
	s_cbranch_execz .LBB48_320
	s_branch .LBB48_321
.LBB48_319:
                                        ; implicit-def: $vgpr102_vgpr103
.LBB48_320:
	ds_read_b64 v[102:103], v1
.LBB48_321:
	s_and_saveexec_b64 s[8:9], s[0:1]
	s_cbranch_execz .LBB48_325
; %bb.322:
	v_add_u32_e32 v104, -16, v0
	s_movk_i32 s18, 0x210
	s_mov_b64 s[0:1], 0
.LBB48_323:                             ; =>This Inner Loop Header: Depth=1
	scratch_load_dwordx2 v[106:107], off, s17
	v_mov_b32_e32 v105, s18
	ds_read_b64 v[108:109], v105
	v_add_u32_e32 v104, -1, v104
	s_add_i32 s18, s18, 8
	s_add_i32 s17, s17, 8
	v_cmp_eq_u32_e32 vcc, 0, v104
	s_or_b64 s[0:1], vcc, s[0:1]
	s_waitcnt vmcnt(0) lgkmcnt(0)
	v_fmac_f64_e32 v[102:103], v[106:107], v[108:109]
	s_andn2_b64 exec, exec, s[0:1]
	s_cbranch_execnz .LBB48_323
; %bb.324:
	s_or_b64 exec, exec, s[0:1]
.LBB48_325:
	s_or_b64 exec, exec, s[8:9]
	v_mov_b32_e32 v104, 0
	ds_read_b64 v[104:105], v104 offset:120
	s_waitcnt lgkmcnt(0)
	v_mul_f64 v[102:103], v[102:103], v[104:105]
	scratch_store_dwordx2 off, v[102:103], off offset:120
.LBB48_326:
	s_or_b64 exec, exec, s[4:5]
	scratch_load_dwordx2 v[102:103], off, off offset:112
	v_cmp_lt_u32_e64 s[0:1], 14, v0
	s_waitcnt vmcnt(0)
	ds_write_b64 v1, v[102:103]
	s_waitcnt lgkmcnt(0)
	; wave barrier
	s_and_saveexec_b64 s[4:5], s[0:1]
	s_cbranch_execz .LBB48_336
; %bb.327:
	s_andn2_b64 vcc, exec, s[6:7]
	s_cbranch_vccnz .LBB48_329
; %bb.328:
	scratch_load_dwordx2 v[102:103], v11, off
	ds_read_b64 v[104:105], v1
	s_waitcnt vmcnt(0) lgkmcnt(0)
	v_mul_f64 v[102:103], v[102:103], v[104:105]
	s_cbranch_execz .LBB48_330
	s_branch .LBB48_331
.LBB48_329:
                                        ; implicit-def: $vgpr102_vgpr103
.LBB48_330:
	ds_read_b64 v[102:103], v1
.LBB48_331:
	s_and_saveexec_b64 s[8:9], s[2:3]
	s_cbranch_execz .LBB48_335
; %bb.332:
	s_movk_i32 s17, 0x78
	v_add_u32_e32 v104, -15, v0
	s_movk_i32 s18, 0x208
	s_mov_b64 s[2:3], 0
.LBB48_333:                             ; =>This Inner Loop Header: Depth=1
	scratch_load_dwordx2 v[106:107], off, s17
	v_mov_b32_e32 v105, s18
	ds_read_b64 v[108:109], v105
	v_add_u32_e32 v104, -1, v104
	s_add_i32 s18, s18, 8
	s_add_i32 s17, s17, 8
	v_cmp_eq_u32_e32 vcc, 0, v104
	s_or_b64 s[2:3], vcc, s[2:3]
	s_waitcnt vmcnt(0) lgkmcnt(0)
	v_fmac_f64_e32 v[102:103], v[106:107], v[108:109]
	s_andn2_b64 exec, exec, s[2:3]
	s_cbranch_execnz .LBB48_333
; %bb.334:
	s_or_b64 exec, exec, s[2:3]
.LBB48_335:
	s_or_b64 exec, exec, s[8:9]
	v_mov_b32_e32 v104, 0
	ds_read_b64 v[104:105], v104 offset:112
	s_waitcnt lgkmcnt(0)
	v_mul_f64 v[102:103], v[102:103], v[104:105]
	scratch_store_dwordx2 off, v[102:103], off offset:112
.LBB48_336:
	s_or_b64 exec, exec, s[4:5]
	scratch_load_dwordx2 v[102:103], off, off offset:104
	v_cmp_lt_u32_e64 s[2:3], 13, v0
	s_waitcnt vmcnt(0)
	ds_write_b64 v1, v[102:103]
	s_waitcnt lgkmcnt(0)
	; wave barrier
	s_and_saveexec_b64 s[4:5], s[2:3]
	s_cbranch_execz .LBB48_346
; %bb.337:
	s_andn2_b64 vcc, exec, s[6:7]
	s_cbranch_vccnz .LBB48_339
; %bb.338:
	scratch_load_dwordx2 v[102:103], v11, off
	ds_read_b64 v[104:105], v1
	s_waitcnt vmcnt(0) lgkmcnt(0)
	v_mul_f64 v[102:103], v[102:103], v[104:105]
	s_cbranch_execz .LBB48_340
	s_branch .LBB48_341
.LBB48_339:
                                        ; implicit-def: $vgpr102_vgpr103
.LBB48_340:
	ds_read_b64 v[102:103], v1
.LBB48_341:
	s_and_saveexec_b64 s[8:9], s[0:1]
	s_cbranch_execz .LBB48_345
; %bb.342:
	v_add_u32_e32 v104, -14, v0
	s_movk_i32 s17, 0x200
	s_mov_b64 s[0:1], 0
.LBB48_343:                             ; =>This Inner Loop Header: Depth=1
	scratch_load_dwordx2 v[106:107], off, s16
	v_mov_b32_e32 v105, s17
	ds_read_b64 v[108:109], v105
	v_add_u32_e32 v104, -1, v104
	s_add_i32 s17, s17, 8
	s_add_i32 s16, s16, 8
	v_cmp_eq_u32_e32 vcc, 0, v104
	s_or_b64 s[0:1], vcc, s[0:1]
	s_waitcnt vmcnt(0) lgkmcnt(0)
	v_fmac_f64_e32 v[102:103], v[106:107], v[108:109]
	s_andn2_b64 exec, exec, s[0:1]
	s_cbranch_execnz .LBB48_343
; %bb.344:
	s_or_b64 exec, exec, s[0:1]
.LBB48_345:
	s_or_b64 exec, exec, s[8:9]
	v_mov_b32_e32 v104, 0
	ds_read_b64 v[104:105], v104 offset:104
	s_waitcnt lgkmcnt(0)
	v_mul_f64 v[102:103], v[102:103], v[104:105]
	scratch_store_dwordx2 off, v[102:103], off offset:104
.LBB48_346:
	s_or_b64 exec, exec, s[4:5]
	scratch_load_dwordx2 v[102:103], off, off offset:96
	v_cmp_lt_u32_e64 s[0:1], 12, v0
	s_waitcnt vmcnt(0)
	ds_write_b64 v1, v[102:103]
	s_waitcnt lgkmcnt(0)
	; wave barrier
	s_and_saveexec_b64 s[4:5], s[0:1]
	s_cbranch_execz .LBB48_356
; %bb.347:
	s_andn2_b64 vcc, exec, s[6:7]
	s_cbranch_vccnz .LBB48_349
; %bb.348:
	scratch_load_dwordx2 v[102:103], v11, off
	ds_read_b64 v[104:105], v1
	s_waitcnt vmcnt(0) lgkmcnt(0)
	v_mul_f64 v[102:103], v[102:103], v[104:105]
	s_cbranch_execz .LBB48_350
	s_branch .LBB48_351
.LBB48_349:
                                        ; implicit-def: $vgpr102_vgpr103
.LBB48_350:
	ds_read_b64 v[102:103], v1
.LBB48_351:
	s_and_saveexec_b64 s[8:9], s[2:3]
	s_cbranch_execz .LBB48_355
; %bb.352:
	s_movk_i32 s16, 0x68
	v_add_u32_e32 v104, -13, v0
	s_movk_i32 s17, 0x1f8
	s_mov_b64 s[2:3], 0
.LBB48_353:                             ; =>This Inner Loop Header: Depth=1
	scratch_load_dwordx2 v[106:107], off, s16
	v_mov_b32_e32 v105, s17
	ds_read_b64 v[108:109], v105
	v_add_u32_e32 v104, -1, v104
	s_add_i32 s17, s17, 8
	s_add_i32 s16, s16, 8
	v_cmp_eq_u32_e32 vcc, 0, v104
	s_or_b64 s[2:3], vcc, s[2:3]
	s_waitcnt vmcnt(0) lgkmcnt(0)
	v_fmac_f64_e32 v[102:103], v[106:107], v[108:109]
	s_andn2_b64 exec, exec, s[2:3]
	s_cbranch_execnz .LBB48_353
; %bb.354:
	s_or_b64 exec, exec, s[2:3]
.LBB48_355:
	s_or_b64 exec, exec, s[8:9]
	v_mov_b32_e32 v104, 0
	ds_read_b64 v[104:105], v104 offset:96
	s_waitcnt lgkmcnt(0)
	v_mul_f64 v[102:103], v[102:103], v[104:105]
	scratch_store_dwordx2 off, v[102:103], off offset:96
.LBB48_356:
	s_or_b64 exec, exec, s[4:5]
	scratch_load_dwordx2 v[102:103], off, off offset:88
	v_cmp_lt_u32_e64 s[2:3], 11, v0
	s_waitcnt vmcnt(0)
	ds_write_b64 v1, v[102:103]
	s_waitcnt lgkmcnt(0)
	; wave barrier
	s_and_saveexec_b64 s[4:5], s[2:3]
	s_cbranch_execz .LBB48_366
; %bb.357:
	s_andn2_b64 vcc, exec, s[6:7]
	s_cbranch_vccnz .LBB48_359
; %bb.358:
	scratch_load_dwordx2 v[102:103], v11, off
	ds_read_b64 v[104:105], v1
	s_waitcnt vmcnt(0) lgkmcnt(0)
	v_mul_f64 v[102:103], v[102:103], v[104:105]
	s_cbranch_execz .LBB48_360
	s_branch .LBB48_361
.LBB48_359:
                                        ; implicit-def: $vgpr102_vgpr103
.LBB48_360:
	ds_read_b64 v[102:103], v1
.LBB48_361:
	s_and_saveexec_b64 s[8:9], s[0:1]
	s_cbranch_execz .LBB48_365
; %bb.362:
	v_add_u32_e32 v104, -12, v0
	s_movk_i32 s16, 0x1f0
	s_mov_b64 s[0:1], 0
.LBB48_363:                             ; =>This Inner Loop Header: Depth=1
	scratch_load_dwordx2 v[106:107], off, s15
	v_mov_b32_e32 v105, s16
	ds_read_b64 v[108:109], v105
	v_add_u32_e32 v104, -1, v104
	s_add_i32 s16, s16, 8
	s_add_i32 s15, s15, 8
	v_cmp_eq_u32_e32 vcc, 0, v104
	s_or_b64 s[0:1], vcc, s[0:1]
	s_waitcnt vmcnt(0) lgkmcnt(0)
	v_fmac_f64_e32 v[102:103], v[106:107], v[108:109]
	s_andn2_b64 exec, exec, s[0:1]
	s_cbranch_execnz .LBB48_363
; %bb.364:
	s_or_b64 exec, exec, s[0:1]
.LBB48_365:
	s_or_b64 exec, exec, s[8:9]
	v_mov_b32_e32 v104, 0
	ds_read_b64 v[104:105], v104 offset:88
	s_waitcnt lgkmcnt(0)
	v_mul_f64 v[102:103], v[102:103], v[104:105]
	scratch_store_dwordx2 off, v[102:103], off offset:88
.LBB48_366:
	s_or_b64 exec, exec, s[4:5]
	scratch_load_dwordx2 v[102:103], off, off offset:80
	v_cmp_lt_u32_e64 s[0:1], 10, v0
	s_waitcnt vmcnt(0)
	ds_write_b64 v1, v[102:103]
	s_waitcnt lgkmcnt(0)
	; wave barrier
	s_and_saveexec_b64 s[4:5], s[0:1]
	s_cbranch_execz .LBB48_376
; %bb.367:
	s_andn2_b64 vcc, exec, s[6:7]
	s_cbranch_vccnz .LBB48_369
; %bb.368:
	scratch_load_dwordx2 v[102:103], v11, off
	ds_read_b64 v[104:105], v1
	s_waitcnt vmcnt(0) lgkmcnt(0)
	v_mul_f64 v[102:103], v[102:103], v[104:105]
	s_cbranch_execz .LBB48_370
	s_branch .LBB48_371
.LBB48_369:
                                        ; implicit-def: $vgpr102_vgpr103
.LBB48_370:
	ds_read_b64 v[102:103], v1
.LBB48_371:
	s_and_saveexec_b64 s[8:9], s[2:3]
	s_cbranch_execz .LBB48_375
; %bb.372:
	s_movk_i32 s15, 0x58
	v_add_u32_e32 v104, -11, v0
	s_movk_i32 s16, 0x1e8
	s_mov_b64 s[2:3], 0
.LBB48_373:                             ; =>This Inner Loop Header: Depth=1
	scratch_load_dwordx2 v[106:107], off, s15
	v_mov_b32_e32 v105, s16
	ds_read_b64 v[108:109], v105
	v_add_u32_e32 v104, -1, v104
	s_add_i32 s16, s16, 8
	s_add_i32 s15, s15, 8
	v_cmp_eq_u32_e32 vcc, 0, v104
	s_or_b64 s[2:3], vcc, s[2:3]
	s_waitcnt vmcnt(0) lgkmcnt(0)
	v_fmac_f64_e32 v[102:103], v[106:107], v[108:109]
	s_andn2_b64 exec, exec, s[2:3]
	s_cbranch_execnz .LBB48_373
; %bb.374:
	s_or_b64 exec, exec, s[2:3]
.LBB48_375:
	s_or_b64 exec, exec, s[8:9]
	v_mov_b32_e32 v104, 0
	ds_read_b64 v[104:105], v104 offset:80
	s_waitcnt lgkmcnt(0)
	v_mul_f64 v[102:103], v[102:103], v[104:105]
	scratch_store_dwordx2 off, v[102:103], off offset:80
.LBB48_376:
	s_or_b64 exec, exec, s[4:5]
	scratch_load_dwordx2 v[102:103], off, off offset:72
	v_cmp_lt_u32_e64 s[2:3], 9, v0
	s_waitcnt vmcnt(0)
	ds_write_b64 v1, v[102:103]
	s_waitcnt lgkmcnt(0)
	; wave barrier
	s_and_saveexec_b64 s[4:5], s[2:3]
	s_cbranch_execz .LBB48_386
; %bb.377:
	s_andn2_b64 vcc, exec, s[6:7]
	s_cbranch_vccnz .LBB48_379
; %bb.378:
	scratch_load_dwordx2 v[102:103], v11, off
	ds_read_b64 v[104:105], v1
	s_waitcnt vmcnt(0) lgkmcnt(0)
	v_mul_f64 v[102:103], v[102:103], v[104:105]
	s_cbranch_execz .LBB48_380
	s_branch .LBB48_381
.LBB48_379:
                                        ; implicit-def: $vgpr102_vgpr103
.LBB48_380:
	ds_read_b64 v[102:103], v1
.LBB48_381:
	s_and_saveexec_b64 s[8:9], s[0:1]
	s_cbranch_execz .LBB48_385
; %bb.382:
	v_add_u32_e32 v104, -10, v0
	s_movk_i32 s15, 0x1e0
	s_mov_b64 s[0:1], 0
.LBB48_383:                             ; =>This Inner Loop Header: Depth=1
	scratch_load_dwordx2 v[106:107], off, s14
	v_mov_b32_e32 v105, s15
	ds_read_b64 v[108:109], v105
	v_add_u32_e32 v104, -1, v104
	s_add_i32 s15, s15, 8
	s_add_i32 s14, s14, 8
	v_cmp_eq_u32_e32 vcc, 0, v104
	s_or_b64 s[0:1], vcc, s[0:1]
	s_waitcnt vmcnt(0) lgkmcnt(0)
	v_fmac_f64_e32 v[102:103], v[106:107], v[108:109]
	s_andn2_b64 exec, exec, s[0:1]
	s_cbranch_execnz .LBB48_383
; %bb.384:
	s_or_b64 exec, exec, s[0:1]
.LBB48_385:
	s_or_b64 exec, exec, s[8:9]
	v_mov_b32_e32 v104, 0
	ds_read_b64 v[104:105], v104 offset:72
	s_waitcnt lgkmcnt(0)
	v_mul_f64 v[102:103], v[102:103], v[104:105]
	scratch_store_dwordx2 off, v[102:103], off offset:72
.LBB48_386:
	s_or_b64 exec, exec, s[4:5]
	scratch_load_dwordx2 v[102:103], off, off offset:64
	v_cmp_lt_u32_e64 s[0:1], 8, v0
	s_waitcnt vmcnt(0)
	ds_write_b64 v1, v[102:103]
	s_waitcnt lgkmcnt(0)
	; wave barrier
	s_and_saveexec_b64 s[4:5], s[0:1]
	s_cbranch_execz .LBB48_396
; %bb.387:
	s_andn2_b64 vcc, exec, s[6:7]
	s_cbranch_vccnz .LBB48_389
; %bb.388:
	scratch_load_dwordx2 v[102:103], v11, off
	ds_read_b64 v[104:105], v1
	s_waitcnt vmcnt(0) lgkmcnt(0)
	v_mul_f64 v[102:103], v[102:103], v[104:105]
	s_cbranch_execz .LBB48_390
	s_branch .LBB48_391
.LBB48_389:
                                        ; implicit-def: $vgpr102_vgpr103
.LBB48_390:
	ds_read_b64 v[102:103], v1
.LBB48_391:
	s_and_saveexec_b64 s[8:9], s[2:3]
	s_cbranch_execz .LBB48_395
; %bb.392:
	s_movk_i32 s14, 0x48
	v_add_u32_e32 v104, -9, v0
	s_movk_i32 s15, 0x1d8
	s_mov_b64 s[2:3], 0
.LBB48_393:                             ; =>This Inner Loop Header: Depth=1
	scratch_load_dwordx2 v[106:107], off, s14
	v_mov_b32_e32 v105, s15
	ds_read_b64 v[108:109], v105
	v_add_u32_e32 v104, -1, v104
	s_add_i32 s15, s15, 8
	s_add_i32 s14, s14, 8
	v_cmp_eq_u32_e32 vcc, 0, v104
	s_or_b64 s[2:3], vcc, s[2:3]
	s_waitcnt vmcnt(0) lgkmcnt(0)
	v_fmac_f64_e32 v[102:103], v[106:107], v[108:109]
	s_andn2_b64 exec, exec, s[2:3]
	s_cbranch_execnz .LBB48_393
; %bb.394:
	s_or_b64 exec, exec, s[2:3]
.LBB48_395:
	s_or_b64 exec, exec, s[8:9]
	v_mov_b32_e32 v104, 0
	ds_read_b64 v[104:105], v104 offset:64
	s_waitcnt lgkmcnt(0)
	v_mul_f64 v[102:103], v[102:103], v[104:105]
	scratch_store_dwordx2 off, v[102:103], off offset:64
.LBB48_396:
	s_or_b64 exec, exec, s[4:5]
	scratch_load_dwordx2 v[102:103], off, off offset:56
	v_cmp_lt_u32_e64 s[2:3], 7, v0
	s_waitcnt vmcnt(0)
	ds_write_b64 v1, v[102:103]
	s_waitcnt lgkmcnt(0)
	; wave barrier
	s_and_saveexec_b64 s[4:5], s[2:3]
	s_cbranch_execz .LBB48_406
; %bb.397:
	s_andn2_b64 vcc, exec, s[6:7]
	s_cbranch_vccnz .LBB48_399
; %bb.398:
	scratch_load_dwordx2 v[102:103], v11, off
	ds_read_b64 v[104:105], v1
	s_waitcnt vmcnt(0) lgkmcnt(0)
	v_mul_f64 v[102:103], v[102:103], v[104:105]
	s_cbranch_execz .LBB48_400
	s_branch .LBB48_401
.LBB48_399:
                                        ; implicit-def: $vgpr102_vgpr103
.LBB48_400:
	ds_read_b64 v[102:103], v1
.LBB48_401:
	s_and_saveexec_b64 s[8:9], s[0:1]
	s_cbranch_execz .LBB48_405
; %bb.402:
	v_add_u32_e32 v104, -8, v0
	s_movk_i32 s14, 0x1d0
	s_mov_b64 s[0:1], 0
.LBB48_403:                             ; =>This Inner Loop Header: Depth=1
	scratch_load_dwordx2 v[106:107], off, s13
	v_mov_b32_e32 v105, s14
	ds_read_b64 v[108:109], v105
	v_add_u32_e32 v104, -1, v104
	s_add_i32 s14, s14, 8
	s_add_i32 s13, s13, 8
	v_cmp_eq_u32_e32 vcc, 0, v104
	s_or_b64 s[0:1], vcc, s[0:1]
	s_waitcnt vmcnt(0) lgkmcnt(0)
	v_fmac_f64_e32 v[102:103], v[106:107], v[108:109]
	s_andn2_b64 exec, exec, s[0:1]
	s_cbranch_execnz .LBB48_403
; %bb.404:
	s_or_b64 exec, exec, s[0:1]
.LBB48_405:
	s_or_b64 exec, exec, s[8:9]
	v_mov_b32_e32 v104, 0
	ds_read_b64 v[104:105], v104 offset:56
	s_waitcnt lgkmcnt(0)
	v_mul_f64 v[102:103], v[102:103], v[104:105]
	scratch_store_dwordx2 off, v[102:103], off offset:56
.LBB48_406:
	s_or_b64 exec, exec, s[4:5]
	scratch_load_dwordx2 v[102:103], off, off offset:48
	v_cmp_lt_u32_e64 s[0:1], 6, v0
	s_waitcnt vmcnt(0)
	ds_write_b64 v1, v[102:103]
	s_waitcnt lgkmcnt(0)
	; wave barrier
	s_and_saveexec_b64 s[4:5], s[0:1]
	s_cbranch_execz .LBB48_416
; %bb.407:
	s_andn2_b64 vcc, exec, s[6:7]
	s_cbranch_vccnz .LBB48_409
; %bb.408:
	scratch_load_dwordx2 v[102:103], v11, off
	ds_read_b64 v[104:105], v1
	s_waitcnt vmcnt(0) lgkmcnt(0)
	v_mul_f64 v[102:103], v[102:103], v[104:105]
	s_cbranch_execz .LBB48_410
	s_branch .LBB48_411
.LBB48_409:
                                        ; implicit-def: $vgpr102_vgpr103
.LBB48_410:
	ds_read_b64 v[102:103], v1
.LBB48_411:
	s_and_saveexec_b64 s[8:9], s[2:3]
	s_cbranch_execz .LBB48_415
; %bb.412:
	s_mov_b32 s13, 56
	v_add_u32_e32 v104, -7, v0
	s_movk_i32 s14, 0x1c8
	s_mov_b64 s[2:3], 0
.LBB48_413:                             ; =>This Inner Loop Header: Depth=1
	scratch_load_dwordx2 v[106:107], off, s13
	v_mov_b32_e32 v105, s14
	ds_read_b64 v[108:109], v105
	v_add_u32_e32 v104, -1, v104
	s_add_i32 s14, s14, 8
	s_add_i32 s13, s13, 8
	v_cmp_eq_u32_e32 vcc, 0, v104
	s_or_b64 s[2:3], vcc, s[2:3]
	s_waitcnt vmcnt(0) lgkmcnt(0)
	v_fmac_f64_e32 v[102:103], v[106:107], v[108:109]
	s_andn2_b64 exec, exec, s[2:3]
	s_cbranch_execnz .LBB48_413
; %bb.414:
	s_or_b64 exec, exec, s[2:3]
.LBB48_415:
	s_or_b64 exec, exec, s[8:9]
	v_mov_b32_e32 v104, 0
	ds_read_b64 v[104:105], v104 offset:48
	s_waitcnt lgkmcnt(0)
	v_mul_f64 v[102:103], v[102:103], v[104:105]
	scratch_store_dwordx2 off, v[102:103], off offset:48
.LBB48_416:
	s_or_b64 exec, exec, s[4:5]
	scratch_load_dwordx2 v[102:103], off, off offset:40
	v_cmp_lt_u32_e64 s[2:3], 5, v0
	s_waitcnt vmcnt(0)
	ds_write_b64 v1, v[102:103]
	s_waitcnt lgkmcnt(0)
	; wave barrier
	s_and_saveexec_b64 s[4:5], s[2:3]
	s_cbranch_execz .LBB48_426
; %bb.417:
	s_andn2_b64 vcc, exec, s[6:7]
	s_cbranch_vccnz .LBB48_419
; %bb.418:
	scratch_load_dwordx2 v[102:103], v11, off
	ds_read_b64 v[104:105], v1
	s_waitcnt vmcnt(0) lgkmcnt(0)
	v_mul_f64 v[102:103], v[102:103], v[104:105]
	s_cbranch_execz .LBB48_420
	s_branch .LBB48_421
.LBB48_419:
                                        ; implicit-def: $vgpr102_vgpr103
.LBB48_420:
	ds_read_b64 v[102:103], v1
.LBB48_421:
	s_and_saveexec_b64 s[8:9], s[0:1]
	s_cbranch_execz .LBB48_425
; %bb.422:
	v_add_u32_e32 v104, -6, v0
	s_movk_i32 s13, 0x1c0
	s_mov_b64 s[0:1], 0
.LBB48_423:                             ; =>This Inner Loop Header: Depth=1
	scratch_load_dwordx2 v[106:107], off, s12
	v_mov_b32_e32 v105, s13
	ds_read_b64 v[108:109], v105
	v_add_u32_e32 v104, -1, v104
	s_add_i32 s13, s13, 8
	s_add_i32 s12, s12, 8
	v_cmp_eq_u32_e32 vcc, 0, v104
	s_or_b64 s[0:1], vcc, s[0:1]
	s_waitcnt vmcnt(0) lgkmcnt(0)
	v_fmac_f64_e32 v[102:103], v[106:107], v[108:109]
	s_andn2_b64 exec, exec, s[0:1]
	s_cbranch_execnz .LBB48_423
; %bb.424:
	s_or_b64 exec, exec, s[0:1]
.LBB48_425:
	s_or_b64 exec, exec, s[8:9]
	v_mov_b32_e32 v104, 0
	ds_read_b64 v[104:105], v104 offset:40
	s_waitcnt lgkmcnt(0)
	v_mul_f64 v[102:103], v[102:103], v[104:105]
	scratch_store_dwordx2 off, v[102:103], off offset:40
.LBB48_426:
	s_or_b64 exec, exec, s[4:5]
	scratch_load_dwordx2 v[102:103], off, off offset:32
	v_cmp_lt_u32_e64 s[0:1], 4, v0
	s_waitcnt vmcnt(0)
	ds_write_b64 v1, v[102:103]
	s_waitcnt lgkmcnt(0)
	; wave barrier
	s_and_saveexec_b64 s[4:5], s[0:1]
	s_cbranch_execz .LBB48_436
; %bb.427:
	s_andn2_b64 vcc, exec, s[6:7]
	s_cbranch_vccnz .LBB48_429
; %bb.428:
	scratch_load_dwordx2 v[102:103], v11, off
	ds_read_b64 v[104:105], v1
	s_waitcnt vmcnt(0) lgkmcnt(0)
	v_mul_f64 v[102:103], v[102:103], v[104:105]
	s_cbranch_execz .LBB48_430
	s_branch .LBB48_431
.LBB48_429:
                                        ; implicit-def: $vgpr102_vgpr103
.LBB48_430:
	ds_read_b64 v[102:103], v1
.LBB48_431:
	s_and_saveexec_b64 s[8:9], s[2:3]
	s_cbranch_execz .LBB48_435
; %bb.432:
	s_mov_b32 s12, 40
	v_add_u32_e32 v104, -5, v0
	s_movk_i32 s13, 0x1b8
	s_mov_b64 s[2:3], 0
.LBB48_433:                             ; =>This Inner Loop Header: Depth=1
	scratch_load_dwordx2 v[106:107], off, s12
	v_mov_b32_e32 v105, s13
	ds_read_b64 v[108:109], v105
	v_add_u32_e32 v104, -1, v104
	s_add_i32 s13, s13, 8
	s_add_i32 s12, s12, 8
	v_cmp_eq_u32_e32 vcc, 0, v104
	s_or_b64 s[2:3], vcc, s[2:3]
	s_waitcnt vmcnt(0) lgkmcnt(0)
	v_fmac_f64_e32 v[102:103], v[106:107], v[108:109]
	s_andn2_b64 exec, exec, s[2:3]
	s_cbranch_execnz .LBB48_433
; %bb.434:
	s_or_b64 exec, exec, s[2:3]
.LBB48_435:
	s_or_b64 exec, exec, s[8:9]
	v_mov_b32_e32 v104, 0
	ds_read_b64 v[104:105], v104 offset:32
	s_waitcnt lgkmcnt(0)
	v_mul_f64 v[102:103], v[102:103], v[104:105]
	scratch_store_dwordx2 off, v[102:103], off offset:32
.LBB48_436:
	s_or_b64 exec, exec, s[4:5]
	scratch_load_dwordx2 v[102:103], off, off offset:24
	v_cmp_lt_u32_e64 s[2:3], 3, v0
	s_waitcnt vmcnt(0)
	ds_write_b64 v1, v[102:103]
	s_waitcnt lgkmcnt(0)
	; wave barrier
	s_and_saveexec_b64 s[4:5], s[2:3]
	s_cbranch_execz .LBB48_446
; %bb.437:
	s_andn2_b64 vcc, exec, s[6:7]
	s_cbranch_vccnz .LBB48_439
; %bb.438:
	scratch_load_dwordx2 v[102:103], v11, off
	ds_read_b64 v[104:105], v1
	s_waitcnt vmcnt(0) lgkmcnt(0)
	v_mul_f64 v[102:103], v[102:103], v[104:105]
	s_cbranch_execz .LBB48_440
	s_branch .LBB48_441
.LBB48_439:
                                        ; implicit-def: $vgpr102_vgpr103
.LBB48_440:
	ds_read_b64 v[102:103], v1
.LBB48_441:
	s_and_saveexec_b64 s[8:9], s[0:1]
	s_cbranch_execz .LBB48_445
; %bb.442:
	v_add_u32_e32 v104, -4, v0
	s_movk_i32 s12, 0x1b0
	s_mov_b64 s[0:1], 0
.LBB48_443:                             ; =>This Inner Loop Header: Depth=1
	scratch_load_dwordx2 v[106:107], off, s11
	v_mov_b32_e32 v105, s12
	ds_read_b64 v[108:109], v105
	v_add_u32_e32 v104, -1, v104
	s_add_i32 s12, s12, 8
	s_add_i32 s11, s11, 8
	v_cmp_eq_u32_e32 vcc, 0, v104
	s_or_b64 s[0:1], vcc, s[0:1]
	s_waitcnt vmcnt(0) lgkmcnt(0)
	v_fmac_f64_e32 v[102:103], v[106:107], v[108:109]
	s_andn2_b64 exec, exec, s[0:1]
	s_cbranch_execnz .LBB48_443
; %bb.444:
	s_or_b64 exec, exec, s[0:1]
.LBB48_445:
	s_or_b64 exec, exec, s[8:9]
	v_mov_b32_e32 v104, 0
	ds_read_b64 v[104:105], v104 offset:24
	s_waitcnt lgkmcnt(0)
	v_mul_f64 v[102:103], v[102:103], v[104:105]
	scratch_store_dwordx2 off, v[102:103], off offset:24
.LBB48_446:
	s_or_b64 exec, exec, s[4:5]
	scratch_load_dwordx2 v[102:103], off, off offset:16
	v_cmp_lt_u32_e64 s[0:1], 2, v0
	s_waitcnt vmcnt(0)
	ds_write_b64 v1, v[102:103]
	s_waitcnt lgkmcnt(0)
	; wave barrier
	s_and_saveexec_b64 s[4:5], s[0:1]
	s_cbranch_execz .LBB48_456
; %bb.447:
	s_andn2_b64 vcc, exec, s[6:7]
	s_cbranch_vccnz .LBB48_449
; %bb.448:
	scratch_load_dwordx2 v[102:103], v11, off
	ds_read_b64 v[104:105], v1
	s_waitcnt vmcnt(0) lgkmcnt(0)
	v_mul_f64 v[102:103], v[102:103], v[104:105]
	s_cbranch_execz .LBB48_450
	s_branch .LBB48_451
.LBB48_449:
                                        ; implicit-def: $vgpr102_vgpr103
.LBB48_450:
	ds_read_b64 v[102:103], v1
.LBB48_451:
	s_and_saveexec_b64 s[8:9], s[2:3]
	s_cbranch_execz .LBB48_455
; %bb.452:
	s_mov_b32 s11, 24
	v_add_u32_e32 v104, -3, v0
	s_movk_i32 s12, 0x1a8
	s_mov_b64 s[2:3], 0
.LBB48_453:                             ; =>This Inner Loop Header: Depth=1
	scratch_load_dwordx2 v[106:107], off, s11
	v_mov_b32_e32 v105, s12
	ds_read_b64 v[108:109], v105
	v_add_u32_e32 v104, -1, v104
	s_add_i32 s12, s12, 8
	s_add_i32 s11, s11, 8
	v_cmp_eq_u32_e32 vcc, 0, v104
	s_or_b64 s[2:3], vcc, s[2:3]
	s_waitcnt vmcnt(0) lgkmcnt(0)
	v_fmac_f64_e32 v[102:103], v[106:107], v[108:109]
	s_andn2_b64 exec, exec, s[2:3]
	s_cbranch_execnz .LBB48_453
; %bb.454:
	s_or_b64 exec, exec, s[2:3]
.LBB48_455:
	s_or_b64 exec, exec, s[8:9]
	v_mov_b32_e32 v104, 0
	ds_read_b64 v[104:105], v104 offset:16
	s_waitcnt lgkmcnt(0)
	v_mul_f64 v[102:103], v[102:103], v[104:105]
	scratch_store_dwordx2 off, v[102:103], off offset:16
.LBB48_456:
	s_or_b64 exec, exec, s[4:5]
	scratch_load_dwordx2 v[102:103], off, off offset:8
	v_cmp_lt_u32_e64 s[2:3], 1, v0
	s_waitcnt vmcnt(0)
	ds_write_b64 v1, v[102:103]
	s_waitcnt lgkmcnt(0)
	; wave barrier
	s_and_saveexec_b64 s[4:5], s[2:3]
	s_cbranch_execz .LBB48_466
; %bb.457:
	s_andn2_b64 vcc, exec, s[6:7]
	s_cbranch_vccnz .LBB48_459
; %bb.458:
	scratch_load_dwordx2 v[102:103], v11, off
	ds_read_b64 v[104:105], v1
	s_waitcnt vmcnt(0) lgkmcnt(0)
	v_mul_f64 v[102:103], v[102:103], v[104:105]
	s_cbranch_execz .LBB48_460
	s_branch .LBB48_461
.LBB48_459:
                                        ; implicit-def: $vgpr102_vgpr103
.LBB48_460:
	ds_read_b64 v[102:103], v1
.LBB48_461:
	s_and_saveexec_b64 s[8:9], s[0:1]
	s_cbranch_execz .LBB48_465
; %bb.462:
	v_add_u32_e32 v104, -2, v0
	s_movk_i32 s11, 0x1a0
	s_mov_b64 s[0:1], 0
.LBB48_463:                             ; =>This Inner Loop Header: Depth=1
	scratch_load_dwordx2 v[106:107], off, s10
	v_mov_b32_e32 v105, s11
	ds_read_b64 v[108:109], v105
	v_add_u32_e32 v104, -1, v104
	s_add_i32 s11, s11, 8
	s_add_i32 s10, s10, 8
	v_cmp_eq_u32_e32 vcc, 0, v104
	s_or_b64 s[0:1], vcc, s[0:1]
	s_waitcnt vmcnt(0) lgkmcnt(0)
	v_fmac_f64_e32 v[102:103], v[106:107], v[108:109]
	s_andn2_b64 exec, exec, s[0:1]
	s_cbranch_execnz .LBB48_463
; %bb.464:
	s_or_b64 exec, exec, s[0:1]
.LBB48_465:
	s_or_b64 exec, exec, s[8:9]
	v_mov_b32_e32 v104, 0
	ds_read_b64 v[104:105], v104 offset:8
	s_waitcnt lgkmcnt(0)
	v_mul_f64 v[102:103], v[102:103], v[104:105]
	scratch_store_dwordx2 off, v[102:103], off offset:8
.LBB48_466:
	s_or_b64 exec, exec, s[4:5]
	scratch_load_dwordx2 v[102:103], off, off
	v_cmp_ne_u32_e32 vcc, 0, v0
	s_waitcnt vmcnt(0)
	ds_write_b64 v1, v[102:103]
	s_waitcnt lgkmcnt(0)
	; wave barrier
	s_and_saveexec_b64 s[0:1], vcc
	s_cbranch_execz .LBB48_476
; %bb.467:
	s_andn2_b64 vcc, exec, s[6:7]
	s_cbranch_vccnz .LBB48_469
; %bb.468:
	scratch_load_dwordx2 v[102:103], v11, off
	ds_read_b64 v[104:105], v1
	s_waitcnt vmcnt(0) lgkmcnt(0)
	v_mul_f64 v[102:103], v[102:103], v[104:105]
	s_cbranch_execz .LBB48_470
	s_branch .LBB48_471
.LBB48_469:
                                        ; implicit-def: $vgpr102_vgpr103
.LBB48_470:
	ds_read_b64 v[102:103], v1
.LBB48_471:
	s_and_saveexec_b64 s[4:5], s[2:3]
	s_cbranch_execz .LBB48_475
; %bb.472:
	s_or_b32 s8, 0, 8
	v_add_u32_e32 v104, -1, v0
	s_movk_i32 s9, 0x198
	s_mov_b64 s[2:3], 0
.LBB48_473:                             ; =>This Inner Loop Header: Depth=1
	scratch_load_dwordx2 v[106:107], off, s8
	v_mov_b32_e32 v105, s9
	ds_read_b64 v[108:109], v105
	v_add_u32_e32 v104, -1, v104
	s_add_i32 s9, s9, 8
	s_add_i32 s8, s8, 8
	v_cmp_eq_u32_e32 vcc, 0, v104
	s_or_b64 s[2:3], vcc, s[2:3]
	s_waitcnt vmcnt(0) lgkmcnt(0)
	v_fmac_f64_e32 v[102:103], v[106:107], v[108:109]
	s_andn2_b64 exec, exec, s[2:3]
	s_cbranch_execnz .LBB48_473
; %bb.474:
	s_or_b64 exec, exec, s[2:3]
.LBB48_475:
	s_or_b64 exec, exec, s[4:5]
	v_mov_b32_e32 v104, 0
	ds_read_b64 v[104:105], v104
	s_waitcnt lgkmcnt(0)
	v_mul_f64 v[102:103], v[102:103], v[104:105]
	scratch_store_dwordx2 off, v[102:103], off
.LBB48_476:
	s_or_b64 exec, exec, s[0:1]
	s_mov_b64 s[0:1], 0
.LBB48_477:
	s_and_b64 vcc, exec, s[0:1]
	s_cbranch_vccz .LBB48_949
; %bb.478:
	scratch_load_dwordx2 v[102:103], off, off offset:8
	v_cmp_eq_u32_e64 s[2:3], 0, v0
	s_waitcnt vmcnt(0)
	ds_write_b64 v1, v[102:103]
	s_waitcnt lgkmcnt(0)
	; wave barrier
	s_and_saveexec_b64 s[0:1], s[2:3]
	s_cbranch_execz .LBB48_484
; %bb.479:
	s_and_b64 vcc, exec, s[6:7]
	s_cbranch_vccz .LBB48_481
; %bb.480:
	scratch_load_dwordx2 v[102:103], v11, off
	ds_read_b64 v[104:105], v1
	s_waitcnt vmcnt(0) lgkmcnt(0)
	v_mul_f64 v[102:103], v[102:103], v[104:105]
	s_cbranch_execz .LBB48_482
	s_branch .LBB48_483
.LBB48_481:
                                        ; implicit-def: $vgpr102_vgpr103
.LBB48_482:
	ds_read_b64 v[102:103], v1
.LBB48_483:
	v_mov_b32_e32 v104, 0
	ds_read_b64 v[104:105], v104 offset:8
	s_waitcnt lgkmcnt(0)
	v_mul_f64 v[102:103], v[102:103], v[104:105]
	scratch_store_dwordx2 off, v[102:103], off offset:8
.LBB48_484:
	s_or_b64 exec, exec, s[0:1]
	scratch_load_dwordx2 v[102:103], off, off offset:16
	v_cndmask_b32_e64 v104, 0, 1, s[6:7]
	v_cmp_gt_u32_e32 vcc, 2, v0
	v_cmp_ne_u32_e64 s[0:1], 1, v104
	s_waitcnt vmcnt(0)
	ds_write_b64 v1, v[102:103]
	s_waitcnt lgkmcnt(0)
	; wave barrier
	s_and_saveexec_b64 s[4:5], vcc
	s_cbranch_execz .LBB48_490
; %bb.485:
	s_and_b64 vcc, exec, s[0:1]
	s_cbranch_vccnz .LBB48_487
; %bb.486:
	scratch_load_dwordx2 v[102:103], v11, off
	ds_read_b64 v[104:105], v1
	s_waitcnt vmcnt(0) lgkmcnt(0)
	v_mul_f64 v[102:103], v[102:103], v[104:105]
	s_cbranch_execz .LBB48_488
	s_branch .LBB48_489
.LBB48_487:
                                        ; implicit-def: $vgpr102_vgpr103
.LBB48_488:
	ds_read_b64 v[102:103], v1
.LBB48_489:
	scratch_load_dwordx2 v[108:109], off, off offset:8
	v_mov_b32_e32 v104, 0
	ds_read2_b64 v[104:107], v104 offset0:2 offset1:51
	s_waitcnt vmcnt(0) lgkmcnt(0)
	v_fma_f64 v[106:107], v[108:109], v[106:107], v[102:103]
	v_cndmask_b32_e64 v103, v103, v107, s[2:3]
	v_cndmask_b32_e64 v102, v102, v106, s[2:3]
	v_mul_f64 v[102:103], v[102:103], v[104:105]
	scratch_store_dwordx2 off, v[102:103], off offset:16
.LBB48_490:
	s_or_b64 exec, exec, s[4:5]
	scratch_load_dwordx2 v[102:103], off, off offset:24
	v_cmp_gt_u32_e32 vcc, 3, v0
	s_waitcnt vmcnt(0)
	ds_write_b64 v1, v[102:103]
	s_waitcnt lgkmcnt(0)
	; wave barrier
	s_and_saveexec_b64 s[4:5], vcc
	s_cbranch_execz .LBB48_498
; %bb.491:
	s_and_b64 vcc, exec, s[0:1]
	s_cbranch_vccnz .LBB48_493
; %bb.492:
	scratch_load_dwordx2 v[102:103], v11, off
	ds_read_b64 v[104:105], v1
	s_waitcnt vmcnt(0) lgkmcnt(0)
	v_mul_f64 v[102:103], v[102:103], v[104:105]
	s_cbranch_execz .LBB48_494
	s_branch .LBB48_495
.LBB48_493:
                                        ; implicit-def: $vgpr102_vgpr103
.LBB48_494:
	ds_read_b64 v[102:103], v1
.LBB48_495:
	v_cmp_ne_u32_e32 vcc, 2, v0
	s_and_saveexec_b64 s[6:7], vcc
	s_cbranch_execz .LBB48_497
; %bb.496:
	scratch_load_dwordx2 v[104:105], v11, off offset:8
	scratch_load_dwordx2 v[106:107], off, off offset:16
	ds_read_b64 v[108:109], v1 offset:8
	v_mov_b32_e32 v110, 0
	ds_read_b64 v[110:111], v110 offset:416
	s_waitcnt vmcnt(1) lgkmcnt(1)
	v_fmac_f64_e32 v[102:103], v[104:105], v[108:109]
	s_waitcnt vmcnt(0) lgkmcnt(0)
	v_fma_f64 v[104:105], v[106:107], v[110:111], v[102:103]
	v_cndmask_b32_e64 v103, v103, v105, s[2:3]
	v_cndmask_b32_e64 v102, v102, v104, s[2:3]
.LBB48_497:
	s_or_b64 exec, exec, s[6:7]
	v_mov_b32_e32 v104, 0
	ds_read_b64 v[104:105], v104 offset:24
	s_waitcnt lgkmcnt(0)
	v_mul_f64 v[102:103], v[102:103], v[104:105]
	scratch_store_dwordx2 off, v[102:103], off offset:24
.LBB48_498:
	s_or_b64 exec, exec, s[4:5]
	scratch_load_dwordx2 v[102:103], off, off offset:32
	v_cmp_gt_u32_e32 vcc, 4, v0
	s_waitcnt vmcnt(0)
	ds_write_b64 v1, v[102:103]
	s_waitcnt lgkmcnt(0)
	; wave barrier
	s_and_saveexec_b64 s[2:3], vcc
	s_cbranch_execz .LBB48_508
; %bb.499:
	s_and_b64 vcc, exec, s[0:1]
	s_cbranch_vccnz .LBB48_501
; %bb.500:
	scratch_load_dwordx2 v[102:103], v11, off
	ds_read_b64 v[104:105], v1
	s_waitcnt vmcnt(0) lgkmcnt(0)
	v_mul_f64 v[102:103], v[102:103], v[104:105]
	s_cbranch_execz .LBB48_502
	s_branch .LBB48_503
.LBB48_501:
                                        ; implicit-def: $vgpr102_vgpr103
.LBB48_502:
	ds_read_b64 v[102:103], v1
.LBB48_503:
	v_cmp_ne_u32_e32 vcc, 3, v0
	s_and_saveexec_b64 s[4:5], vcc
	s_cbranch_execz .LBB48_507
; %bb.504:
	s_mov_b32 s6, 0
	v_add_u32_e32 v104, 0x198, v10
	v_add3_u32 v105, v10, s6, 8
	s_mov_b64 s[6:7], 0
	v_mov_b32_e32 v106, v0
.LBB48_505:                             ; =>This Inner Loop Header: Depth=1
	scratch_load_dwordx2 v[108:109], v105, off
	ds_read_b64 v[110:111], v104
	v_add_u32_e32 v106, 1, v106
	v_cmp_lt_u32_e32 vcc, 2, v106
	v_add_u32_e32 v104, 8, v104
	v_add_u32_e32 v105, 8, v105
	s_or_b64 s[6:7], vcc, s[6:7]
	s_waitcnt vmcnt(0) lgkmcnt(0)
	v_fmac_f64_e32 v[102:103], v[108:109], v[110:111]
	s_andn2_b64 exec, exec, s[6:7]
	s_cbranch_execnz .LBB48_505
; %bb.506:
	s_or_b64 exec, exec, s[6:7]
.LBB48_507:
	s_or_b64 exec, exec, s[4:5]
	v_mov_b32_e32 v104, 0
	ds_read_b64 v[104:105], v104 offset:32
	s_waitcnt lgkmcnt(0)
	v_mul_f64 v[102:103], v[102:103], v[104:105]
	scratch_store_dwordx2 off, v[102:103], off offset:32
.LBB48_508:
	s_or_b64 exec, exec, s[2:3]
	scratch_load_dwordx2 v[102:103], off, off offset:40
	v_cmp_gt_u32_e32 vcc, 5, v0
	s_waitcnt vmcnt(0)
	ds_write_b64 v1, v[102:103]
	s_waitcnt lgkmcnt(0)
	; wave barrier
	s_and_saveexec_b64 s[2:3], vcc
	s_cbranch_execz .LBB48_518
; %bb.509:
	s_and_b64 vcc, exec, s[0:1]
	s_cbranch_vccnz .LBB48_511
; %bb.510:
	scratch_load_dwordx2 v[102:103], v11, off
	ds_read_b64 v[104:105], v1
	s_waitcnt vmcnt(0) lgkmcnt(0)
	v_mul_f64 v[102:103], v[102:103], v[104:105]
	s_cbranch_execz .LBB48_512
	s_branch .LBB48_513
.LBB48_511:
                                        ; implicit-def: $vgpr102_vgpr103
.LBB48_512:
	ds_read_b64 v[102:103], v1
.LBB48_513:
	v_cmp_ne_u32_e32 vcc, 4, v0
	s_and_saveexec_b64 s[4:5], vcc
	s_cbranch_execz .LBB48_517
; %bb.514:
	s_mov_b32 s6, 0
	v_add_u32_e32 v104, 0x198, v10
	v_add3_u32 v105, v10, s6, 8
	s_mov_b64 s[6:7], 0
	v_mov_b32_e32 v106, v0
.LBB48_515:                             ; =>This Inner Loop Header: Depth=1
	scratch_load_dwordx2 v[108:109], v105, off
	ds_read_b64 v[110:111], v104
	v_add_u32_e32 v106, 1, v106
	v_cmp_lt_u32_e32 vcc, 3, v106
	v_add_u32_e32 v104, 8, v104
	v_add_u32_e32 v105, 8, v105
	s_or_b64 s[6:7], vcc, s[6:7]
	s_waitcnt vmcnt(0) lgkmcnt(0)
	v_fmac_f64_e32 v[102:103], v[108:109], v[110:111]
	s_andn2_b64 exec, exec, s[6:7]
	s_cbranch_execnz .LBB48_515
; %bb.516:
	s_or_b64 exec, exec, s[6:7]
.LBB48_517:
	s_or_b64 exec, exec, s[4:5]
	v_mov_b32_e32 v104, 0
	ds_read_b64 v[104:105], v104 offset:40
	s_waitcnt lgkmcnt(0)
	v_mul_f64 v[102:103], v[102:103], v[104:105]
	scratch_store_dwordx2 off, v[102:103], off offset:40
.LBB48_518:
	;; [unrolled: 55-line block ×43, first 2 shown]
	s_or_b64 exec, exec, s[2:3]
	scratch_load_dwordx2 v[102:103], off, off offset:376
	v_cmp_gt_u32_e64 s[2:3], 47, v0
	s_waitcnt vmcnt(0)
	ds_write_b64 v1, v[102:103]
	s_waitcnt lgkmcnt(0)
	; wave barrier
	s_and_saveexec_b64 s[4:5], s[2:3]
	s_cbranch_execz .LBB48_938
; %bb.929:
	s_and_b64 vcc, exec, s[0:1]
	s_cbranch_vccnz .LBB48_931
; %bb.930:
	scratch_load_dwordx2 v[102:103], v11, off
	ds_read_b64 v[104:105], v1
	s_waitcnt vmcnt(0) lgkmcnt(0)
	v_mul_f64 v[102:103], v[102:103], v[104:105]
	s_cbranch_execz .LBB48_932
	s_branch .LBB48_933
.LBB48_931:
                                        ; implicit-def: $vgpr102_vgpr103
.LBB48_932:
	ds_read_b64 v[102:103], v1
.LBB48_933:
	v_cmp_ne_u32_e32 vcc, 46, v0
	s_and_saveexec_b64 s[6:7], vcc
	s_cbranch_execz .LBB48_937
; %bb.934:
	s_mov_b32 s8, 0
	v_add_u32_e32 v104, 0x198, v10
	v_add3_u32 v105, v10, s8, 8
	s_mov_b64 s[8:9], 0
	v_mov_b32_e32 v106, v0
.LBB48_935:                             ; =>This Inner Loop Header: Depth=1
	scratch_load_dwordx2 v[108:109], v105, off
	ds_read_b64 v[110:111], v104
	v_add_u32_e32 v106, 1, v106
	v_cmp_lt_u32_e32 vcc, 45, v106
	v_add_u32_e32 v104, 8, v104
	v_add_u32_e32 v105, 8, v105
	s_or_b64 s[8:9], vcc, s[8:9]
	s_waitcnt vmcnt(0) lgkmcnt(0)
	v_fmac_f64_e32 v[102:103], v[108:109], v[110:111]
	s_andn2_b64 exec, exec, s[8:9]
	s_cbranch_execnz .LBB48_935
; %bb.936:
	s_or_b64 exec, exec, s[8:9]
.LBB48_937:
	s_or_b64 exec, exec, s[6:7]
	v_mov_b32_e32 v104, 0
	ds_read_b64 v[104:105], v104 offset:376
	s_waitcnt lgkmcnt(0)
	v_mul_f64 v[102:103], v[102:103], v[104:105]
	scratch_store_dwordx2 off, v[102:103], off offset:376
.LBB48_938:
	s_or_b64 exec, exec, s[4:5]
	scratch_load_dwordx2 v[102:103], off, off offset:384
	v_cmp_ne_u32_e32 vcc, 48, v0
	s_waitcnt vmcnt(0)
	ds_write_b64 v1, v[102:103]
	s_waitcnt lgkmcnt(0)
	; wave barrier
	s_and_saveexec_b64 s[4:5], vcc
	s_cbranch_execz .LBB48_948
; %bb.939:
	s_and_b64 vcc, exec, s[0:1]
	s_cbranch_vccnz .LBB48_941
; %bb.940:
	scratch_load_dwordx2 v[102:103], v11, off
	ds_read_b64 v[104:105], v1
	s_waitcnt vmcnt(0) lgkmcnt(0)
	v_mul_f64 v[102:103], v[102:103], v[104:105]
	s_cbranch_execz .LBB48_942
	s_branch .LBB48_943
.LBB48_941:
                                        ; implicit-def: $vgpr102_vgpr103
.LBB48_942:
	ds_read_b64 v[102:103], v1
.LBB48_943:
	s_and_saveexec_b64 s[0:1], s[2:3]
	s_cbranch_execz .LBB48_947
; %bb.944:
	s_mov_b32 s2, 0
	v_add_u32_e32 v1, 0x198, v10
	v_add3_u32 v10, v10, s2, 8
	s_mov_b64 s[2:3], 0
.LBB48_945:                             ; =>This Inner Loop Header: Depth=1
	scratch_load_dwordx2 v[104:105], v10, off
	ds_read_b64 v[106:107], v1
	v_add_u32_e32 v0, 1, v0
	v_cmp_lt_u32_e32 vcc, 46, v0
	v_add_u32_e32 v1, 8, v1
	v_add_u32_e32 v10, 8, v10
	s_or_b64 s[2:3], vcc, s[2:3]
	s_waitcnt vmcnt(0) lgkmcnt(0)
	v_fmac_f64_e32 v[102:103], v[104:105], v[106:107]
	s_andn2_b64 exec, exec, s[2:3]
	s_cbranch_execnz .LBB48_945
; %bb.946:
	s_or_b64 exec, exec, s[2:3]
.LBB48_947:
	s_or_b64 exec, exec, s[0:1]
	v_mov_b32_e32 v0, 0
	ds_read_b64 v[0:1], v0 offset:384
	s_waitcnt lgkmcnt(0)
	v_mul_f64 v[0:1], v[102:103], v[0:1]
	scratch_store_dwordx2 off, v[0:1], off offset:384
.LBB48_948:
	s_or_b64 exec, exec, s[4:5]
.LBB48_949:
	scratch_load_dwordx4 v[102:105], off, off
	s_waitcnt vmcnt(0)
	global_store_dwordx2 v[2:3], v[102:103], off
	global_store_dwordx2 v[4:5], v[104:105], off
	scratch_load_dwordx4 v[0:3], off, off offset:16
	s_waitcnt vmcnt(0)
	global_store_dwordx2 v[6:7], v[0:1], off
	global_store_dwordx2 v[8:9], v[2:3], off
	scratch_load_dwordx4 v[0:3], off, off offset:32
	;; [unrolled: 4-line block ×23, first 2 shown]
	s_waitcnt vmcnt(0)
	global_store_dwordx2 v[98:99], v[0:1], off
	global_store_dwordx2 v[100:101], v[2:3], off
	scratch_load_dwordx2 v[0:1], off, off offset:384
	s_waitcnt vmcnt(0)
	global_store_dwordx2 v[94:95], v[0:1], off
.LBB48_950:
	s_endpgm
	.section	.rodata,"a",@progbits
	.p2align	6, 0x0
	.amdhsa_kernel _ZN9rocsolver6v33100L18trti2_kernel_smallILi49EdPdEEv13rocblas_fill_17rocblas_diagonal_T1_iil
		.amdhsa_group_segment_fixed_size 792
		.amdhsa_private_segment_fixed_size 400
		.amdhsa_kernarg_size 32
		.amdhsa_user_sgpr_count 2
		.amdhsa_user_sgpr_dispatch_ptr 0
		.amdhsa_user_sgpr_queue_ptr 0
		.amdhsa_user_sgpr_kernarg_segment_ptr 1
		.amdhsa_user_sgpr_dispatch_id 0
		.amdhsa_user_sgpr_kernarg_preload_length 0
		.amdhsa_user_sgpr_kernarg_preload_offset 0
		.amdhsa_user_sgpr_private_segment_size 0
		.amdhsa_uses_dynamic_stack 0
		.amdhsa_enable_private_segment 1
		.amdhsa_system_sgpr_workgroup_id_x 1
		.amdhsa_system_sgpr_workgroup_id_y 0
		.amdhsa_system_sgpr_workgroup_id_z 0
		.amdhsa_system_sgpr_workgroup_info 0
		.amdhsa_system_vgpr_workitem_id 0
		.amdhsa_next_free_vgpr 112
		.amdhsa_next_free_sgpr 35
		.amdhsa_accum_offset 112
		.amdhsa_reserve_vcc 1
		.amdhsa_float_round_mode_32 0
		.amdhsa_float_round_mode_16_64 0
		.amdhsa_float_denorm_mode_32 3
		.amdhsa_float_denorm_mode_16_64 3
		.amdhsa_dx10_clamp 1
		.amdhsa_ieee_mode 1
		.amdhsa_fp16_overflow 0
		.amdhsa_tg_split 0
		.amdhsa_exception_fp_ieee_invalid_op 0
		.amdhsa_exception_fp_denorm_src 0
		.amdhsa_exception_fp_ieee_div_zero 0
		.amdhsa_exception_fp_ieee_overflow 0
		.amdhsa_exception_fp_ieee_underflow 0
		.amdhsa_exception_fp_ieee_inexact 0
		.amdhsa_exception_int_div_zero 0
	.end_amdhsa_kernel
	.section	.text._ZN9rocsolver6v33100L18trti2_kernel_smallILi49EdPdEEv13rocblas_fill_17rocblas_diagonal_T1_iil,"axG",@progbits,_ZN9rocsolver6v33100L18trti2_kernel_smallILi49EdPdEEv13rocblas_fill_17rocblas_diagonal_T1_iil,comdat
.Lfunc_end48:
	.size	_ZN9rocsolver6v33100L18trti2_kernel_smallILi49EdPdEEv13rocblas_fill_17rocblas_diagonal_T1_iil, .Lfunc_end48-_ZN9rocsolver6v33100L18trti2_kernel_smallILi49EdPdEEv13rocblas_fill_17rocblas_diagonal_T1_iil
                                        ; -- End function
	.set _ZN9rocsolver6v33100L18trti2_kernel_smallILi49EdPdEEv13rocblas_fill_17rocblas_diagonal_T1_iil.num_vgpr, 112
	.set _ZN9rocsolver6v33100L18trti2_kernel_smallILi49EdPdEEv13rocblas_fill_17rocblas_diagonal_T1_iil.num_agpr, 0
	.set _ZN9rocsolver6v33100L18trti2_kernel_smallILi49EdPdEEv13rocblas_fill_17rocblas_diagonal_T1_iil.numbered_sgpr, 35
	.set _ZN9rocsolver6v33100L18trti2_kernel_smallILi49EdPdEEv13rocblas_fill_17rocblas_diagonal_T1_iil.num_named_barrier, 0
	.set _ZN9rocsolver6v33100L18trti2_kernel_smallILi49EdPdEEv13rocblas_fill_17rocblas_diagonal_T1_iil.private_seg_size, 400
	.set _ZN9rocsolver6v33100L18trti2_kernel_smallILi49EdPdEEv13rocblas_fill_17rocblas_diagonal_T1_iil.uses_vcc, 1
	.set _ZN9rocsolver6v33100L18trti2_kernel_smallILi49EdPdEEv13rocblas_fill_17rocblas_diagonal_T1_iil.uses_flat_scratch, 0
	.set _ZN9rocsolver6v33100L18trti2_kernel_smallILi49EdPdEEv13rocblas_fill_17rocblas_diagonal_T1_iil.has_dyn_sized_stack, 0
	.set _ZN9rocsolver6v33100L18trti2_kernel_smallILi49EdPdEEv13rocblas_fill_17rocblas_diagonal_T1_iil.has_recursion, 0
	.set _ZN9rocsolver6v33100L18trti2_kernel_smallILi49EdPdEEv13rocblas_fill_17rocblas_diagonal_T1_iil.has_indirect_call, 0
	.section	.AMDGPU.csdata,"",@progbits
; Kernel info:
; codeLenInByte = 23336
; TotalNumSgprs: 41
; NumVgprs: 112
; NumAgprs: 0
; TotalNumVgprs: 112
; ScratchSize: 400
; MemoryBound: 0
; FloatMode: 240
; IeeeMode: 1
; LDSByteSize: 792 bytes/workgroup (compile time only)
; SGPRBlocks: 5
; VGPRBlocks: 13
; NumSGPRsForWavesPerEU: 41
; NumVGPRsForWavesPerEU: 112
; AccumOffset: 112
; Occupancy: 4
; WaveLimiterHint : 0
; COMPUTE_PGM_RSRC2:SCRATCH_EN: 1
; COMPUTE_PGM_RSRC2:USER_SGPR: 2
; COMPUTE_PGM_RSRC2:TRAP_HANDLER: 0
; COMPUTE_PGM_RSRC2:TGID_X_EN: 1
; COMPUTE_PGM_RSRC2:TGID_Y_EN: 0
; COMPUTE_PGM_RSRC2:TGID_Z_EN: 0
; COMPUTE_PGM_RSRC2:TIDIG_COMP_CNT: 0
; COMPUTE_PGM_RSRC3_GFX90A:ACCUM_OFFSET: 27
; COMPUTE_PGM_RSRC3_GFX90A:TG_SPLIT: 0
	.section	.text._ZN9rocsolver6v33100L18trti2_kernel_smallILi50EdPdEEv13rocblas_fill_17rocblas_diagonal_T1_iil,"axG",@progbits,_ZN9rocsolver6v33100L18trti2_kernel_smallILi50EdPdEEv13rocblas_fill_17rocblas_diagonal_T1_iil,comdat
	.globl	_ZN9rocsolver6v33100L18trti2_kernel_smallILi50EdPdEEv13rocblas_fill_17rocblas_diagonal_T1_iil ; -- Begin function _ZN9rocsolver6v33100L18trti2_kernel_smallILi50EdPdEEv13rocblas_fill_17rocblas_diagonal_T1_iil
	.p2align	8
	.type	_ZN9rocsolver6v33100L18trti2_kernel_smallILi50EdPdEEv13rocblas_fill_17rocblas_diagonal_T1_iil,@function
_ZN9rocsolver6v33100L18trti2_kernel_smallILi50EdPdEEv13rocblas_fill_17rocblas_diagonal_T1_iil: ; @_ZN9rocsolver6v33100L18trti2_kernel_smallILi50EdPdEEv13rocblas_fill_17rocblas_diagonal_T1_iil
; %bb.0:
	v_cmp_gt_u32_e32 vcc, 50, v0
	s_and_saveexec_b64 s[4:5], vcc
	s_cbranch_execz .LBB49_970
; %bb.1:
	s_load_dwordx8 s[4:11], s[0:1], 0x0
	s_ashr_i32 s3, s2, 31
	v_lshlrev_b32_e32 v16, 3, v0
	v_mov_b32_e32 v17, 0
	s_waitcnt lgkmcnt(0)
	s_ashr_i32 s1, s8, 31
	s_mov_b32 s0, s8
	s_mul_hi_u32 s8, s10, s2
	s_mul_i32 s3, s10, s3
	s_add_i32 s3, s8, s3
	s_mul_i32 s8, s11, s2
	s_add_i32 s3, s3, s8
	s_mul_i32 s2, s10, s2
	s_lshl_b64 s[2:3], s[2:3], 3
	s_add_u32 s2, s6, s2
	s_addc_u32 s3, s7, s3
	s_lshl_b64 s[0:1], s[0:1], 3
	s_add_u32 s0, s2, s0
	s_addc_u32 s1, s3, s1
	v_lshl_add_u64 v[2:3], s[0:1], 0, v[16:17]
	s_ashr_i32 s3, s9, 31
	s_mov_b32 s2, s9
	v_lshl_add_u64 v[4:5], s[2:3], 3, v[2:3]
	global_load_dwordx2 v[6:7], v16, s[0:1]
	global_load_dwordx2 v[8:9], v[4:5], off
	s_add_i32 s2, s9, s9
	s_cmpk_lg_i32 s5, 0x84
	s_cselect_b64 s[6:7], -1, 0
	s_cmpk_eq_i32 s5, 0x84
	s_waitcnt vmcnt(0)
	scratch_store_dwordx4 off, v[6:9], off
	s_nop 1
	v_add_u32_e32 v8, s2, v0
	v_add_u32_e32 v10, s9, v8
	v_ashrrev_i32_e32 v9, 31, v8
	v_ashrrev_i32_e32 v11, 31, v10
	v_lshl_add_u64 v[6:7], v[8:9], 3, s[0:1]
	v_lshl_add_u64 v[8:9], v[10:11], 3, s[0:1]
	global_load_dwordx2 v[12:13], v[6:7], off
	global_load_dwordx2 v[14:15], v[8:9], off
	s_waitcnt vmcnt(0)
	scratch_store_dwordx4 off, v[12:15], off offset:16
	s_nop 1
	v_add_u32_e32 v12, s9, v10
	v_add_u32_e32 v14, s9, v12
	v_ashrrev_i32_e32 v13, 31, v12
	v_ashrrev_i32_e32 v15, 31, v14
	v_lshl_add_u64 v[10:11], v[12:13], 3, s[0:1]
	v_lshl_add_u64 v[12:13], v[14:15], 3, s[0:1]
	global_load_dwordx2 v[18:19], v[10:11], off
	global_load_dwordx2 v[20:21], v[12:13], off
	s_waitcnt vmcnt(0)
	scratch_store_dwordx4 off, v[18:21], off offset:32
	;; [unrolled: 11-line block ×19, first 2 shown]
	s_nop 1
	v_add_u32_e32 v86, s9, v84
	v_ashrrev_i32_e32 v87, 31, v86
	v_lshl_add_u64 v[84:85], v[86:87], 3, s[0:1]
	v_add_u32_e32 v86, s9, v86
	v_ashrrev_i32_e32 v87, 31, v86
	v_lshl_add_u64 v[88:89], v[86:87], 3, s[0:1]
	global_load_dwordx2 v[90:91], v[84:85], off
	global_load_dwordx2 v[92:93], v[88:89], off
	v_add_u32_e32 v86, s9, v86
	v_ashrrev_i32_e32 v87, 31, v86
	s_waitcnt vmcnt(0)
	scratch_store_dwordx4 off, v[90:93], off offset:320
	s_nop 1
	v_lshl_add_u64 v[92:93], v[86:87], 3, s[0:1]
	v_add_u32_e32 v86, s9, v86
	v_ashrrev_i32_e32 v87, 31, v86
	v_lshl_add_u64 v[94:95], v[86:87], 3, s[0:1]
	global_load_dwordx2 v[96:97], v[92:93], off
	global_load_dwordx2 v[98:99], v[94:95], off
	v_add_u32_e32 v86, s9, v86
	v_ashrrev_i32_e32 v87, 31, v86
	s_waitcnt vmcnt(0)
	scratch_store_dwordx4 off, v[96:99], off offset:336
	s_nop 1
	;; [unrolled: 11-line block ×3, first 2 shown]
	v_lshl_add_u64 v[100:101], v[86:87], 3, s[0:1]
	v_add_u32_e32 v86, s9, v86
	v_ashrrev_i32_e32 v87, 31, v86
	v_lshl_add_u64 v[102:103], v[86:87], 3, s[0:1]
	global_load_dwordx2 v[104:105], v[100:101], off
	global_load_dwordx2 v[106:107], v[102:103], off
	v_add_u32_e32 v90, s9, v86
	v_ashrrev_i32_e32 v91, 31, v90
	v_lshl_add_u64 v[86:87], v[90:91], 3, s[0:1]
	v_add_u32_e32 v90, s9, v90
	v_ashrrev_i32_e32 v91, 31, v90
	v_lshl_add_u64 v[90:91], v[90:91], 3, s[0:1]
	s_waitcnt vmcnt(0)
	scratch_store_dwordx4 off, v[104:107], off offset:368
	global_load_dwordx2 v[104:105], v[86:87], off
	s_nop 0
	global_load_dwordx2 v[106:107], v[90:91], off
	s_waitcnt vmcnt(0)
	scratch_store_dwordx4 off, v[104:107], off offset:384
	s_nop 1
	v_mov_b64_e32 v[104:105], -1.0
	s_cbranch_scc1 .LBB49_3
; %bb.2:
	scratch_load_dwordx2 v[104:105], v16, off
	s_waitcnt vmcnt(0)
	v_div_scale_f64 v[106:107], s[0:1], v[104:105], v[104:105], 1.0
	v_rcp_f64_e32 v[108:109], v[106:107]
	v_div_scale_f64 v[110:111], vcc, 1.0, v[104:105], 1.0
	v_fma_f64 v[112:113], -v[106:107], v[108:109], 1.0
	v_fmac_f64_e32 v[108:109], v[108:109], v[112:113]
	v_fma_f64 v[112:113], -v[106:107], v[108:109], 1.0
	v_fmac_f64_e32 v[108:109], v[108:109], v[112:113]
	v_mul_f64 v[112:113], v[110:111], v[108:109]
	v_fma_f64 v[106:107], -v[106:107], v[112:113], v[110:111]
	v_div_fmas_f64 v[106:107], v[106:107], v[108:109], v[112:113]
	v_div_fixup_f64 v[104:105], v[106:107], v[104:105], 1.0
	scratch_store_dwordx2 v16, v[104:105], off
	v_xor_b32_e32 v105, 0x80000000, v105
.LBB49_3:
	s_cmpk_eq_i32 s4, 0x79
	v_add_u32_e32 v1, 0x190, v16
	v_mov_b32_e32 v17, v16
	s_mov_b64 s[0:1], -1
	ds_write_b64 v16, v[104:105]
	s_cbranch_scc1 .LBB49_487
; %bb.4:
	scratch_load_dwordx2 v[104:105], off, off offset:384
	s_movk_i32 s8, 0x50
	s_movk_i32 s9, 0x60
	;; [unrolled: 1-line block ×19, first 2 shown]
	v_cmp_eq_u32_e64 s[0:1], 49, v0
	s_waitcnt vmcnt(0)
	ds_write_b64 v1, v[104:105]
	s_waitcnt lgkmcnt(0)
	; wave barrier
	s_and_saveexec_b64 s[2:3], s[0:1]
	s_cbranch_execz .LBB49_10
; %bb.5:
	s_and_b64 vcc, exec, s[6:7]
	s_cbranch_vccz .LBB49_7
; %bb.6:
	scratch_load_dwordx2 v[104:105], v17, off
	ds_read_b64 v[106:107], v1
	s_waitcnt vmcnt(0) lgkmcnt(0)
	v_mul_f64 v[104:105], v[104:105], v[106:107]
	s_cbranch_execz .LBB49_8
	s_branch .LBB49_9
.LBB49_7:
                                        ; implicit-def: $vgpr104_vgpr105
.LBB49_8:
	ds_read_b64 v[104:105], v1
.LBB49_9:
	v_mov_b32_e32 v106, 0
	ds_read_b64 v[106:107], v106 offset:384
	s_waitcnt lgkmcnt(0)
	v_mul_f64 v[104:105], v[104:105], v[106:107]
	scratch_store_dwordx2 off, v[104:105], off offset:384
.LBB49_10:
	s_or_b64 exec, exec, s[2:3]
	scratch_load_dwordx2 v[104:105], off, off offset:376
	s_mov_b32 s10, 16
	s_mov_b32 s11, 32
	;; [unrolled: 1-line block ×6, first 2 shown]
	v_cmp_lt_u32_e64 s[2:3], 47, v0
	s_waitcnt vmcnt(0)
	ds_write_b64 v1, v[104:105]
	s_waitcnt lgkmcnt(0)
	; wave barrier
	s_and_saveexec_b64 s[4:5], s[2:3]
	s_cbranch_execz .LBB49_16
; %bb.11:
	s_andn2_b64 vcc, exec, s[6:7]
	s_cbranch_vccnz .LBB49_13
; %bb.12:
	scratch_load_dwordx2 v[104:105], v17, off
	ds_read_b64 v[106:107], v1
	s_waitcnt vmcnt(0) lgkmcnt(0)
	v_mul_f64 v[104:105], v[104:105], v[106:107]
	s_cbranch_execz .LBB49_14
	s_branch .LBB49_15
.LBB49_13:
                                        ; implicit-def: $vgpr104_vgpr105
.LBB49_14:
	ds_read_b64 v[104:105], v1
.LBB49_15:
	scratch_load_dwordx2 v[110:111], off, off offset:384
	v_mov_b32_e32 v106, 0
	ds_read2_b64 v[106:109], v106 offset0:47 offset1:98
	s_waitcnt vmcnt(0) lgkmcnt(0)
	v_fma_f64 v[108:109], v[110:111], v[108:109], v[104:105]
	v_cndmask_b32_e64 v105, v105, v109, s[0:1]
	v_cndmask_b32_e64 v104, v104, v108, s[0:1]
	v_mul_f64 v[104:105], v[104:105], v[106:107]
	scratch_store_dwordx2 off, v[104:105], off offset:376
.LBB49_16:
	s_or_b64 exec, exec, s[4:5]
	scratch_load_dwordx2 v[104:105], off, off offset:368
	v_cmp_lt_u32_e64 s[0:1], 46, v0
	s_waitcnt vmcnt(0)
	ds_write_b64 v1, v[104:105]
	s_waitcnt lgkmcnt(0)
	; wave barrier
	s_and_saveexec_b64 s[4:5], s[0:1]
	s_cbranch_execz .LBB49_26
; %bb.17:
	s_andn2_b64 vcc, exec, s[6:7]
	s_cbranch_vccnz .LBB49_19
; %bb.18:
	scratch_load_dwordx2 v[104:105], v17, off
	ds_read_b64 v[106:107], v1
	s_waitcnt vmcnt(0) lgkmcnt(0)
	v_mul_f64 v[104:105], v[104:105], v[106:107]
	s_cbranch_execz .LBB49_20
	s_branch .LBB49_21
.LBB49_19:
                                        ; implicit-def: $vgpr104_vgpr105
.LBB49_20:
	ds_read_b64 v[104:105], v1
.LBB49_21:
	s_and_saveexec_b64 s[8:9], s[2:3]
	s_cbranch_execz .LBB49_25
; %bb.22:
	s_movk_i32 s34, 0x178
	v_subrev_u32_e32 v106, 47, v0
	s_movk_i32 s35, 0x308
	s_mov_b64 s[2:3], 0
.LBB49_23:                              ; =>This Inner Loop Header: Depth=1
	scratch_load_dwordx2 v[108:109], off, s34
	v_mov_b32_e32 v107, s35
	ds_read_b64 v[110:111], v107
	v_add_u32_e32 v106, -1, v106
	s_add_i32 s35, s35, 8
	s_add_i32 s34, s34, 8
	v_cmp_eq_u32_e32 vcc, 0, v106
	s_or_b64 s[2:3], vcc, s[2:3]
	s_waitcnt vmcnt(0) lgkmcnt(0)
	v_fmac_f64_e32 v[104:105], v[108:109], v[110:111]
	s_andn2_b64 exec, exec, s[2:3]
	s_cbranch_execnz .LBB49_23
; %bb.24:
	s_or_b64 exec, exec, s[2:3]
.LBB49_25:
	s_or_b64 exec, exec, s[8:9]
	v_mov_b32_e32 v106, 0
	ds_read_b64 v[106:107], v106 offset:368
	s_waitcnt lgkmcnt(0)
	v_mul_f64 v[104:105], v[104:105], v[106:107]
	scratch_store_dwordx2 off, v[104:105], off offset:368
.LBB49_26:
	s_or_b64 exec, exec, s[4:5]
	scratch_load_dwordx2 v[104:105], off, off offset:360
	v_cmp_lt_u32_e64 s[2:3], 45, v0
	s_waitcnt vmcnt(0)
	ds_write_b64 v1, v[104:105]
	s_waitcnt lgkmcnt(0)
	; wave barrier
	s_and_saveexec_b64 s[4:5], s[2:3]
	s_cbranch_execz .LBB49_36
; %bb.27:
	s_andn2_b64 vcc, exec, s[6:7]
	s_cbranch_vccnz .LBB49_29
; %bb.28:
	scratch_load_dwordx2 v[104:105], v17, off
	ds_read_b64 v[106:107], v1
	s_waitcnt vmcnt(0) lgkmcnt(0)
	v_mul_f64 v[104:105], v[104:105], v[106:107]
	s_cbranch_execz .LBB49_30
	s_branch .LBB49_31
.LBB49_29:
                                        ; implicit-def: $vgpr104_vgpr105
.LBB49_30:
	ds_read_b64 v[104:105], v1
.LBB49_31:
	s_and_saveexec_b64 s[8:9], s[0:1]
	s_cbranch_execz .LBB49_35
; %bb.32:
	v_subrev_u32_e32 v106, 46, v0
	s_movk_i32 s34, 0x300
	s_mov_b64 s[0:1], 0
.LBB49_33:                              ; =>This Inner Loop Header: Depth=1
	scratch_load_dwordx2 v[108:109], off, s33
	v_mov_b32_e32 v107, s34
	ds_read_b64 v[110:111], v107
	v_add_u32_e32 v106, -1, v106
	s_add_i32 s34, s34, 8
	s_add_i32 s33, s33, 8
	v_cmp_eq_u32_e32 vcc, 0, v106
	s_or_b64 s[0:1], vcc, s[0:1]
	s_waitcnt vmcnt(0) lgkmcnt(0)
	v_fmac_f64_e32 v[104:105], v[108:109], v[110:111]
	s_andn2_b64 exec, exec, s[0:1]
	s_cbranch_execnz .LBB49_33
; %bb.34:
	s_or_b64 exec, exec, s[0:1]
.LBB49_35:
	s_or_b64 exec, exec, s[8:9]
	v_mov_b32_e32 v106, 0
	ds_read_b64 v[106:107], v106 offset:360
	s_waitcnt lgkmcnt(0)
	v_mul_f64 v[104:105], v[104:105], v[106:107]
	scratch_store_dwordx2 off, v[104:105], off offset:360
.LBB49_36:
	s_or_b64 exec, exec, s[4:5]
	scratch_load_dwordx2 v[104:105], off, off offset:352
	v_cmp_lt_u32_e64 s[0:1], 44, v0
	s_waitcnt vmcnt(0)
	ds_write_b64 v1, v[104:105]
	s_waitcnt lgkmcnt(0)
	; wave barrier
	s_and_saveexec_b64 s[4:5], s[0:1]
	s_cbranch_execz .LBB49_46
; %bb.37:
	s_andn2_b64 vcc, exec, s[6:7]
	s_cbranch_vccnz .LBB49_39
; %bb.38:
	scratch_load_dwordx2 v[104:105], v17, off
	ds_read_b64 v[106:107], v1
	s_waitcnt vmcnt(0) lgkmcnt(0)
	v_mul_f64 v[104:105], v[104:105], v[106:107]
	s_cbranch_execz .LBB49_40
	s_branch .LBB49_41
.LBB49_39:
                                        ; implicit-def: $vgpr104_vgpr105
.LBB49_40:
	ds_read_b64 v[104:105], v1
.LBB49_41:
	s_and_saveexec_b64 s[8:9], s[2:3]
	s_cbranch_execz .LBB49_45
; %bb.42:
	s_movk_i32 s33, 0x168
	v_subrev_u32_e32 v106, 45, v0
	s_movk_i32 s34, 0x2f8
	s_mov_b64 s[2:3], 0
.LBB49_43:                              ; =>This Inner Loop Header: Depth=1
	scratch_load_dwordx2 v[108:109], off, s33
	v_mov_b32_e32 v107, s34
	ds_read_b64 v[110:111], v107
	v_add_u32_e32 v106, -1, v106
	s_add_i32 s34, s34, 8
	s_add_i32 s33, s33, 8
	v_cmp_eq_u32_e32 vcc, 0, v106
	s_or_b64 s[2:3], vcc, s[2:3]
	s_waitcnt vmcnt(0) lgkmcnt(0)
	v_fmac_f64_e32 v[104:105], v[108:109], v[110:111]
	s_andn2_b64 exec, exec, s[2:3]
	s_cbranch_execnz .LBB49_43
; %bb.44:
	s_or_b64 exec, exec, s[2:3]
.LBB49_45:
	s_or_b64 exec, exec, s[8:9]
	v_mov_b32_e32 v106, 0
	ds_read_b64 v[106:107], v106 offset:352
	s_waitcnt lgkmcnt(0)
	v_mul_f64 v[104:105], v[104:105], v[106:107]
	scratch_store_dwordx2 off, v[104:105], off offset:352
.LBB49_46:
	s_or_b64 exec, exec, s[4:5]
	scratch_load_dwordx2 v[104:105], off, off offset:344
	v_cmp_lt_u32_e64 s[2:3], 43, v0
	s_waitcnt vmcnt(0)
	ds_write_b64 v1, v[104:105]
	s_waitcnt lgkmcnt(0)
	; wave barrier
	s_and_saveexec_b64 s[4:5], s[2:3]
	s_cbranch_execz .LBB49_56
; %bb.47:
	s_andn2_b64 vcc, exec, s[6:7]
	s_cbranch_vccnz .LBB49_49
; %bb.48:
	scratch_load_dwordx2 v[104:105], v17, off
	ds_read_b64 v[106:107], v1
	s_waitcnt vmcnt(0) lgkmcnt(0)
	v_mul_f64 v[104:105], v[104:105], v[106:107]
	s_cbranch_execz .LBB49_50
	s_branch .LBB49_51
.LBB49_49:
                                        ; implicit-def: $vgpr104_vgpr105
.LBB49_50:
	ds_read_b64 v[104:105], v1
.LBB49_51:
	s_and_saveexec_b64 s[8:9], s[0:1]
	s_cbranch_execz .LBB49_55
; %bb.52:
	v_subrev_u32_e32 v106, 44, v0
	s_movk_i32 s33, 0x2f0
	s_mov_b64 s[0:1], 0
.LBB49_53:                              ; =>This Inner Loop Header: Depth=1
	scratch_load_dwordx2 v[108:109], off, s31
	v_mov_b32_e32 v107, s33
	ds_read_b64 v[110:111], v107
	v_add_u32_e32 v106, -1, v106
	s_add_i32 s33, s33, 8
	s_add_i32 s31, s31, 8
	v_cmp_eq_u32_e32 vcc, 0, v106
	s_or_b64 s[0:1], vcc, s[0:1]
	s_waitcnt vmcnt(0) lgkmcnt(0)
	v_fmac_f64_e32 v[104:105], v[108:109], v[110:111]
	s_andn2_b64 exec, exec, s[0:1]
	s_cbranch_execnz .LBB49_53
; %bb.54:
	s_or_b64 exec, exec, s[0:1]
.LBB49_55:
	s_or_b64 exec, exec, s[8:9]
	v_mov_b32_e32 v106, 0
	ds_read_b64 v[106:107], v106 offset:344
	s_waitcnt lgkmcnt(0)
	v_mul_f64 v[104:105], v[104:105], v[106:107]
	scratch_store_dwordx2 off, v[104:105], off offset:344
.LBB49_56:
	s_or_b64 exec, exec, s[4:5]
	scratch_load_dwordx2 v[104:105], off, off offset:336
	v_cmp_lt_u32_e64 s[0:1], 42, v0
	s_waitcnt vmcnt(0)
	ds_write_b64 v1, v[104:105]
	s_waitcnt lgkmcnt(0)
	; wave barrier
	s_and_saveexec_b64 s[4:5], s[0:1]
	s_cbranch_execz .LBB49_66
; %bb.57:
	s_andn2_b64 vcc, exec, s[6:7]
	s_cbranch_vccnz .LBB49_59
; %bb.58:
	scratch_load_dwordx2 v[104:105], v17, off
	ds_read_b64 v[106:107], v1
	s_waitcnt vmcnt(0) lgkmcnt(0)
	v_mul_f64 v[104:105], v[104:105], v[106:107]
	s_cbranch_execz .LBB49_60
	s_branch .LBB49_61
.LBB49_59:
                                        ; implicit-def: $vgpr104_vgpr105
.LBB49_60:
	ds_read_b64 v[104:105], v1
.LBB49_61:
	s_and_saveexec_b64 s[8:9], s[2:3]
	s_cbranch_execz .LBB49_65
; %bb.62:
	s_movk_i32 s31, 0x158
	v_subrev_u32_e32 v106, 43, v0
	s_movk_i32 s33, 0x2e8
	s_mov_b64 s[2:3], 0
.LBB49_63:                              ; =>This Inner Loop Header: Depth=1
	scratch_load_dwordx2 v[108:109], off, s31
	v_mov_b32_e32 v107, s33
	ds_read_b64 v[110:111], v107
	v_add_u32_e32 v106, -1, v106
	s_add_i32 s33, s33, 8
	s_add_i32 s31, s31, 8
	v_cmp_eq_u32_e32 vcc, 0, v106
	s_or_b64 s[2:3], vcc, s[2:3]
	s_waitcnt vmcnt(0) lgkmcnt(0)
	v_fmac_f64_e32 v[104:105], v[108:109], v[110:111]
	s_andn2_b64 exec, exec, s[2:3]
	s_cbranch_execnz .LBB49_63
; %bb.64:
	s_or_b64 exec, exec, s[2:3]
.LBB49_65:
	s_or_b64 exec, exec, s[8:9]
	v_mov_b32_e32 v106, 0
	ds_read_b64 v[106:107], v106 offset:336
	s_waitcnt lgkmcnt(0)
	v_mul_f64 v[104:105], v[104:105], v[106:107]
	scratch_store_dwordx2 off, v[104:105], off offset:336
.LBB49_66:
	s_or_b64 exec, exec, s[4:5]
	scratch_load_dwordx2 v[104:105], off, off offset:328
	v_cmp_lt_u32_e64 s[2:3], 41, v0
	s_waitcnt vmcnt(0)
	ds_write_b64 v1, v[104:105]
	s_waitcnt lgkmcnt(0)
	; wave barrier
	s_and_saveexec_b64 s[4:5], s[2:3]
	s_cbranch_execz .LBB49_76
; %bb.67:
	s_andn2_b64 vcc, exec, s[6:7]
	s_cbranch_vccnz .LBB49_69
; %bb.68:
	scratch_load_dwordx2 v[104:105], v17, off
	ds_read_b64 v[106:107], v1
	s_waitcnt vmcnt(0) lgkmcnt(0)
	v_mul_f64 v[104:105], v[104:105], v[106:107]
	s_cbranch_execz .LBB49_70
	s_branch .LBB49_71
.LBB49_69:
                                        ; implicit-def: $vgpr104_vgpr105
.LBB49_70:
	ds_read_b64 v[104:105], v1
.LBB49_71:
	s_and_saveexec_b64 s[8:9], s[0:1]
	s_cbranch_execz .LBB49_75
; %bb.72:
	v_subrev_u32_e32 v106, 42, v0
	s_movk_i32 s31, 0x2e0
	s_mov_b64 s[0:1], 0
.LBB49_73:                              ; =>This Inner Loop Header: Depth=1
	scratch_load_dwordx2 v[108:109], off, s30
	v_mov_b32_e32 v107, s31
	ds_read_b64 v[110:111], v107
	v_add_u32_e32 v106, -1, v106
	s_add_i32 s31, s31, 8
	s_add_i32 s30, s30, 8
	v_cmp_eq_u32_e32 vcc, 0, v106
	s_or_b64 s[0:1], vcc, s[0:1]
	s_waitcnt vmcnt(0) lgkmcnt(0)
	v_fmac_f64_e32 v[104:105], v[108:109], v[110:111]
	s_andn2_b64 exec, exec, s[0:1]
	s_cbranch_execnz .LBB49_73
; %bb.74:
	s_or_b64 exec, exec, s[0:1]
.LBB49_75:
	s_or_b64 exec, exec, s[8:9]
	v_mov_b32_e32 v106, 0
	ds_read_b64 v[106:107], v106 offset:328
	s_waitcnt lgkmcnt(0)
	v_mul_f64 v[104:105], v[104:105], v[106:107]
	scratch_store_dwordx2 off, v[104:105], off offset:328
.LBB49_76:
	s_or_b64 exec, exec, s[4:5]
	scratch_load_dwordx2 v[104:105], off, off offset:320
	v_cmp_lt_u32_e64 s[0:1], 40, v0
	s_waitcnt vmcnt(0)
	ds_write_b64 v1, v[104:105]
	s_waitcnt lgkmcnt(0)
	; wave barrier
	s_and_saveexec_b64 s[4:5], s[0:1]
	s_cbranch_execz .LBB49_86
; %bb.77:
	s_andn2_b64 vcc, exec, s[6:7]
	s_cbranch_vccnz .LBB49_79
; %bb.78:
	scratch_load_dwordx2 v[104:105], v17, off
	ds_read_b64 v[106:107], v1
	s_waitcnt vmcnt(0) lgkmcnt(0)
	v_mul_f64 v[104:105], v[104:105], v[106:107]
	s_cbranch_execz .LBB49_80
	s_branch .LBB49_81
.LBB49_79:
                                        ; implicit-def: $vgpr104_vgpr105
.LBB49_80:
	ds_read_b64 v[104:105], v1
.LBB49_81:
	s_and_saveexec_b64 s[8:9], s[2:3]
	s_cbranch_execz .LBB49_85
; %bb.82:
	s_movk_i32 s30, 0x148
	v_subrev_u32_e32 v106, 41, v0
	s_movk_i32 s31, 0x2d8
	s_mov_b64 s[2:3], 0
.LBB49_83:                              ; =>This Inner Loop Header: Depth=1
	scratch_load_dwordx2 v[108:109], off, s30
	v_mov_b32_e32 v107, s31
	ds_read_b64 v[110:111], v107
	v_add_u32_e32 v106, -1, v106
	s_add_i32 s31, s31, 8
	s_add_i32 s30, s30, 8
	v_cmp_eq_u32_e32 vcc, 0, v106
	s_or_b64 s[2:3], vcc, s[2:3]
	s_waitcnt vmcnt(0) lgkmcnt(0)
	v_fmac_f64_e32 v[104:105], v[108:109], v[110:111]
	s_andn2_b64 exec, exec, s[2:3]
	s_cbranch_execnz .LBB49_83
; %bb.84:
	s_or_b64 exec, exec, s[2:3]
.LBB49_85:
	s_or_b64 exec, exec, s[8:9]
	v_mov_b32_e32 v106, 0
	ds_read_b64 v[106:107], v106 offset:320
	s_waitcnt lgkmcnt(0)
	v_mul_f64 v[104:105], v[104:105], v[106:107]
	scratch_store_dwordx2 off, v[104:105], off offset:320
.LBB49_86:
	s_or_b64 exec, exec, s[4:5]
	scratch_load_dwordx2 v[104:105], off, off offset:312
	v_cmp_lt_u32_e64 s[2:3], 39, v0
	s_waitcnt vmcnt(0)
	ds_write_b64 v1, v[104:105]
	s_waitcnt lgkmcnt(0)
	; wave barrier
	s_and_saveexec_b64 s[4:5], s[2:3]
	s_cbranch_execz .LBB49_96
; %bb.87:
	s_andn2_b64 vcc, exec, s[6:7]
	s_cbranch_vccnz .LBB49_89
; %bb.88:
	scratch_load_dwordx2 v[104:105], v17, off
	ds_read_b64 v[106:107], v1
	s_waitcnt vmcnt(0) lgkmcnt(0)
	v_mul_f64 v[104:105], v[104:105], v[106:107]
	s_cbranch_execz .LBB49_90
	s_branch .LBB49_91
.LBB49_89:
                                        ; implicit-def: $vgpr104_vgpr105
.LBB49_90:
	ds_read_b64 v[104:105], v1
.LBB49_91:
	s_and_saveexec_b64 s[8:9], s[0:1]
	s_cbranch_execz .LBB49_95
; %bb.92:
	v_subrev_u32_e32 v106, 40, v0
	s_movk_i32 s30, 0x2d0
	s_mov_b64 s[0:1], 0
.LBB49_93:                              ; =>This Inner Loop Header: Depth=1
	scratch_load_dwordx2 v[108:109], off, s29
	v_mov_b32_e32 v107, s30
	ds_read_b64 v[110:111], v107
	v_add_u32_e32 v106, -1, v106
	s_add_i32 s30, s30, 8
	s_add_i32 s29, s29, 8
	v_cmp_eq_u32_e32 vcc, 0, v106
	s_or_b64 s[0:1], vcc, s[0:1]
	s_waitcnt vmcnt(0) lgkmcnt(0)
	v_fmac_f64_e32 v[104:105], v[108:109], v[110:111]
	s_andn2_b64 exec, exec, s[0:1]
	s_cbranch_execnz .LBB49_93
; %bb.94:
	s_or_b64 exec, exec, s[0:1]
.LBB49_95:
	s_or_b64 exec, exec, s[8:9]
	v_mov_b32_e32 v106, 0
	ds_read_b64 v[106:107], v106 offset:312
	s_waitcnt lgkmcnt(0)
	v_mul_f64 v[104:105], v[104:105], v[106:107]
	scratch_store_dwordx2 off, v[104:105], off offset:312
.LBB49_96:
	s_or_b64 exec, exec, s[4:5]
	scratch_load_dwordx2 v[104:105], off, off offset:304
	v_cmp_lt_u32_e64 s[0:1], 38, v0
	s_waitcnt vmcnt(0)
	ds_write_b64 v1, v[104:105]
	s_waitcnt lgkmcnt(0)
	; wave barrier
	s_and_saveexec_b64 s[4:5], s[0:1]
	s_cbranch_execz .LBB49_106
; %bb.97:
	s_andn2_b64 vcc, exec, s[6:7]
	s_cbranch_vccnz .LBB49_99
; %bb.98:
	scratch_load_dwordx2 v[104:105], v17, off
	ds_read_b64 v[106:107], v1
	s_waitcnt vmcnt(0) lgkmcnt(0)
	v_mul_f64 v[104:105], v[104:105], v[106:107]
	s_cbranch_execz .LBB49_100
	s_branch .LBB49_101
.LBB49_99:
                                        ; implicit-def: $vgpr104_vgpr105
.LBB49_100:
	ds_read_b64 v[104:105], v1
.LBB49_101:
	s_and_saveexec_b64 s[8:9], s[2:3]
	s_cbranch_execz .LBB49_105
; %bb.102:
	s_movk_i32 s29, 0x138
	v_subrev_u32_e32 v106, 39, v0
	s_movk_i32 s30, 0x2c8
	s_mov_b64 s[2:3], 0
.LBB49_103:                             ; =>This Inner Loop Header: Depth=1
	scratch_load_dwordx2 v[108:109], off, s29
	v_mov_b32_e32 v107, s30
	ds_read_b64 v[110:111], v107
	v_add_u32_e32 v106, -1, v106
	s_add_i32 s30, s30, 8
	s_add_i32 s29, s29, 8
	v_cmp_eq_u32_e32 vcc, 0, v106
	s_or_b64 s[2:3], vcc, s[2:3]
	s_waitcnt vmcnt(0) lgkmcnt(0)
	v_fmac_f64_e32 v[104:105], v[108:109], v[110:111]
	s_andn2_b64 exec, exec, s[2:3]
	s_cbranch_execnz .LBB49_103
; %bb.104:
	s_or_b64 exec, exec, s[2:3]
.LBB49_105:
	s_or_b64 exec, exec, s[8:9]
	v_mov_b32_e32 v106, 0
	ds_read_b64 v[106:107], v106 offset:304
	s_waitcnt lgkmcnt(0)
	v_mul_f64 v[104:105], v[104:105], v[106:107]
	scratch_store_dwordx2 off, v[104:105], off offset:304
.LBB49_106:
	s_or_b64 exec, exec, s[4:5]
	scratch_load_dwordx2 v[104:105], off, off offset:296
	v_cmp_lt_u32_e64 s[2:3], 37, v0
	s_waitcnt vmcnt(0)
	ds_write_b64 v1, v[104:105]
	s_waitcnt lgkmcnt(0)
	; wave barrier
	s_and_saveexec_b64 s[4:5], s[2:3]
	s_cbranch_execz .LBB49_116
; %bb.107:
	s_andn2_b64 vcc, exec, s[6:7]
	s_cbranch_vccnz .LBB49_109
; %bb.108:
	scratch_load_dwordx2 v[104:105], v17, off
	ds_read_b64 v[106:107], v1
	s_waitcnt vmcnt(0) lgkmcnt(0)
	v_mul_f64 v[104:105], v[104:105], v[106:107]
	s_cbranch_execz .LBB49_110
	s_branch .LBB49_111
.LBB49_109:
                                        ; implicit-def: $vgpr104_vgpr105
.LBB49_110:
	ds_read_b64 v[104:105], v1
.LBB49_111:
	s_and_saveexec_b64 s[8:9], s[0:1]
	s_cbranch_execz .LBB49_115
; %bb.112:
	v_subrev_u32_e32 v106, 38, v0
	s_movk_i32 s29, 0x2c0
	s_mov_b64 s[0:1], 0
.LBB49_113:                             ; =>This Inner Loop Header: Depth=1
	scratch_load_dwordx2 v[108:109], off, s28
	v_mov_b32_e32 v107, s29
	ds_read_b64 v[110:111], v107
	v_add_u32_e32 v106, -1, v106
	s_add_i32 s29, s29, 8
	s_add_i32 s28, s28, 8
	v_cmp_eq_u32_e32 vcc, 0, v106
	s_or_b64 s[0:1], vcc, s[0:1]
	s_waitcnt vmcnt(0) lgkmcnt(0)
	v_fmac_f64_e32 v[104:105], v[108:109], v[110:111]
	s_andn2_b64 exec, exec, s[0:1]
	s_cbranch_execnz .LBB49_113
; %bb.114:
	s_or_b64 exec, exec, s[0:1]
.LBB49_115:
	s_or_b64 exec, exec, s[8:9]
	v_mov_b32_e32 v106, 0
	ds_read_b64 v[106:107], v106 offset:296
	s_waitcnt lgkmcnt(0)
	v_mul_f64 v[104:105], v[104:105], v[106:107]
	scratch_store_dwordx2 off, v[104:105], off offset:296
.LBB49_116:
	s_or_b64 exec, exec, s[4:5]
	scratch_load_dwordx2 v[104:105], off, off offset:288
	v_cmp_lt_u32_e64 s[0:1], 36, v0
	s_waitcnt vmcnt(0)
	ds_write_b64 v1, v[104:105]
	s_waitcnt lgkmcnt(0)
	; wave barrier
	s_and_saveexec_b64 s[4:5], s[0:1]
	s_cbranch_execz .LBB49_126
; %bb.117:
	s_andn2_b64 vcc, exec, s[6:7]
	s_cbranch_vccnz .LBB49_119
; %bb.118:
	scratch_load_dwordx2 v[104:105], v17, off
	ds_read_b64 v[106:107], v1
	s_waitcnt vmcnt(0) lgkmcnt(0)
	v_mul_f64 v[104:105], v[104:105], v[106:107]
	s_cbranch_execz .LBB49_120
	s_branch .LBB49_121
.LBB49_119:
                                        ; implicit-def: $vgpr104_vgpr105
.LBB49_120:
	ds_read_b64 v[104:105], v1
.LBB49_121:
	s_and_saveexec_b64 s[8:9], s[2:3]
	s_cbranch_execz .LBB49_125
; %bb.122:
	s_movk_i32 s28, 0x128
	v_subrev_u32_e32 v106, 37, v0
	s_movk_i32 s29, 0x2b8
	s_mov_b64 s[2:3], 0
.LBB49_123:                             ; =>This Inner Loop Header: Depth=1
	scratch_load_dwordx2 v[108:109], off, s28
	v_mov_b32_e32 v107, s29
	ds_read_b64 v[110:111], v107
	v_add_u32_e32 v106, -1, v106
	s_add_i32 s29, s29, 8
	s_add_i32 s28, s28, 8
	v_cmp_eq_u32_e32 vcc, 0, v106
	s_or_b64 s[2:3], vcc, s[2:3]
	s_waitcnt vmcnt(0) lgkmcnt(0)
	v_fmac_f64_e32 v[104:105], v[108:109], v[110:111]
	s_andn2_b64 exec, exec, s[2:3]
	s_cbranch_execnz .LBB49_123
; %bb.124:
	s_or_b64 exec, exec, s[2:3]
.LBB49_125:
	s_or_b64 exec, exec, s[8:9]
	v_mov_b32_e32 v106, 0
	ds_read_b64 v[106:107], v106 offset:288
	s_waitcnt lgkmcnt(0)
	v_mul_f64 v[104:105], v[104:105], v[106:107]
	scratch_store_dwordx2 off, v[104:105], off offset:288
.LBB49_126:
	s_or_b64 exec, exec, s[4:5]
	scratch_load_dwordx2 v[104:105], off, off offset:280
	v_cmp_lt_u32_e64 s[2:3], 35, v0
	s_waitcnt vmcnt(0)
	ds_write_b64 v1, v[104:105]
	s_waitcnt lgkmcnt(0)
	; wave barrier
	s_and_saveexec_b64 s[4:5], s[2:3]
	s_cbranch_execz .LBB49_136
; %bb.127:
	s_andn2_b64 vcc, exec, s[6:7]
	s_cbranch_vccnz .LBB49_129
; %bb.128:
	scratch_load_dwordx2 v[104:105], v17, off
	ds_read_b64 v[106:107], v1
	s_waitcnt vmcnt(0) lgkmcnt(0)
	v_mul_f64 v[104:105], v[104:105], v[106:107]
	s_cbranch_execz .LBB49_130
	s_branch .LBB49_131
.LBB49_129:
                                        ; implicit-def: $vgpr104_vgpr105
.LBB49_130:
	ds_read_b64 v[104:105], v1
.LBB49_131:
	s_and_saveexec_b64 s[8:9], s[0:1]
	s_cbranch_execz .LBB49_135
; %bb.132:
	v_subrev_u32_e32 v106, 36, v0
	s_movk_i32 s28, 0x2b0
	s_mov_b64 s[0:1], 0
.LBB49_133:                             ; =>This Inner Loop Header: Depth=1
	scratch_load_dwordx2 v[108:109], off, s27
	v_mov_b32_e32 v107, s28
	ds_read_b64 v[110:111], v107
	v_add_u32_e32 v106, -1, v106
	s_add_i32 s28, s28, 8
	s_add_i32 s27, s27, 8
	v_cmp_eq_u32_e32 vcc, 0, v106
	s_or_b64 s[0:1], vcc, s[0:1]
	s_waitcnt vmcnt(0) lgkmcnt(0)
	v_fmac_f64_e32 v[104:105], v[108:109], v[110:111]
	s_andn2_b64 exec, exec, s[0:1]
	s_cbranch_execnz .LBB49_133
; %bb.134:
	s_or_b64 exec, exec, s[0:1]
.LBB49_135:
	s_or_b64 exec, exec, s[8:9]
	v_mov_b32_e32 v106, 0
	ds_read_b64 v[106:107], v106 offset:280
	s_waitcnt lgkmcnt(0)
	v_mul_f64 v[104:105], v[104:105], v[106:107]
	scratch_store_dwordx2 off, v[104:105], off offset:280
.LBB49_136:
	s_or_b64 exec, exec, s[4:5]
	scratch_load_dwordx2 v[104:105], off, off offset:272
	v_cmp_lt_u32_e64 s[0:1], 34, v0
	s_waitcnt vmcnt(0)
	ds_write_b64 v1, v[104:105]
	s_waitcnt lgkmcnt(0)
	; wave barrier
	s_and_saveexec_b64 s[4:5], s[0:1]
	s_cbranch_execz .LBB49_146
; %bb.137:
	s_andn2_b64 vcc, exec, s[6:7]
	s_cbranch_vccnz .LBB49_139
; %bb.138:
	scratch_load_dwordx2 v[104:105], v17, off
	ds_read_b64 v[106:107], v1
	s_waitcnt vmcnt(0) lgkmcnt(0)
	v_mul_f64 v[104:105], v[104:105], v[106:107]
	s_cbranch_execz .LBB49_140
	s_branch .LBB49_141
.LBB49_139:
                                        ; implicit-def: $vgpr104_vgpr105
.LBB49_140:
	ds_read_b64 v[104:105], v1
.LBB49_141:
	s_and_saveexec_b64 s[8:9], s[2:3]
	s_cbranch_execz .LBB49_145
; %bb.142:
	s_movk_i32 s27, 0x118
	v_subrev_u32_e32 v106, 35, v0
	s_movk_i32 s28, 0x2a8
	s_mov_b64 s[2:3], 0
.LBB49_143:                             ; =>This Inner Loop Header: Depth=1
	scratch_load_dwordx2 v[108:109], off, s27
	v_mov_b32_e32 v107, s28
	ds_read_b64 v[110:111], v107
	v_add_u32_e32 v106, -1, v106
	s_add_i32 s28, s28, 8
	s_add_i32 s27, s27, 8
	v_cmp_eq_u32_e32 vcc, 0, v106
	s_or_b64 s[2:3], vcc, s[2:3]
	s_waitcnt vmcnt(0) lgkmcnt(0)
	v_fmac_f64_e32 v[104:105], v[108:109], v[110:111]
	s_andn2_b64 exec, exec, s[2:3]
	s_cbranch_execnz .LBB49_143
; %bb.144:
	s_or_b64 exec, exec, s[2:3]
.LBB49_145:
	s_or_b64 exec, exec, s[8:9]
	v_mov_b32_e32 v106, 0
	ds_read_b64 v[106:107], v106 offset:272
	s_waitcnt lgkmcnt(0)
	v_mul_f64 v[104:105], v[104:105], v[106:107]
	scratch_store_dwordx2 off, v[104:105], off offset:272
.LBB49_146:
	s_or_b64 exec, exec, s[4:5]
	scratch_load_dwordx2 v[104:105], off, off offset:264
	v_cmp_lt_u32_e64 s[2:3], 33, v0
	s_waitcnt vmcnt(0)
	ds_write_b64 v1, v[104:105]
	s_waitcnt lgkmcnt(0)
	; wave barrier
	s_and_saveexec_b64 s[4:5], s[2:3]
	s_cbranch_execz .LBB49_156
; %bb.147:
	s_andn2_b64 vcc, exec, s[6:7]
	s_cbranch_vccnz .LBB49_149
; %bb.148:
	scratch_load_dwordx2 v[104:105], v17, off
	ds_read_b64 v[106:107], v1
	s_waitcnt vmcnt(0) lgkmcnt(0)
	v_mul_f64 v[104:105], v[104:105], v[106:107]
	s_cbranch_execz .LBB49_150
	s_branch .LBB49_151
.LBB49_149:
                                        ; implicit-def: $vgpr104_vgpr105
.LBB49_150:
	ds_read_b64 v[104:105], v1
.LBB49_151:
	s_and_saveexec_b64 s[8:9], s[0:1]
	s_cbranch_execz .LBB49_155
; %bb.152:
	v_subrev_u32_e32 v106, 34, v0
	s_movk_i32 s27, 0x2a0
	s_mov_b64 s[0:1], 0
.LBB49_153:                             ; =>This Inner Loop Header: Depth=1
	scratch_load_dwordx2 v[108:109], off, s26
	v_mov_b32_e32 v107, s27
	ds_read_b64 v[110:111], v107
	v_add_u32_e32 v106, -1, v106
	s_add_i32 s27, s27, 8
	s_add_i32 s26, s26, 8
	v_cmp_eq_u32_e32 vcc, 0, v106
	s_or_b64 s[0:1], vcc, s[0:1]
	s_waitcnt vmcnt(0) lgkmcnt(0)
	v_fmac_f64_e32 v[104:105], v[108:109], v[110:111]
	s_andn2_b64 exec, exec, s[0:1]
	s_cbranch_execnz .LBB49_153
; %bb.154:
	s_or_b64 exec, exec, s[0:1]
.LBB49_155:
	s_or_b64 exec, exec, s[8:9]
	v_mov_b32_e32 v106, 0
	ds_read_b64 v[106:107], v106 offset:264
	s_waitcnt lgkmcnt(0)
	v_mul_f64 v[104:105], v[104:105], v[106:107]
	scratch_store_dwordx2 off, v[104:105], off offset:264
.LBB49_156:
	s_or_b64 exec, exec, s[4:5]
	scratch_load_dwordx2 v[104:105], off, off offset:256
	v_cmp_lt_u32_e64 s[0:1], 32, v0
	s_waitcnt vmcnt(0)
	ds_write_b64 v1, v[104:105]
	s_waitcnt lgkmcnt(0)
	; wave barrier
	s_and_saveexec_b64 s[4:5], s[0:1]
	s_cbranch_execz .LBB49_166
; %bb.157:
	s_andn2_b64 vcc, exec, s[6:7]
	s_cbranch_vccnz .LBB49_159
; %bb.158:
	scratch_load_dwordx2 v[104:105], v17, off
	ds_read_b64 v[106:107], v1
	s_waitcnt vmcnt(0) lgkmcnt(0)
	v_mul_f64 v[104:105], v[104:105], v[106:107]
	s_cbranch_execz .LBB49_160
	s_branch .LBB49_161
.LBB49_159:
                                        ; implicit-def: $vgpr104_vgpr105
.LBB49_160:
	ds_read_b64 v[104:105], v1
.LBB49_161:
	s_and_saveexec_b64 s[8:9], s[2:3]
	s_cbranch_execz .LBB49_165
; %bb.162:
	s_movk_i32 s26, 0x108
	v_subrev_u32_e32 v106, 33, v0
	s_movk_i32 s27, 0x298
	s_mov_b64 s[2:3], 0
.LBB49_163:                             ; =>This Inner Loop Header: Depth=1
	scratch_load_dwordx2 v[108:109], off, s26
	v_mov_b32_e32 v107, s27
	ds_read_b64 v[110:111], v107
	v_add_u32_e32 v106, -1, v106
	s_add_i32 s27, s27, 8
	s_add_i32 s26, s26, 8
	v_cmp_eq_u32_e32 vcc, 0, v106
	s_or_b64 s[2:3], vcc, s[2:3]
	s_waitcnt vmcnt(0) lgkmcnt(0)
	v_fmac_f64_e32 v[104:105], v[108:109], v[110:111]
	s_andn2_b64 exec, exec, s[2:3]
	s_cbranch_execnz .LBB49_163
; %bb.164:
	s_or_b64 exec, exec, s[2:3]
.LBB49_165:
	s_or_b64 exec, exec, s[8:9]
	v_mov_b32_e32 v106, 0
	ds_read_b64 v[106:107], v106 offset:256
	s_waitcnt lgkmcnt(0)
	v_mul_f64 v[104:105], v[104:105], v[106:107]
	scratch_store_dwordx2 off, v[104:105], off offset:256
.LBB49_166:
	s_or_b64 exec, exec, s[4:5]
	scratch_load_dwordx2 v[104:105], off, off offset:248
	v_cmp_lt_u32_e64 s[2:3], 31, v0
	s_waitcnt vmcnt(0)
	ds_write_b64 v1, v[104:105]
	s_waitcnt lgkmcnt(0)
	; wave barrier
	s_and_saveexec_b64 s[4:5], s[2:3]
	s_cbranch_execz .LBB49_176
; %bb.167:
	s_andn2_b64 vcc, exec, s[6:7]
	s_cbranch_vccnz .LBB49_169
; %bb.168:
	scratch_load_dwordx2 v[104:105], v17, off
	ds_read_b64 v[106:107], v1
	s_waitcnt vmcnt(0) lgkmcnt(0)
	v_mul_f64 v[104:105], v[104:105], v[106:107]
	s_cbranch_execz .LBB49_170
	s_branch .LBB49_171
.LBB49_169:
                                        ; implicit-def: $vgpr104_vgpr105
.LBB49_170:
	ds_read_b64 v[104:105], v1
.LBB49_171:
	s_and_saveexec_b64 s[8:9], s[0:1]
	s_cbranch_execz .LBB49_175
; %bb.172:
	v_subrev_u32_e32 v106, 32, v0
	s_movk_i32 s26, 0x290
	s_mov_b64 s[0:1], 0
.LBB49_173:                             ; =>This Inner Loop Header: Depth=1
	scratch_load_dwordx2 v[108:109], off, s25
	v_mov_b32_e32 v107, s26
	ds_read_b64 v[110:111], v107
	v_add_u32_e32 v106, -1, v106
	s_add_i32 s26, s26, 8
	s_add_i32 s25, s25, 8
	v_cmp_eq_u32_e32 vcc, 0, v106
	s_or_b64 s[0:1], vcc, s[0:1]
	s_waitcnt vmcnt(0) lgkmcnt(0)
	v_fmac_f64_e32 v[104:105], v[108:109], v[110:111]
	s_andn2_b64 exec, exec, s[0:1]
	s_cbranch_execnz .LBB49_173
; %bb.174:
	s_or_b64 exec, exec, s[0:1]
.LBB49_175:
	s_or_b64 exec, exec, s[8:9]
	v_mov_b32_e32 v106, 0
	ds_read_b64 v[106:107], v106 offset:248
	s_waitcnt lgkmcnt(0)
	v_mul_f64 v[104:105], v[104:105], v[106:107]
	scratch_store_dwordx2 off, v[104:105], off offset:248
.LBB49_176:
	s_or_b64 exec, exec, s[4:5]
	scratch_load_dwordx2 v[104:105], off, off offset:240
	v_cmp_lt_u32_e64 s[0:1], 30, v0
	s_waitcnt vmcnt(0)
	ds_write_b64 v1, v[104:105]
	s_waitcnt lgkmcnt(0)
	; wave barrier
	s_and_saveexec_b64 s[4:5], s[0:1]
	s_cbranch_execz .LBB49_186
; %bb.177:
	s_andn2_b64 vcc, exec, s[6:7]
	s_cbranch_vccnz .LBB49_179
; %bb.178:
	scratch_load_dwordx2 v[104:105], v17, off
	ds_read_b64 v[106:107], v1
	s_waitcnt vmcnt(0) lgkmcnt(0)
	v_mul_f64 v[104:105], v[104:105], v[106:107]
	s_cbranch_execz .LBB49_180
	s_branch .LBB49_181
.LBB49_179:
                                        ; implicit-def: $vgpr104_vgpr105
.LBB49_180:
	ds_read_b64 v[104:105], v1
.LBB49_181:
	s_and_saveexec_b64 s[8:9], s[2:3]
	s_cbranch_execz .LBB49_185
; %bb.182:
	s_movk_i32 s25, 0xf8
	v_subrev_u32_e32 v106, 31, v0
	s_movk_i32 s26, 0x288
	s_mov_b64 s[2:3], 0
.LBB49_183:                             ; =>This Inner Loop Header: Depth=1
	scratch_load_dwordx2 v[108:109], off, s25
	v_mov_b32_e32 v107, s26
	ds_read_b64 v[110:111], v107
	v_add_u32_e32 v106, -1, v106
	s_add_i32 s26, s26, 8
	s_add_i32 s25, s25, 8
	v_cmp_eq_u32_e32 vcc, 0, v106
	s_or_b64 s[2:3], vcc, s[2:3]
	s_waitcnt vmcnt(0) lgkmcnt(0)
	v_fmac_f64_e32 v[104:105], v[108:109], v[110:111]
	s_andn2_b64 exec, exec, s[2:3]
	s_cbranch_execnz .LBB49_183
; %bb.184:
	s_or_b64 exec, exec, s[2:3]
.LBB49_185:
	s_or_b64 exec, exec, s[8:9]
	v_mov_b32_e32 v106, 0
	ds_read_b64 v[106:107], v106 offset:240
	s_waitcnt lgkmcnt(0)
	v_mul_f64 v[104:105], v[104:105], v[106:107]
	scratch_store_dwordx2 off, v[104:105], off offset:240
.LBB49_186:
	s_or_b64 exec, exec, s[4:5]
	scratch_load_dwordx2 v[104:105], off, off offset:232
	v_cmp_lt_u32_e64 s[2:3], 29, v0
	s_waitcnt vmcnt(0)
	ds_write_b64 v1, v[104:105]
	s_waitcnt lgkmcnt(0)
	; wave barrier
	s_and_saveexec_b64 s[4:5], s[2:3]
	s_cbranch_execz .LBB49_196
; %bb.187:
	s_andn2_b64 vcc, exec, s[6:7]
	s_cbranch_vccnz .LBB49_189
; %bb.188:
	scratch_load_dwordx2 v[104:105], v17, off
	ds_read_b64 v[106:107], v1
	s_waitcnt vmcnt(0) lgkmcnt(0)
	v_mul_f64 v[104:105], v[104:105], v[106:107]
	s_cbranch_execz .LBB49_190
	s_branch .LBB49_191
.LBB49_189:
                                        ; implicit-def: $vgpr104_vgpr105
.LBB49_190:
	ds_read_b64 v[104:105], v1
.LBB49_191:
	s_and_saveexec_b64 s[8:9], s[0:1]
	s_cbranch_execz .LBB49_195
; %bb.192:
	v_subrev_u32_e32 v106, 30, v0
	s_movk_i32 s25, 0x280
	s_mov_b64 s[0:1], 0
.LBB49_193:                             ; =>This Inner Loop Header: Depth=1
	scratch_load_dwordx2 v[108:109], off, s24
	v_mov_b32_e32 v107, s25
	ds_read_b64 v[110:111], v107
	v_add_u32_e32 v106, -1, v106
	s_add_i32 s25, s25, 8
	s_add_i32 s24, s24, 8
	v_cmp_eq_u32_e32 vcc, 0, v106
	s_or_b64 s[0:1], vcc, s[0:1]
	s_waitcnt vmcnt(0) lgkmcnt(0)
	v_fmac_f64_e32 v[104:105], v[108:109], v[110:111]
	s_andn2_b64 exec, exec, s[0:1]
	s_cbranch_execnz .LBB49_193
; %bb.194:
	s_or_b64 exec, exec, s[0:1]
.LBB49_195:
	s_or_b64 exec, exec, s[8:9]
	v_mov_b32_e32 v106, 0
	ds_read_b64 v[106:107], v106 offset:232
	s_waitcnt lgkmcnt(0)
	v_mul_f64 v[104:105], v[104:105], v[106:107]
	scratch_store_dwordx2 off, v[104:105], off offset:232
.LBB49_196:
	s_or_b64 exec, exec, s[4:5]
	scratch_load_dwordx2 v[104:105], off, off offset:224
	v_cmp_lt_u32_e64 s[0:1], 28, v0
	s_waitcnt vmcnt(0)
	ds_write_b64 v1, v[104:105]
	s_waitcnt lgkmcnt(0)
	; wave barrier
	s_and_saveexec_b64 s[4:5], s[0:1]
	s_cbranch_execz .LBB49_206
; %bb.197:
	s_andn2_b64 vcc, exec, s[6:7]
	s_cbranch_vccnz .LBB49_199
; %bb.198:
	scratch_load_dwordx2 v[104:105], v17, off
	ds_read_b64 v[106:107], v1
	s_waitcnt vmcnt(0) lgkmcnt(0)
	v_mul_f64 v[104:105], v[104:105], v[106:107]
	s_cbranch_execz .LBB49_200
	s_branch .LBB49_201
.LBB49_199:
                                        ; implicit-def: $vgpr104_vgpr105
.LBB49_200:
	ds_read_b64 v[104:105], v1
.LBB49_201:
	s_and_saveexec_b64 s[8:9], s[2:3]
	s_cbranch_execz .LBB49_205
; %bb.202:
	s_movk_i32 s24, 0xe8
	v_subrev_u32_e32 v106, 29, v0
	s_movk_i32 s25, 0x278
	s_mov_b64 s[2:3], 0
.LBB49_203:                             ; =>This Inner Loop Header: Depth=1
	scratch_load_dwordx2 v[108:109], off, s24
	v_mov_b32_e32 v107, s25
	ds_read_b64 v[110:111], v107
	v_add_u32_e32 v106, -1, v106
	s_add_i32 s25, s25, 8
	s_add_i32 s24, s24, 8
	v_cmp_eq_u32_e32 vcc, 0, v106
	s_or_b64 s[2:3], vcc, s[2:3]
	s_waitcnt vmcnt(0) lgkmcnt(0)
	v_fmac_f64_e32 v[104:105], v[108:109], v[110:111]
	s_andn2_b64 exec, exec, s[2:3]
	s_cbranch_execnz .LBB49_203
; %bb.204:
	s_or_b64 exec, exec, s[2:3]
.LBB49_205:
	s_or_b64 exec, exec, s[8:9]
	v_mov_b32_e32 v106, 0
	ds_read_b64 v[106:107], v106 offset:224
	s_waitcnt lgkmcnt(0)
	v_mul_f64 v[104:105], v[104:105], v[106:107]
	scratch_store_dwordx2 off, v[104:105], off offset:224
.LBB49_206:
	s_or_b64 exec, exec, s[4:5]
	scratch_load_dwordx2 v[104:105], off, off offset:216
	v_cmp_lt_u32_e64 s[2:3], 27, v0
	s_waitcnt vmcnt(0)
	ds_write_b64 v1, v[104:105]
	s_waitcnt lgkmcnt(0)
	; wave barrier
	s_and_saveexec_b64 s[4:5], s[2:3]
	s_cbranch_execz .LBB49_216
; %bb.207:
	s_andn2_b64 vcc, exec, s[6:7]
	s_cbranch_vccnz .LBB49_209
; %bb.208:
	scratch_load_dwordx2 v[104:105], v17, off
	ds_read_b64 v[106:107], v1
	s_waitcnt vmcnt(0) lgkmcnt(0)
	v_mul_f64 v[104:105], v[104:105], v[106:107]
	s_cbranch_execz .LBB49_210
	s_branch .LBB49_211
.LBB49_209:
                                        ; implicit-def: $vgpr104_vgpr105
.LBB49_210:
	ds_read_b64 v[104:105], v1
.LBB49_211:
	s_and_saveexec_b64 s[8:9], s[0:1]
	s_cbranch_execz .LBB49_215
; %bb.212:
	v_subrev_u32_e32 v106, 28, v0
	s_movk_i32 s24, 0x270
	s_mov_b64 s[0:1], 0
.LBB49_213:                             ; =>This Inner Loop Header: Depth=1
	scratch_load_dwordx2 v[108:109], off, s23
	v_mov_b32_e32 v107, s24
	ds_read_b64 v[110:111], v107
	v_add_u32_e32 v106, -1, v106
	s_add_i32 s24, s24, 8
	s_add_i32 s23, s23, 8
	v_cmp_eq_u32_e32 vcc, 0, v106
	s_or_b64 s[0:1], vcc, s[0:1]
	s_waitcnt vmcnt(0) lgkmcnt(0)
	v_fmac_f64_e32 v[104:105], v[108:109], v[110:111]
	s_andn2_b64 exec, exec, s[0:1]
	s_cbranch_execnz .LBB49_213
; %bb.214:
	s_or_b64 exec, exec, s[0:1]
.LBB49_215:
	s_or_b64 exec, exec, s[8:9]
	v_mov_b32_e32 v106, 0
	ds_read_b64 v[106:107], v106 offset:216
	s_waitcnt lgkmcnt(0)
	v_mul_f64 v[104:105], v[104:105], v[106:107]
	scratch_store_dwordx2 off, v[104:105], off offset:216
.LBB49_216:
	s_or_b64 exec, exec, s[4:5]
	scratch_load_dwordx2 v[104:105], off, off offset:208
	v_cmp_lt_u32_e64 s[0:1], 26, v0
	s_waitcnt vmcnt(0)
	ds_write_b64 v1, v[104:105]
	s_waitcnt lgkmcnt(0)
	; wave barrier
	s_and_saveexec_b64 s[4:5], s[0:1]
	s_cbranch_execz .LBB49_226
; %bb.217:
	s_andn2_b64 vcc, exec, s[6:7]
	s_cbranch_vccnz .LBB49_219
; %bb.218:
	scratch_load_dwordx2 v[104:105], v17, off
	ds_read_b64 v[106:107], v1
	s_waitcnt vmcnt(0) lgkmcnt(0)
	v_mul_f64 v[104:105], v[104:105], v[106:107]
	s_cbranch_execz .LBB49_220
	s_branch .LBB49_221
.LBB49_219:
                                        ; implicit-def: $vgpr104_vgpr105
.LBB49_220:
	ds_read_b64 v[104:105], v1
.LBB49_221:
	s_and_saveexec_b64 s[8:9], s[2:3]
	s_cbranch_execz .LBB49_225
; %bb.222:
	s_movk_i32 s23, 0xd8
	v_subrev_u32_e32 v106, 27, v0
	s_movk_i32 s24, 0x268
	s_mov_b64 s[2:3], 0
.LBB49_223:                             ; =>This Inner Loop Header: Depth=1
	scratch_load_dwordx2 v[108:109], off, s23
	v_mov_b32_e32 v107, s24
	ds_read_b64 v[110:111], v107
	v_add_u32_e32 v106, -1, v106
	s_add_i32 s24, s24, 8
	s_add_i32 s23, s23, 8
	v_cmp_eq_u32_e32 vcc, 0, v106
	s_or_b64 s[2:3], vcc, s[2:3]
	s_waitcnt vmcnt(0) lgkmcnt(0)
	v_fmac_f64_e32 v[104:105], v[108:109], v[110:111]
	s_andn2_b64 exec, exec, s[2:3]
	s_cbranch_execnz .LBB49_223
; %bb.224:
	s_or_b64 exec, exec, s[2:3]
.LBB49_225:
	s_or_b64 exec, exec, s[8:9]
	v_mov_b32_e32 v106, 0
	ds_read_b64 v[106:107], v106 offset:208
	s_waitcnt lgkmcnt(0)
	v_mul_f64 v[104:105], v[104:105], v[106:107]
	scratch_store_dwordx2 off, v[104:105], off offset:208
.LBB49_226:
	s_or_b64 exec, exec, s[4:5]
	scratch_load_dwordx2 v[104:105], off, off offset:200
	v_cmp_lt_u32_e64 s[2:3], 25, v0
	s_waitcnt vmcnt(0)
	ds_write_b64 v1, v[104:105]
	s_waitcnt lgkmcnt(0)
	; wave barrier
	s_and_saveexec_b64 s[4:5], s[2:3]
	s_cbranch_execz .LBB49_236
; %bb.227:
	s_andn2_b64 vcc, exec, s[6:7]
	s_cbranch_vccnz .LBB49_229
; %bb.228:
	scratch_load_dwordx2 v[104:105], v17, off
	ds_read_b64 v[106:107], v1
	s_waitcnt vmcnt(0) lgkmcnt(0)
	v_mul_f64 v[104:105], v[104:105], v[106:107]
	s_cbranch_execz .LBB49_230
	s_branch .LBB49_231
.LBB49_229:
                                        ; implicit-def: $vgpr104_vgpr105
.LBB49_230:
	ds_read_b64 v[104:105], v1
.LBB49_231:
	s_and_saveexec_b64 s[8:9], s[0:1]
	s_cbranch_execz .LBB49_235
; %bb.232:
	v_subrev_u32_e32 v106, 26, v0
	s_movk_i32 s23, 0x260
	s_mov_b64 s[0:1], 0
.LBB49_233:                             ; =>This Inner Loop Header: Depth=1
	scratch_load_dwordx2 v[108:109], off, s22
	v_mov_b32_e32 v107, s23
	ds_read_b64 v[110:111], v107
	v_add_u32_e32 v106, -1, v106
	s_add_i32 s23, s23, 8
	s_add_i32 s22, s22, 8
	v_cmp_eq_u32_e32 vcc, 0, v106
	s_or_b64 s[0:1], vcc, s[0:1]
	s_waitcnt vmcnt(0) lgkmcnt(0)
	v_fmac_f64_e32 v[104:105], v[108:109], v[110:111]
	s_andn2_b64 exec, exec, s[0:1]
	s_cbranch_execnz .LBB49_233
; %bb.234:
	s_or_b64 exec, exec, s[0:1]
.LBB49_235:
	s_or_b64 exec, exec, s[8:9]
	v_mov_b32_e32 v106, 0
	ds_read_b64 v[106:107], v106 offset:200
	s_waitcnt lgkmcnt(0)
	v_mul_f64 v[104:105], v[104:105], v[106:107]
	scratch_store_dwordx2 off, v[104:105], off offset:200
.LBB49_236:
	s_or_b64 exec, exec, s[4:5]
	scratch_load_dwordx2 v[104:105], off, off offset:192
	v_cmp_lt_u32_e64 s[0:1], 24, v0
	s_waitcnt vmcnt(0)
	ds_write_b64 v1, v[104:105]
	s_waitcnt lgkmcnt(0)
	; wave barrier
	s_and_saveexec_b64 s[4:5], s[0:1]
	s_cbranch_execz .LBB49_246
; %bb.237:
	s_andn2_b64 vcc, exec, s[6:7]
	s_cbranch_vccnz .LBB49_239
; %bb.238:
	scratch_load_dwordx2 v[104:105], v17, off
	ds_read_b64 v[106:107], v1
	s_waitcnt vmcnt(0) lgkmcnt(0)
	v_mul_f64 v[104:105], v[104:105], v[106:107]
	s_cbranch_execz .LBB49_240
	s_branch .LBB49_241
.LBB49_239:
                                        ; implicit-def: $vgpr104_vgpr105
.LBB49_240:
	ds_read_b64 v[104:105], v1
.LBB49_241:
	s_and_saveexec_b64 s[8:9], s[2:3]
	s_cbranch_execz .LBB49_245
; %bb.242:
	s_movk_i32 s22, 0xc8
	v_subrev_u32_e32 v106, 25, v0
	s_movk_i32 s23, 0x258
	s_mov_b64 s[2:3], 0
.LBB49_243:                             ; =>This Inner Loop Header: Depth=1
	scratch_load_dwordx2 v[108:109], off, s22
	v_mov_b32_e32 v107, s23
	ds_read_b64 v[110:111], v107
	v_add_u32_e32 v106, -1, v106
	s_add_i32 s23, s23, 8
	s_add_i32 s22, s22, 8
	v_cmp_eq_u32_e32 vcc, 0, v106
	s_or_b64 s[2:3], vcc, s[2:3]
	s_waitcnt vmcnt(0) lgkmcnt(0)
	v_fmac_f64_e32 v[104:105], v[108:109], v[110:111]
	s_andn2_b64 exec, exec, s[2:3]
	s_cbranch_execnz .LBB49_243
; %bb.244:
	s_or_b64 exec, exec, s[2:3]
.LBB49_245:
	s_or_b64 exec, exec, s[8:9]
	v_mov_b32_e32 v106, 0
	ds_read_b64 v[106:107], v106 offset:192
	s_waitcnt lgkmcnt(0)
	v_mul_f64 v[104:105], v[104:105], v[106:107]
	scratch_store_dwordx2 off, v[104:105], off offset:192
.LBB49_246:
	s_or_b64 exec, exec, s[4:5]
	scratch_load_dwordx2 v[104:105], off, off offset:184
	v_cmp_lt_u32_e64 s[2:3], 23, v0
	s_waitcnt vmcnt(0)
	ds_write_b64 v1, v[104:105]
	s_waitcnt lgkmcnt(0)
	; wave barrier
	s_and_saveexec_b64 s[4:5], s[2:3]
	s_cbranch_execz .LBB49_256
; %bb.247:
	s_andn2_b64 vcc, exec, s[6:7]
	s_cbranch_vccnz .LBB49_249
; %bb.248:
	scratch_load_dwordx2 v[104:105], v17, off
	ds_read_b64 v[106:107], v1
	s_waitcnt vmcnt(0) lgkmcnt(0)
	v_mul_f64 v[104:105], v[104:105], v[106:107]
	s_cbranch_execz .LBB49_250
	s_branch .LBB49_251
.LBB49_249:
                                        ; implicit-def: $vgpr104_vgpr105
.LBB49_250:
	ds_read_b64 v[104:105], v1
.LBB49_251:
	s_and_saveexec_b64 s[8:9], s[0:1]
	s_cbranch_execz .LBB49_255
; %bb.252:
	v_subrev_u32_e32 v106, 24, v0
	s_movk_i32 s22, 0x250
	s_mov_b64 s[0:1], 0
.LBB49_253:                             ; =>This Inner Loop Header: Depth=1
	scratch_load_dwordx2 v[108:109], off, s21
	v_mov_b32_e32 v107, s22
	ds_read_b64 v[110:111], v107
	v_add_u32_e32 v106, -1, v106
	s_add_i32 s22, s22, 8
	s_add_i32 s21, s21, 8
	v_cmp_eq_u32_e32 vcc, 0, v106
	s_or_b64 s[0:1], vcc, s[0:1]
	s_waitcnt vmcnt(0) lgkmcnt(0)
	v_fmac_f64_e32 v[104:105], v[108:109], v[110:111]
	s_andn2_b64 exec, exec, s[0:1]
	s_cbranch_execnz .LBB49_253
; %bb.254:
	s_or_b64 exec, exec, s[0:1]
.LBB49_255:
	s_or_b64 exec, exec, s[8:9]
	v_mov_b32_e32 v106, 0
	ds_read_b64 v[106:107], v106 offset:184
	s_waitcnt lgkmcnt(0)
	v_mul_f64 v[104:105], v[104:105], v[106:107]
	scratch_store_dwordx2 off, v[104:105], off offset:184
.LBB49_256:
	s_or_b64 exec, exec, s[4:5]
	scratch_load_dwordx2 v[104:105], off, off offset:176
	v_cmp_lt_u32_e64 s[0:1], 22, v0
	s_waitcnt vmcnt(0)
	ds_write_b64 v1, v[104:105]
	s_waitcnt lgkmcnt(0)
	; wave barrier
	s_and_saveexec_b64 s[4:5], s[0:1]
	s_cbranch_execz .LBB49_266
; %bb.257:
	s_andn2_b64 vcc, exec, s[6:7]
	s_cbranch_vccnz .LBB49_259
; %bb.258:
	scratch_load_dwordx2 v[104:105], v17, off
	ds_read_b64 v[106:107], v1
	s_waitcnt vmcnt(0) lgkmcnt(0)
	v_mul_f64 v[104:105], v[104:105], v[106:107]
	s_cbranch_execz .LBB49_260
	s_branch .LBB49_261
.LBB49_259:
                                        ; implicit-def: $vgpr104_vgpr105
.LBB49_260:
	ds_read_b64 v[104:105], v1
.LBB49_261:
	s_and_saveexec_b64 s[8:9], s[2:3]
	s_cbranch_execz .LBB49_265
; %bb.262:
	s_movk_i32 s21, 0xb8
	v_subrev_u32_e32 v106, 23, v0
	s_movk_i32 s22, 0x248
	s_mov_b64 s[2:3], 0
.LBB49_263:                             ; =>This Inner Loop Header: Depth=1
	scratch_load_dwordx2 v[108:109], off, s21
	v_mov_b32_e32 v107, s22
	ds_read_b64 v[110:111], v107
	v_add_u32_e32 v106, -1, v106
	s_add_i32 s22, s22, 8
	s_add_i32 s21, s21, 8
	v_cmp_eq_u32_e32 vcc, 0, v106
	s_or_b64 s[2:3], vcc, s[2:3]
	s_waitcnt vmcnt(0) lgkmcnt(0)
	v_fmac_f64_e32 v[104:105], v[108:109], v[110:111]
	s_andn2_b64 exec, exec, s[2:3]
	s_cbranch_execnz .LBB49_263
; %bb.264:
	s_or_b64 exec, exec, s[2:3]
.LBB49_265:
	s_or_b64 exec, exec, s[8:9]
	v_mov_b32_e32 v106, 0
	ds_read_b64 v[106:107], v106 offset:176
	s_waitcnt lgkmcnt(0)
	v_mul_f64 v[104:105], v[104:105], v[106:107]
	scratch_store_dwordx2 off, v[104:105], off offset:176
.LBB49_266:
	s_or_b64 exec, exec, s[4:5]
	scratch_load_dwordx2 v[104:105], off, off offset:168
	v_cmp_lt_u32_e64 s[2:3], 21, v0
	s_waitcnt vmcnt(0)
	ds_write_b64 v1, v[104:105]
	s_waitcnt lgkmcnt(0)
	; wave barrier
	s_and_saveexec_b64 s[4:5], s[2:3]
	s_cbranch_execz .LBB49_276
; %bb.267:
	s_andn2_b64 vcc, exec, s[6:7]
	s_cbranch_vccnz .LBB49_269
; %bb.268:
	scratch_load_dwordx2 v[104:105], v17, off
	ds_read_b64 v[106:107], v1
	s_waitcnt vmcnt(0) lgkmcnt(0)
	v_mul_f64 v[104:105], v[104:105], v[106:107]
	s_cbranch_execz .LBB49_270
	s_branch .LBB49_271
.LBB49_269:
                                        ; implicit-def: $vgpr104_vgpr105
.LBB49_270:
	ds_read_b64 v[104:105], v1
.LBB49_271:
	s_and_saveexec_b64 s[8:9], s[0:1]
	s_cbranch_execz .LBB49_275
; %bb.272:
	v_subrev_u32_e32 v106, 22, v0
	s_movk_i32 s21, 0x240
	s_mov_b64 s[0:1], 0
.LBB49_273:                             ; =>This Inner Loop Header: Depth=1
	scratch_load_dwordx2 v[108:109], off, s20
	v_mov_b32_e32 v107, s21
	ds_read_b64 v[110:111], v107
	v_add_u32_e32 v106, -1, v106
	s_add_i32 s21, s21, 8
	s_add_i32 s20, s20, 8
	v_cmp_eq_u32_e32 vcc, 0, v106
	s_or_b64 s[0:1], vcc, s[0:1]
	s_waitcnt vmcnt(0) lgkmcnt(0)
	v_fmac_f64_e32 v[104:105], v[108:109], v[110:111]
	s_andn2_b64 exec, exec, s[0:1]
	s_cbranch_execnz .LBB49_273
; %bb.274:
	s_or_b64 exec, exec, s[0:1]
.LBB49_275:
	s_or_b64 exec, exec, s[8:9]
	v_mov_b32_e32 v106, 0
	ds_read_b64 v[106:107], v106 offset:168
	s_waitcnt lgkmcnt(0)
	v_mul_f64 v[104:105], v[104:105], v[106:107]
	scratch_store_dwordx2 off, v[104:105], off offset:168
.LBB49_276:
	s_or_b64 exec, exec, s[4:5]
	scratch_load_dwordx2 v[104:105], off, off offset:160
	v_cmp_lt_u32_e64 s[0:1], 20, v0
	s_waitcnt vmcnt(0)
	ds_write_b64 v1, v[104:105]
	s_waitcnt lgkmcnt(0)
	; wave barrier
	s_and_saveexec_b64 s[4:5], s[0:1]
	s_cbranch_execz .LBB49_286
; %bb.277:
	s_andn2_b64 vcc, exec, s[6:7]
	s_cbranch_vccnz .LBB49_279
; %bb.278:
	scratch_load_dwordx2 v[104:105], v17, off
	ds_read_b64 v[106:107], v1
	s_waitcnt vmcnt(0) lgkmcnt(0)
	v_mul_f64 v[104:105], v[104:105], v[106:107]
	s_cbranch_execz .LBB49_280
	s_branch .LBB49_281
.LBB49_279:
                                        ; implicit-def: $vgpr104_vgpr105
.LBB49_280:
	ds_read_b64 v[104:105], v1
.LBB49_281:
	s_and_saveexec_b64 s[8:9], s[2:3]
	s_cbranch_execz .LBB49_285
; %bb.282:
	s_movk_i32 s20, 0xa8
	v_subrev_u32_e32 v106, 21, v0
	s_movk_i32 s21, 0x238
	s_mov_b64 s[2:3], 0
.LBB49_283:                             ; =>This Inner Loop Header: Depth=1
	scratch_load_dwordx2 v[108:109], off, s20
	v_mov_b32_e32 v107, s21
	ds_read_b64 v[110:111], v107
	v_add_u32_e32 v106, -1, v106
	s_add_i32 s21, s21, 8
	s_add_i32 s20, s20, 8
	v_cmp_eq_u32_e32 vcc, 0, v106
	s_or_b64 s[2:3], vcc, s[2:3]
	s_waitcnt vmcnt(0) lgkmcnt(0)
	v_fmac_f64_e32 v[104:105], v[108:109], v[110:111]
	s_andn2_b64 exec, exec, s[2:3]
	s_cbranch_execnz .LBB49_283
; %bb.284:
	s_or_b64 exec, exec, s[2:3]
.LBB49_285:
	s_or_b64 exec, exec, s[8:9]
	v_mov_b32_e32 v106, 0
	ds_read_b64 v[106:107], v106 offset:160
	s_waitcnt lgkmcnt(0)
	v_mul_f64 v[104:105], v[104:105], v[106:107]
	scratch_store_dwordx2 off, v[104:105], off offset:160
.LBB49_286:
	s_or_b64 exec, exec, s[4:5]
	scratch_load_dwordx2 v[104:105], off, off offset:152
	v_cmp_lt_u32_e64 s[2:3], 19, v0
	s_waitcnt vmcnt(0)
	ds_write_b64 v1, v[104:105]
	s_waitcnt lgkmcnt(0)
	; wave barrier
	s_and_saveexec_b64 s[4:5], s[2:3]
	s_cbranch_execz .LBB49_296
; %bb.287:
	s_andn2_b64 vcc, exec, s[6:7]
	s_cbranch_vccnz .LBB49_289
; %bb.288:
	scratch_load_dwordx2 v[104:105], v17, off
	ds_read_b64 v[106:107], v1
	s_waitcnt vmcnt(0) lgkmcnt(0)
	v_mul_f64 v[104:105], v[104:105], v[106:107]
	s_cbranch_execz .LBB49_290
	s_branch .LBB49_291
.LBB49_289:
                                        ; implicit-def: $vgpr104_vgpr105
.LBB49_290:
	ds_read_b64 v[104:105], v1
.LBB49_291:
	s_and_saveexec_b64 s[8:9], s[0:1]
	s_cbranch_execz .LBB49_295
; %bb.292:
	v_subrev_u32_e32 v106, 20, v0
	s_movk_i32 s20, 0x230
	s_mov_b64 s[0:1], 0
.LBB49_293:                             ; =>This Inner Loop Header: Depth=1
	scratch_load_dwordx2 v[108:109], off, s19
	v_mov_b32_e32 v107, s20
	ds_read_b64 v[110:111], v107
	v_add_u32_e32 v106, -1, v106
	s_add_i32 s20, s20, 8
	s_add_i32 s19, s19, 8
	v_cmp_eq_u32_e32 vcc, 0, v106
	s_or_b64 s[0:1], vcc, s[0:1]
	s_waitcnt vmcnt(0) lgkmcnt(0)
	v_fmac_f64_e32 v[104:105], v[108:109], v[110:111]
	s_andn2_b64 exec, exec, s[0:1]
	s_cbranch_execnz .LBB49_293
; %bb.294:
	s_or_b64 exec, exec, s[0:1]
.LBB49_295:
	s_or_b64 exec, exec, s[8:9]
	v_mov_b32_e32 v106, 0
	ds_read_b64 v[106:107], v106 offset:152
	s_waitcnt lgkmcnt(0)
	v_mul_f64 v[104:105], v[104:105], v[106:107]
	scratch_store_dwordx2 off, v[104:105], off offset:152
.LBB49_296:
	s_or_b64 exec, exec, s[4:5]
	scratch_load_dwordx2 v[104:105], off, off offset:144
	v_cmp_lt_u32_e64 s[0:1], 18, v0
	s_waitcnt vmcnt(0)
	ds_write_b64 v1, v[104:105]
	s_waitcnt lgkmcnt(0)
	; wave barrier
	s_and_saveexec_b64 s[4:5], s[0:1]
	s_cbranch_execz .LBB49_306
; %bb.297:
	s_andn2_b64 vcc, exec, s[6:7]
	s_cbranch_vccnz .LBB49_299
; %bb.298:
	scratch_load_dwordx2 v[104:105], v17, off
	ds_read_b64 v[106:107], v1
	s_waitcnt vmcnt(0) lgkmcnt(0)
	v_mul_f64 v[104:105], v[104:105], v[106:107]
	s_cbranch_execz .LBB49_300
	s_branch .LBB49_301
.LBB49_299:
                                        ; implicit-def: $vgpr104_vgpr105
.LBB49_300:
	ds_read_b64 v[104:105], v1
.LBB49_301:
	s_and_saveexec_b64 s[8:9], s[2:3]
	s_cbranch_execz .LBB49_305
; %bb.302:
	s_movk_i32 s19, 0x98
	v_subrev_u32_e32 v106, 19, v0
	s_movk_i32 s20, 0x228
	s_mov_b64 s[2:3], 0
.LBB49_303:                             ; =>This Inner Loop Header: Depth=1
	scratch_load_dwordx2 v[108:109], off, s19
	v_mov_b32_e32 v107, s20
	ds_read_b64 v[110:111], v107
	v_add_u32_e32 v106, -1, v106
	s_add_i32 s20, s20, 8
	s_add_i32 s19, s19, 8
	v_cmp_eq_u32_e32 vcc, 0, v106
	s_or_b64 s[2:3], vcc, s[2:3]
	s_waitcnt vmcnt(0) lgkmcnt(0)
	v_fmac_f64_e32 v[104:105], v[108:109], v[110:111]
	s_andn2_b64 exec, exec, s[2:3]
	s_cbranch_execnz .LBB49_303
; %bb.304:
	s_or_b64 exec, exec, s[2:3]
.LBB49_305:
	s_or_b64 exec, exec, s[8:9]
	v_mov_b32_e32 v106, 0
	ds_read_b64 v[106:107], v106 offset:144
	s_waitcnt lgkmcnt(0)
	v_mul_f64 v[104:105], v[104:105], v[106:107]
	scratch_store_dwordx2 off, v[104:105], off offset:144
.LBB49_306:
	s_or_b64 exec, exec, s[4:5]
	scratch_load_dwordx2 v[104:105], off, off offset:136
	v_cmp_lt_u32_e64 s[2:3], 17, v0
	s_waitcnt vmcnt(0)
	ds_write_b64 v1, v[104:105]
	s_waitcnt lgkmcnt(0)
	; wave barrier
	s_and_saveexec_b64 s[4:5], s[2:3]
	s_cbranch_execz .LBB49_316
; %bb.307:
	s_andn2_b64 vcc, exec, s[6:7]
	s_cbranch_vccnz .LBB49_309
; %bb.308:
	scratch_load_dwordx2 v[104:105], v17, off
	ds_read_b64 v[106:107], v1
	s_waitcnt vmcnt(0) lgkmcnt(0)
	v_mul_f64 v[104:105], v[104:105], v[106:107]
	s_cbranch_execz .LBB49_310
	s_branch .LBB49_311
.LBB49_309:
                                        ; implicit-def: $vgpr104_vgpr105
.LBB49_310:
	ds_read_b64 v[104:105], v1
.LBB49_311:
	s_and_saveexec_b64 s[8:9], s[0:1]
	s_cbranch_execz .LBB49_315
; %bb.312:
	v_subrev_u32_e32 v106, 18, v0
	s_movk_i32 s19, 0x220
	s_mov_b64 s[0:1], 0
.LBB49_313:                             ; =>This Inner Loop Header: Depth=1
	scratch_load_dwordx2 v[108:109], off, s18
	v_mov_b32_e32 v107, s19
	ds_read_b64 v[110:111], v107
	v_add_u32_e32 v106, -1, v106
	s_add_i32 s19, s19, 8
	s_add_i32 s18, s18, 8
	v_cmp_eq_u32_e32 vcc, 0, v106
	s_or_b64 s[0:1], vcc, s[0:1]
	s_waitcnt vmcnt(0) lgkmcnt(0)
	v_fmac_f64_e32 v[104:105], v[108:109], v[110:111]
	s_andn2_b64 exec, exec, s[0:1]
	s_cbranch_execnz .LBB49_313
; %bb.314:
	s_or_b64 exec, exec, s[0:1]
.LBB49_315:
	s_or_b64 exec, exec, s[8:9]
	v_mov_b32_e32 v106, 0
	ds_read_b64 v[106:107], v106 offset:136
	s_waitcnt lgkmcnt(0)
	v_mul_f64 v[104:105], v[104:105], v[106:107]
	scratch_store_dwordx2 off, v[104:105], off offset:136
.LBB49_316:
	s_or_b64 exec, exec, s[4:5]
	scratch_load_dwordx2 v[104:105], off, off offset:128
	v_cmp_lt_u32_e64 s[0:1], 16, v0
	s_waitcnt vmcnt(0)
	ds_write_b64 v1, v[104:105]
	s_waitcnt lgkmcnt(0)
	; wave barrier
	s_and_saveexec_b64 s[4:5], s[0:1]
	s_cbranch_execz .LBB49_326
; %bb.317:
	s_andn2_b64 vcc, exec, s[6:7]
	s_cbranch_vccnz .LBB49_319
; %bb.318:
	scratch_load_dwordx2 v[104:105], v17, off
	ds_read_b64 v[106:107], v1
	s_waitcnt vmcnt(0) lgkmcnt(0)
	v_mul_f64 v[104:105], v[104:105], v[106:107]
	s_cbranch_execz .LBB49_320
	s_branch .LBB49_321
.LBB49_319:
                                        ; implicit-def: $vgpr104_vgpr105
.LBB49_320:
	ds_read_b64 v[104:105], v1
.LBB49_321:
	s_and_saveexec_b64 s[8:9], s[2:3]
	s_cbranch_execz .LBB49_325
; %bb.322:
	s_movk_i32 s18, 0x88
	v_subrev_u32_e32 v106, 17, v0
	s_movk_i32 s19, 0x218
	s_mov_b64 s[2:3], 0
.LBB49_323:                             ; =>This Inner Loop Header: Depth=1
	scratch_load_dwordx2 v[108:109], off, s18
	v_mov_b32_e32 v107, s19
	ds_read_b64 v[110:111], v107
	v_add_u32_e32 v106, -1, v106
	s_add_i32 s19, s19, 8
	s_add_i32 s18, s18, 8
	v_cmp_eq_u32_e32 vcc, 0, v106
	s_or_b64 s[2:3], vcc, s[2:3]
	s_waitcnt vmcnt(0) lgkmcnt(0)
	v_fmac_f64_e32 v[104:105], v[108:109], v[110:111]
	s_andn2_b64 exec, exec, s[2:3]
	s_cbranch_execnz .LBB49_323
; %bb.324:
	s_or_b64 exec, exec, s[2:3]
.LBB49_325:
	s_or_b64 exec, exec, s[8:9]
	v_mov_b32_e32 v106, 0
	ds_read_b64 v[106:107], v106 offset:128
	s_waitcnt lgkmcnt(0)
	v_mul_f64 v[104:105], v[104:105], v[106:107]
	scratch_store_dwordx2 off, v[104:105], off offset:128
.LBB49_326:
	s_or_b64 exec, exec, s[4:5]
	scratch_load_dwordx2 v[104:105], off, off offset:120
	v_cmp_lt_u32_e64 s[2:3], 15, v0
	s_waitcnt vmcnt(0)
	ds_write_b64 v1, v[104:105]
	s_waitcnt lgkmcnt(0)
	; wave barrier
	s_and_saveexec_b64 s[4:5], s[2:3]
	s_cbranch_execz .LBB49_336
; %bb.327:
	s_andn2_b64 vcc, exec, s[6:7]
	s_cbranch_vccnz .LBB49_329
; %bb.328:
	scratch_load_dwordx2 v[104:105], v17, off
	ds_read_b64 v[106:107], v1
	s_waitcnt vmcnt(0) lgkmcnt(0)
	v_mul_f64 v[104:105], v[104:105], v[106:107]
	s_cbranch_execz .LBB49_330
	s_branch .LBB49_331
.LBB49_329:
                                        ; implicit-def: $vgpr104_vgpr105
.LBB49_330:
	ds_read_b64 v[104:105], v1
.LBB49_331:
	s_and_saveexec_b64 s[8:9], s[0:1]
	s_cbranch_execz .LBB49_335
; %bb.332:
	v_add_u32_e32 v106, -16, v0
	s_movk_i32 s18, 0x210
	s_mov_b64 s[0:1], 0
.LBB49_333:                             ; =>This Inner Loop Header: Depth=1
	scratch_load_dwordx2 v[108:109], off, s17
	v_mov_b32_e32 v107, s18
	ds_read_b64 v[110:111], v107
	v_add_u32_e32 v106, -1, v106
	s_add_i32 s18, s18, 8
	s_add_i32 s17, s17, 8
	v_cmp_eq_u32_e32 vcc, 0, v106
	s_or_b64 s[0:1], vcc, s[0:1]
	s_waitcnt vmcnt(0) lgkmcnt(0)
	v_fmac_f64_e32 v[104:105], v[108:109], v[110:111]
	s_andn2_b64 exec, exec, s[0:1]
	s_cbranch_execnz .LBB49_333
; %bb.334:
	s_or_b64 exec, exec, s[0:1]
.LBB49_335:
	s_or_b64 exec, exec, s[8:9]
	v_mov_b32_e32 v106, 0
	ds_read_b64 v[106:107], v106 offset:120
	s_waitcnt lgkmcnt(0)
	v_mul_f64 v[104:105], v[104:105], v[106:107]
	scratch_store_dwordx2 off, v[104:105], off offset:120
.LBB49_336:
	s_or_b64 exec, exec, s[4:5]
	scratch_load_dwordx2 v[104:105], off, off offset:112
	v_cmp_lt_u32_e64 s[0:1], 14, v0
	s_waitcnt vmcnt(0)
	ds_write_b64 v1, v[104:105]
	s_waitcnt lgkmcnt(0)
	; wave barrier
	s_and_saveexec_b64 s[4:5], s[0:1]
	s_cbranch_execz .LBB49_346
; %bb.337:
	s_andn2_b64 vcc, exec, s[6:7]
	s_cbranch_vccnz .LBB49_339
; %bb.338:
	scratch_load_dwordx2 v[104:105], v17, off
	ds_read_b64 v[106:107], v1
	s_waitcnt vmcnt(0) lgkmcnt(0)
	v_mul_f64 v[104:105], v[104:105], v[106:107]
	s_cbranch_execz .LBB49_340
	s_branch .LBB49_341
.LBB49_339:
                                        ; implicit-def: $vgpr104_vgpr105
.LBB49_340:
	ds_read_b64 v[104:105], v1
.LBB49_341:
	s_and_saveexec_b64 s[8:9], s[2:3]
	s_cbranch_execz .LBB49_345
; %bb.342:
	s_movk_i32 s17, 0x78
	v_add_u32_e32 v106, -15, v0
	s_movk_i32 s18, 0x208
	s_mov_b64 s[2:3], 0
.LBB49_343:                             ; =>This Inner Loop Header: Depth=1
	scratch_load_dwordx2 v[108:109], off, s17
	v_mov_b32_e32 v107, s18
	ds_read_b64 v[110:111], v107
	v_add_u32_e32 v106, -1, v106
	s_add_i32 s18, s18, 8
	s_add_i32 s17, s17, 8
	v_cmp_eq_u32_e32 vcc, 0, v106
	s_or_b64 s[2:3], vcc, s[2:3]
	s_waitcnt vmcnt(0) lgkmcnt(0)
	v_fmac_f64_e32 v[104:105], v[108:109], v[110:111]
	s_andn2_b64 exec, exec, s[2:3]
	s_cbranch_execnz .LBB49_343
; %bb.344:
	s_or_b64 exec, exec, s[2:3]
.LBB49_345:
	s_or_b64 exec, exec, s[8:9]
	v_mov_b32_e32 v106, 0
	ds_read_b64 v[106:107], v106 offset:112
	s_waitcnt lgkmcnt(0)
	v_mul_f64 v[104:105], v[104:105], v[106:107]
	scratch_store_dwordx2 off, v[104:105], off offset:112
.LBB49_346:
	s_or_b64 exec, exec, s[4:5]
	scratch_load_dwordx2 v[104:105], off, off offset:104
	v_cmp_lt_u32_e64 s[2:3], 13, v0
	s_waitcnt vmcnt(0)
	ds_write_b64 v1, v[104:105]
	s_waitcnt lgkmcnt(0)
	; wave barrier
	s_and_saveexec_b64 s[4:5], s[2:3]
	s_cbranch_execz .LBB49_356
; %bb.347:
	s_andn2_b64 vcc, exec, s[6:7]
	s_cbranch_vccnz .LBB49_349
; %bb.348:
	scratch_load_dwordx2 v[104:105], v17, off
	ds_read_b64 v[106:107], v1
	s_waitcnt vmcnt(0) lgkmcnt(0)
	v_mul_f64 v[104:105], v[104:105], v[106:107]
	s_cbranch_execz .LBB49_350
	s_branch .LBB49_351
.LBB49_349:
                                        ; implicit-def: $vgpr104_vgpr105
.LBB49_350:
	ds_read_b64 v[104:105], v1
.LBB49_351:
	s_and_saveexec_b64 s[8:9], s[0:1]
	s_cbranch_execz .LBB49_355
; %bb.352:
	v_add_u32_e32 v106, -14, v0
	s_movk_i32 s17, 0x200
	s_mov_b64 s[0:1], 0
.LBB49_353:                             ; =>This Inner Loop Header: Depth=1
	scratch_load_dwordx2 v[108:109], off, s16
	v_mov_b32_e32 v107, s17
	ds_read_b64 v[110:111], v107
	v_add_u32_e32 v106, -1, v106
	s_add_i32 s17, s17, 8
	s_add_i32 s16, s16, 8
	v_cmp_eq_u32_e32 vcc, 0, v106
	s_or_b64 s[0:1], vcc, s[0:1]
	s_waitcnt vmcnt(0) lgkmcnt(0)
	v_fmac_f64_e32 v[104:105], v[108:109], v[110:111]
	s_andn2_b64 exec, exec, s[0:1]
	s_cbranch_execnz .LBB49_353
; %bb.354:
	s_or_b64 exec, exec, s[0:1]
.LBB49_355:
	s_or_b64 exec, exec, s[8:9]
	v_mov_b32_e32 v106, 0
	ds_read_b64 v[106:107], v106 offset:104
	s_waitcnt lgkmcnt(0)
	v_mul_f64 v[104:105], v[104:105], v[106:107]
	scratch_store_dwordx2 off, v[104:105], off offset:104
.LBB49_356:
	s_or_b64 exec, exec, s[4:5]
	scratch_load_dwordx2 v[104:105], off, off offset:96
	v_cmp_lt_u32_e64 s[0:1], 12, v0
	s_waitcnt vmcnt(0)
	ds_write_b64 v1, v[104:105]
	s_waitcnt lgkmcnt(0)
	; wave barrier
	s_and_saveexec_b64 s[4:5], s[0:1]
	s_cbranch_execz .LBB49_366
; %bb.357:
	s_andn2_b64 vcc, exec, s[6:7]
	s_cbranch_vccnz .LBB49_359
; %bb.358:
	scratch_load_dwordx2 v[104:105], v17, off
	ds_read_b64 v[106:107], v1
	s_waitcnt vmcnt(0) lgkmcnt(0)
	v_mul_f64 v[104:105], v[104:105], v[106:107]
	s_cbranch_execz .LBB49_360
	s_branch .LBB49_361
.LBB49_359:
                                        ; implicit-def: $vgpr104_vgpr105
.LBB49_360:
	ds_read_b64 v[104:105], v1
.LBB49_361:
	s_and_saveexec_b64 s[8:9], s[2:3]
	s_cbranch_execz .LBB49_365
; %bb.362:
	s_movk_i32 s16, 0x68
	v_add_u32_e32 v106, -13, v0
	s_movk_i32 s17, 0x1f8
	s_mov_b64 s[2:3], 0
.LBB49_363:                             ; =>This Inner Loop Header: Depth=1
	scratch_load_dwordx2 v[108:109], off, s16
	v_mov_b32_e32 v107, s17
	ds_read_b64 v[110:111], v107
	v_add_u32_e32 v106, -1, v106
	s_add_i32 s17, s17, 8
	s_add_i32 s16, s16, 8
	v_cmp_eq_u32_e32 vcc, 0, v106
	s_or_b64 s[2:3], vcc, s[2:3]
	s_waitcnt vmcnt(0) lgkmcnt(0)
	v_fmac_f64_e32 v[104:105], v[108:109], v[110:111]
	s_andn2_b64 exec, exec, s[2:3]
	s_cbranch_execnz .LBB49_363
; %bb.364:
	s_or_b64 exec, exec, s[2:3]
.LBB49_365:
	s_or_b64 exec, exec, s[8:9]
	v_mov_b32_e32 v106, 0
	ds_read_b64 v[106:107], v106 offset:96
	s_waitcnt lgkmcnt(0)
	v_mul_f64 v[104:105], v[104:105], v[106:107]
	scratch_store_dwordx2 off, v[104:105], off offset:96
.LBB49_366:
	s_or_b64 exec, exec, s[4:5]
	scratch_load_dwordx2 v[104:105], off, off offset:88
	v_cmp_lt_u32_e64 s[2:3], 11, v0
	s_waitcnt vmcnt(0)
	ds_write_b64 v1, v[104:105]
	s_waitcnt lgkmcnt(0)
	; wave barrier
	s_and_saveexec_b64 s[4:5], s[2:3]
	s_cbranch_execz .LBB49_376
; %bb.367:
	s_andn2_b64 vcc, exec, s[6:7]
	s_cbranch_vccnz .LBB49_369
; %bb.368:
	scratch_load_dwordx2 v[104:105], v17, off
	ds_read_b64 v[106:107], v1
	s_waitcnt vmcnt(0) lgkmcnt(0)
	v_mul_f64 v[104:105], v[104:105], v[106:107]
	s_cbranch_execz .LBB49_370
	s_branch .LBB49_371
.LBB49_369:
                                        ; implicit-def: $vgpr104_vgpr105
.LBB49_370:
	ds_read_b64 v[104:105], v1
.LBB49_371:
	s_and_saveexec_b64 s[8:9], s[0:1]
	s_cbranch_execz .LBB49_375
; %bb.372:
	v_add_u32_e32 v106, -12, v0
	s_movk_i32 s16, 0x1f0
	s_mov_b64 s[0:1], 0
.LBB49_373:                             ; =>This Inner Loop Header: Depth=1
	scratch_load_dwordx2 v[108:109], off, s15
	v_mov_b32_e32 v107, s16
	ds_read_b64 v[110:111], v107
	v_add_u32_e32 v106, -1, v106
	s_add_i32 s16, s16, 8
	s_add_i32 s15, s15, 8
	v_cmp_eq_u32_e32 vcc, 0, v106
	s_or_b64 s[0:1], vcc, s[0:1]
	s_waitcnt vmcnt(0) lgkmcnt(0)
	v_fmac_f64_e32 v[104:105], v[108:109], v[110:111]
	s_andn2_b64 exec, exec, s[0:1]
	s_cbranch_execnz .LBB49_373
; %bb.374:
	s_or_b64 exec, exec, s[0:1]
.LBB49_375:
	s_or_b64 exec, exec, s[8:9]
	v_mov_b32_e32 v106, 0
	ds_read_b64 v[106:107], v106 offset:88
	s_waitcnt lgkmcnt(0)
	v_mul_f64 v[104:105], v[104:105], v[106:107]
	scratch_store_dwordx2 off, v[104:105], off offset:88
.LBB49_376:
	s_or_b64 exec, exec, s[4:5]
	scratch_load_dwordx2 v[104:105], off, off offset:80
	v_cmp_lt_u32_e64 s[0:1], 10, v0
	s_waitcnt vmcnt(0)
	ds_write_b64 v1, v[104:105]
	s_waitcnt lgkmcnt(0)
	; wave barrier
	s_and_saveexec_b64 s[4:5], s[0:1]
	s_cbranch_execz .LBB49_386
; %bb.377:
	s_andn2_b64 vcc, exec, s[6:7]
	s_cbranch_vccnz .LBB49_379
; %bb.378:
	scratch_load_dwordx2 v[104:105], v17, off
	ds_read_b64 v[106:107], v1
	s_waitcnt vmcnt(0) lgkmcnt(0)
	v_mul_f64 v[104:105], v[104:105], v[106:107]
	s_cbranch_execz .LBB49_380
	s_branch .LBB49_381
.LBB49_379:
                                        ; implicit-def: $vgpr104_vgpr105
.LBB49_380:
	ds_read_b64 v[104:105], v1
.LBB49_381:
	s_and_saveexec_b64 s[8:9], s[2:3]
	s_cbranch_execz .LBB49_385
; %bb.382:
	s_movk_i32 s15, 0x58
	v_add_u32_e32 v106, -11, v0
	s_movk_i32 s16, 0x1e8
	s_mov_b64 s[2:3], 0
.LBB49_383:                             ; =>This Inner Loop Header: Depth=1
	scratch_load_dwordx2 v[108:109], off, s15
	v_mov_b32_e32 v107, s16
	ds_read_b64 v[110:111], v107
	v_add_u32_e32 v106, -1, v106
	s_add_i32 s16, s16, 8
	s_add_i32 s15, s15, 8
	v_cmp_eq_u32_e32 vcc, 0, v106
	s_or_b64 s[2:3], vcc, s[2:3]
	s_waitcnt vmcnt(0) lgkmcnt(0)
	v_fmac_f64_e32 v[104:105], v[108:109], v[110:111]
	s_andn2_b64 exec, exec, s[2:3]
	s_cbranch_execnz .LBB49_383
; %bb.384:
	s_or_b64 exec, exec, s[2:3]
.LBB49_385:
	s_or_b64 exec, exec, s[8:9]
	v_mov_b32_e32 v106, 0
	ds_read_b64 v[106:107], v106 offset:80
	s_waitcnt lgkmcnt(0)
	v_mul_f64 v[104:105], v[104:105], v[106:107]
	scratch_store_dwordx2 off, v[104:105], off offset:80
.LBB49_386:
	s_or_b64 exec, exec, s[4:5]
	scratch_load_dwordx2 v[104:105], off, off offset:72
	v_cmp_lt_u32_e64 s[2:3], 9, v0
	s_waitcnt vmcnt(0)
	ds_write_b64 v1, v[104:105]
	s_waitcnt lgkmcnt(0)
	; wave barrier
	s_and_saveexec_b64 s[4:5], s[2:3]
	s_cbranch_execz .LBB49_396
; %bb.387:
	s_andn2_b64 vcc, exec, s[6:7]
	s_cbranch_vccnz .LBB49_389
; %bb.388:
	scratch_load_dwordx2 v[104:105], v17, off
	ds_read_b64 v[106:107], v1
	s_waitcnt vmcnt(0) lgkmcnt(0)
	v_mul_f64 v[104:105], v[104:105], v[106:107]
	s_cbranch_execz .LBB49_390
	s_branch .LBB49_391
.LBB49_389:
                                        ; implicit-def: $vgpr104_vgpr105
.LBB49_390:
	ds_read_b64 v[104:105], v1
.LBB49_391:
	s_and_saveexec_b64 s[8:9], s[0:1]
	s_cbranch_execz .LBB49_395
; %bb.392:
	v_add_u32_e32 v106, -10, v0
	s_movk_i32 s15, 0x1e0
	s_mov_b64 s[0:1], 0
.LBB49_393:                             ; =>This Inner Loop Header: Depth=1
	scratch_load_dwordx2 v[108:109], off, s14
	v_mov_b32_e32 v107, s15
	ds_read_b64 v[110:111], v107
	v_add_u32_e32 v106, -1, v106
	s_add_i32 s15, s15, 8
	s_add_i32 s14, s14, 8
	v_cmp_eq_u32_e32 vcc, 0, v106
	s_or_b64 s[0:1], vcc, s[0:1]
	s_waitcnt vmcnt(0) lgkmcnt(0)
	v_fmac_f64_e32 v[104:105], v[108:109], v[110:111]
	s_andn2_b64 exec, exec, s[0:1]
	s_cbranch_execnz .LBB49_393
; %bb.394:
	s_or_b64 exec, exec, s[0:1]
.LBB49_395:
	s_or_b64 exec, exec, s[8:9]
	v_mov_b32_e32 v106, 0
	ds_read_b64 v[106:107], v106 offset:72
	s_waitcnt lgkmcnt(0)
	v_mul_f64 v[104:105], v[104:105], v[106:107]
	scratch_store_dwordx2 off, v[104:105], off offset:72
.LBB49_396:
	s_or_b64 exec, exec, s[4:5]
	scratch_load_dwordx2 v[104:105], off, off offset:64
	v_cmp_lt_u32_e64 s[0:1], 8, v0
	s_waitcnt vmcnt(0)
	ds_write_b64 v1, v[104:105]
	s_waitcnt lgkmcnt(0)
	; wave barrier
	s_and_saveexec_b64 s[4:5], s[0:1]
	s_cbranch_execz .LBB49_406
; %bb.397:
	s_andn2_b64 vcc, exec, s[6:7]
	s_cbranch_vccnz .LBB49_399
; %bb.398:
	scratch_load_dwordx2 v[104:105], v17, off
	ds_read_b64 v[106:107], v1
	s_waitcnt vmcnt(0) lgkmcnt(0)
	v_mul_f64 v[104:105], v[104:105], v[106:107]
	s_cbranch_execz .LBB49_400
	s_branch .LBB49_401
.LBB49_399:
                                        ; implicit-def: $vgpr104_vgpr105
.LBB49_400:
	ds_read_b64 v[104:105], v1
.LBB49_401:
	s_and_saveexec_b64 s[8:9], s[2:3]
	s_cbranch_execz .LBB49_405
; %bb.402:
	s_movk_i32 s14, 0x48
	v_add_u32_e32 v106, -9, v0
	s_movk_i32 s15, 0x1d8
	s_mov_b64 s[2:3], 0
.LBB49_403:                             ; =>This Inner Loop Header: Depth=1
	scratch_load_dwordx2 v[108:109], off, s14
	v_mov_b32_e32 v107, s15
	ds_read_b64 v[110:111], v107
	v_add_u32_e32 v106, -1, v106
	s_add_i32 s15, s15, 8
	s_add_i32 s14, s14, 8
	v_cmp_eq_u32_e32 vcc, 0, v106
	s_or_b64 s[2:3], vcc, s[2:3]
	s_waitcnt vmcnt(0) lgkmcnt(0)
	v_fmac_f64_e32 v[104:105], v[108:109], v[110:111]
	s_andn2_b64 exec, exec, s[2:3]
	s_cbranch_execnz .LBB49_403
; %bb.404:
	s_or_b64 exec, exec, s[2:3]
.LBB49_405:
	s_or_b64 exec, exec, s[8:9]
	v_mov_b32_e32 v106, 0
	ds_read_b64 v[106:107], v106 offset:64
	s_waitcnt lgkmcnt(0)
	v_mul_f64 v[104:105], v[104:105], v[106:107]
	scratch_store_dwordx2 off, v[104:105], off offset:64
.LBB49_406:
	s_or_b64 exec, exec, s[4:5]
	scratch_load_dwordx2 v[104:105], off, off offset:56
	v_cmp_lt_u32_e64 s[2:3], 7, v0
	s_waitcnt vmcnt(0)
	ds_write_b64 v1, v[104:105]
	s_waitcnt lgkmcnt(0)
	; wave barrier
	s_and_saveexec_b64 s[4:5], s[2:3]
	s_cbranch_execz .LBB49_416
; %bb.407:
	s_andn2_b64 vcc, exec, s[6:7]
	s_cbranch_vccnz .LBB49_409
; %bb.408:
	scratch_load_dwordx2 v[104:105], v17, off
	ds_read_b64 v[106:107], v1
	s_waitcnt vmcnt(0) lgkmcnt(0)
	v_mul_f64 v[104:105], v[104:105], v[106:107]
	s_cbranch_execz .LBB49_410
	s_branch .LBB49_411
.LBB49_409:
                                        ; implicit-def: $vgpr104_vgpr105
.LBB49_410:
	ds_read_b64 v[104:105], v1
.LBB49_411:
	s_and_saveexec_b64 s[8:9], s[0:1]
	s_cbranch_execz .LBB49_415
; %bb.412:
	v_add_u32_e32 v106, -8, v0
	s_movk_i32 s14, 0x1d0
	s_mov_b64 s[0:1], 0
.LBB49_413:                             ; =>This Inner Loop Header: Depth=1
	scratch_load_dwordx2 v[108:109], off, s13
	v_mov_b32_e32 v107, s14
	ds_read_b64 v[110:111], v107
	v_add_u32_e32 v106, -1, v106
	s_add_i32 s14, s14, 8
	s_add_i32 s13, s13, 8
	v_cmp_eq_u32_e32 vcc, 0, v106
	s_or_b64 s[0:1], vcc, s[0:1]
	s_waitcnt vmcnt(0) lgkmcnt(0)
	v_fmac_f64_e32 v[104:105], v[108:109], v[110:111]
	s_andn2_b64 exec, exec, s[0:1]
	s_cbranch_execnz .LBB49_413
; %bb.414:
	s_or_b64 exec, exec, s[0:1]
.LBB49_415:
	s_or_b64 exec, exec, s[8:9]
	v_mov_b32_e32 v106, 0
	ds_read_b64 v[106:107], v106 offset:56
	s_waitcnt lgkmcnt(0)
	v_mul_f64 v[104:105], v[104:105], v[106:107]
	scratch_store_dwordx2 off, v[104:105], off offset:56
.LBB49_416:
	s_or_b64 exec, exec, s[4:5]
	scratch_load_dwordx2 v[104:105], off, off offset:48
	v_cmp_lt_u32_e64 s[0:1], 6, v0
	s_waitcnt vmcnt(0)
	ds_write_b64 v1, v[104:105]
	s_waitcnt lgkmcnt(0)
	; wave barrier
	s_and_saveexec_b64 s[4:5], s[0:1]
	s_cbranch_execz .LBB49_426
; %bb.417:
	s_andn2_b64 vcc, exec, s[6:7]
	s_cbranch_vccnz .LBB49_419
; %bb.418:
	scratch_load_dwordx2 v[104:105], v17, off
	ds_read_b64 v[106:107], v1
	s_waitcnt vmcnt(0) lgkmcnt(0)
	v_mul_f64 v[104:105], v[104:105], v[106:107]
	s_cbranch_execz .LBB49_420
	s_branch .LBB49_421
.LBB49_419:
                                        ; implicit-def: $vgpr104_vgpr105
.LBB49_420:
	ds_read_b64 v[104:105], v1
.LBB49_421:
	s_and_saveexec_b64 s[8:9], s[2:3]
	s_cbranch_execz .LBB49_425
; %bb.422:
	s_mov_b32 s13, 56
	v_add_u32_e32 v106, -7, v0
	s_movk_i32 s14, 0x1c8
	s_mov_b64 s[2:3], 0
.LBB49_423:                             ; =>This Inner Loop Header: Depth=1
	scratch_load_dwordx2 v[108:109], off, s13
	v_mov_b32_e32 v107, s14
	ds_read_b64 v[110:111], v107
	v_add_u32_e32 v106, -1, v106
	s_add_i32 s14, s14, 8
	s_add_i32 s13, s13, 8
	v_cmp_eq_u32_e32 vcc, 0, v106
	s_or_b64 s[2:3], vcc, s[2:3]
	s_waitcnt vmcnt(0) lgkmcnt(0)
	v_fmac_f64_e32 v[104:105], v[108:109], v[110:111]
	s_andn2_b64 exec, exec, s[2:3]
	s_cbranch_execnz .LBB49_423
; %bb.424:
	s_or_b64 exec, exec, s[2:3]
.LBB49_425:
	s_or_b64 exec, exec, s[8:9]
	v_mov_b32_e32 v106, 0
	ds_read_b64 v[106:107], v106 offset:48
	s_waitcnt lgkmcnt(0)
	v_mul_f64 v[104:105], v[104:105], v[106:107]
	scratch_store_dwordx2 off, v[104:105], off offset:48
.LBB49_426:
	s_or_b64 exec, exec, s[4:5]
	scratch_load_dwordx2 v[104:105], off, off offset:40
	v_cmp_lt_u32_e64 s[2:3], 5, v0
	s_waitcnt vmcnt(0)
	ds_write_b64 v1, v[104:105]
	s_waitcnt lgkmcnt(0)
	; wave barrier
	s_and_saveexec_b64 s[4:5], s[2:3]
	s_cbranch_execz .LBB49_436
; %bb.427:
	s_andn2_b64 vcc, exec, s[6:7]
	s_cbranch_vccnz .LBB49_429
; %bb.428:
	scratch_load_dwordx2 v[104:105], v17, off
	ds_read_b64 v[106:107], v1
	s_waitcnt vmcnt(0) lgkmcnt(0)
	v_mul_f64 v[104:105], v[104:105], v[106:107]
	s_cbranch_execz .LBB49_430
	s_branch .LBB49_431
.LBB49_429:
                                        ; implicit-def: $vgpr104_vgpr105
.LBB49_430:
	ds_read_b64 v[104:105], v1
.LBB49_431:
	s_and_saveexec_b64 s[8:9], s[0:1]
	s_cbranch_execz .LBB49_435
; %bb.432:
	v_add_u32_e32 v106, -6, v0
	s_movk_i32 s13, 0x1c0
	s_mov_b64 s[0:1], 0
.LBB49_433:                             ; =>This Inner Loop Header: Depth=1
	scratch_load_dwordx2 v[108:109], off, s12
	v_mov_b32_e32 v107, s13
	ds_read_b64 v[110:111], v107
	v_add_u32_e32 v106, -1, v106
	s_add_i32 s13, s13, 8
	s_add_i32 s12, s12, 8
	v_cmp_eq_u32_e32 vcc, 0, v106
	s_or_b64 s[0:1], vcc, s[0:1]
	s_waitcnt vmcnt(0) lgkmcnt(0)
	v_fmac_f64_e32 v[104:105], v[108:109], v[110:111]
	s_andn2_b64 exec, exec, s[0:1]
	s_cbranch_execnz .LBB49_433
; %bb.434:
	s_or_b64 exec, exec, s[0:1]
.LBB49_435:
	s_or_b64 exec, exec, s[8:9]
	v_mov_b32_e32 v106, 0
	ds_read_b64 v[106:107], v106 offset:40
	s_waitcnt lgkmcnt(0)
	v_mul_f64 v[104:105], v[104:105], v[106:107]
	scratch_store_dwordx2 off, v[104:105], off offset:40
.LBB49_436:
	s_or_b64 exec, exec, s[4:5]
	scratch_load_dwordx2 v[104:105], off, off offset:32
	v_cmp_lt_u32_e64 s[0:1], 4, v0
	s_waitcnt vmcnt(0)
	ds_write_b64 v1, v[104:105]
	s_waitcnt lgkmcnt(0)
	; wave barrier
	s_and_saveexec_b64 s[4:5], s[0:1]
	s_cbranch_execz .LBB49_446
; %bb.437:
	s_andn2_b64 vcc, exec, s[6:7]
	s_cbranch_vccnz .LBB49_439
; %bb.438:
	scratch_load_dwordx2 v[104:105], v17, off
	ds_read_b64 v[106:107], v1
	s_waitcnt vmcnt(0) lgkmcnt(0)
	v_mul_f64 v[104:105], v[104:105], v[106:107]
	s_cbranch_execz .LBB49_440
	s_branch .LBB49_441
.LBB49_439:
                                        ; implicit-def: $vgpr104_vgpr105
.LBB49_440:
	ds_read_b64 v[104:105], v1
.LBB49_441:
	s_and_saveexec_b64 s[8:9], s[2:3]
	s_cbranch_execz .LBB49_445
; %bb.442:
	s_mov_b32 s12, 40
	v_add_u32_e32 v106, -5, v0
	s_movk_i32 s13, 0x1b8
	s_mov_b64 s[2:3], 0
.LBB49_443:                             ; =>This Inner Loop Header: Depth=1
	scratch_load_dwordx2 v[108:109], off, s12
	v_mov_b32_e32 v107, s13
	ds_read_b64 v[110:111], v107
	v_add_u32_e32 v106, -1, v106
	s_add_i32 s13, s13, 8
	s_add_i32 s12, s12, 8
	v_cmp_eq_u32_e32 vcc, 0, v106
	s_or_b64 s[2:3], vcc, s[2:3]
	s_waitcnt vmcnt(0) lgkmcnt(0)
	v_fmac_f64_e32 v[104:105], v[108:109], v[110:111]
	s_andn2_b64 exec, exec, s[2:3]
	s_cbranch_execnz .LBB49_443
; %bb.444:
	s_or_b64 exec, exec, s[2:3]
.LBB49_445:
	s_or_b64 exec, exec, s[8:9]
	v_mov_b32_e32 v106, 0
	ds_read_b64 v[106:107], v106 offset:32
	s_waitcnt lgkmcnt(0)
	v_mul_f64 v[104:105], v[104:105], v[106:107]
	scratch_store_dwordx2 off, v[104:105], off offset:32
.LBB49_446:
	s_or_b64 exec, exec, s[4:5]
	scratch_load_dwordx2 v[104:105], off, off offset:24
	v_cmp_lt_u32_e64 s[2:3], 3, v0
	s_waitcnt vmcnt(0)
	ds_write_b64 v1, v[104:105]
	s_waitcnt lgkmcnt(0)
	; wave barrier
	s_and_saveexec_b64 s[4:5], s[2:3]
	s_cbranch_execz .LBB49_456
; %bb.447:
	s_andn2_b64 vcc, exec, s[6:7]
	s_cbranch_vccnz .LBB49_449
; %bb.448:
	scratch_load_dwordx2 v[104:105], v17, off
	ds_read_b64 v[106:107], v1
	s_waitcnt vmcnt(0) lgkmcnt(0)
	v_mul_f64 v[104:105], v[104:105], v[106:107]
	s_cbranch_execz .LBB49_450
	s_branch .LBB49_451
.LBB49_449:
                                        ; implicit-def: $vgpr104_vgpr105
.LBB49_450:
	ds_read_b64 v[104:105], v1
.LBB49_451:
	s_and_saveexec_b64 s[8:9], s[0:1]
	s_cbranch_execz .LBB49_455
; %bb.452:
	v_add_u32_e32 v106, -4, v0
	s_movk_i32 s12, 0x1b0
	s_mov_b64 s[0:1], 0
.LBB49_453:                             ; =>This Inner Loop Header: Depth=1
	scratch_load_dwordx2 v[108:109], off, s11
	v_mov_b32_e32 v107, s12
	ds_read_b64 v[110:111], v107
	v_add_u32_e32 v106, -1, v106
	s_add_i32 s12, s12, 8
	s_add_i32 s11, s11, 8
	v_cmp_eq_u32_e32 vcc, 0, v106
	s_or_b64 s[0:1], vcc, s[0:1]
	s_waitcnt vmcnt(0) lgkmcnt(0)
	v_fmac_f64_e32 v[104:105], v[108:109], v[110:111]
	s_andn2_b64 exec, exec, s[0:1]
	s_cbranch_execnz .LBB49_453
; %bb.454:
	s_or_b64 exec, exec, s[0:1]
.LBB49_455:
	s_or_b64 exec, exec, s[8:9]
	v_mov_b32_e32 v106, 0
	ds_read_b64 v[106:107], v106 offset:24
	s_waitcnt lgkmcnt(0)
	v_mul_f64 v[104:105], v[104:105], v[106:107]
	scratch_store_dwordx2 off, v[104:105], off offset:24
.LBB49_456:
	s_or_b64 exec, exec, s[4:5]
	scratch_load_dwordx2 v[104:105], off, off offset:16
	v_cmp_lt_u32_e64 s[0:1], 2, v0
	s_waitcnt vmcnt(0)
	ds_write_b64 v1, v[104:105]
	s_waitcnt lgkmcnt(0)
	; wave barrier
	s_and_saveexec_b64 s[4:5], s[0:1]
	s_cbranch_execz .LBB49_466
; %bb.457:
	s_andn2_b64 vcc, exec, s[6:7]
	s_cbranch_vccnz .LBB49_459
; %bb.458:
	scratch_load_dwordx2 v[104:105], v17, off
	ds_read_b64 v[106:107], v1
	s_waitcnt vmcnt(0) lgkmcnt(0)
	v_mul_f64 v[104:105], v[104:105], v[106:107]
	s_cbranch_execz .LBB49_460
	s_branch .LBB49_461
.LBB49_459:
                                        ; implicit-def: $vgpr104_vgpr105
.LBB49_460:
	ds_read_b64 v[104:105], v1
.LBB49_461:
	s_and_saveexec_b64 s[8:9], s[2:3]
	s_cbranch_execz .LBB49_465
; %bb.462:
	s_mov_b32 s11, 24
	v_add_u32_e32 v106, -3, v0
	s_movk_i32 s12, 0x1a8
	s_mov_b64 s[2:3], 0
.LBB49_463:                             ; =>This Inner Loop Header: Depth=1
	scratch_load_dwordx2 v[108:109], off, s11
	v_mov_b32_e32 v107, s12
	ds_read_b64 v[110:111], v107
	v_add_u32_e32 v106, -1, v106
	s_add_i32 s12, s12, 8
	s_add_i32 s11, s11, 8
	v_cmp_eq_u32_e32 vcc, 0, v106
	s_or_b64 s[2:3], vcc, s[2:3]
	s_waitcnt vmcnt(0) lgkmcnt(0)
	v_fmac_f64_e32 v[104:105], v[108:109], v[110:111]
	s_andn2_b64 exec, exec, s[2:3]
	s_cbranch_execnz .LBB49_463
; %bb.464:
	s_or_b64 exec, exec, s[2:3]
.LBB49_465:
	s_or_b64 exec, exec, s[8:9]
	v_mov_b32_e32 v106, 0
	ds_read_b64 v[106:107], v106 offset:16
	s_waitcnt lgkmcnt(0)
	v_mul_f64 v[104:105], v[104:105], v[106:107]
	scratch_store_dwordx2 off, v[104:105], off offset:16
.LBB49_466:
	s_or_b64 exec, exec, s[4:5]
	scratch_load_dwordx2 v[104:105], off, off offset:8
	v_cmp_lt_u32_e64 s[2:3], 1, v0
	s_waitcnt vmcnt(0)
	ds_write_b64 v1, v[104:105]
	s_waitcnt lgkmcnt(0)
	; wave barrier
	s_and_saveexec_b64 s[4:5], s[2:3]
	s_cbranch_execz .LBB49_476
; %bb.467:
	s_andn2_b64 vcc, exec, s[6:7]
	s_cbranch_vccnz .LBB49_469
; %bb.468:
	scratch_load_dwordx2 v[104:105], v17, off
	ds_read_b64 v[106:107], v1
	s_waitcnt vmcnt(0) lgkmcnt(0)
	v_mul_f64 v[104:105], v[104:105], v[106:107]
	s_cbranch_execz .LBB49_470
	s_branch .LBB49_471
.LBB49_469:
                                        ; implicit-def: $vgpr104_vgpr105
.LBB49_470:
	ds_read_b64 v[104:105], v1
.LBB49_471:
	s_and_saveexec_b64 s[8:9], s[0:1]
	s_cbranch_execz .LBB49_475
; %bb.472:
	v_add_u32_e32 v106, -2, v0
	s_movk_i32 s11, 0x1a0
	s_mov_b64 s[0:1], 0
.LBB49_473:                             ; =>This Inner Loop Header: Depth=1
	scratch_load_dwordx2 v[108:109], off, s10
	v_mov_b32_e32 v107, s11
	ds_read_b64 v[110:111], v107
	v_add_u32_e32 v106, -1, v106
	s_add_i32 s11, s11, 8
	s_add_i32 s10, s10, 8
	v_cmp_eq_u32_e32 vcc, 0, v106
	s_or_b64 s[0:1], vcc, s[0:1]
	s_waitcnt vmcnt(0) lgkmcnt(0)
	v_fmac_f64_e32 v[104:105], v[108:109], v[110:111]
	s_andn2_b64 exec, exec, s[0:1]
	s_cbranch_execnz .LBB49_473
; %bb.474:
	s_or_b64 exec, exec, s[0:1]
.LBB49_475:
	s_or_b64 exec, exec, s[8:9]
	v_mov_b32_e32 v106, 0
	ds_read_b64 v[106:107], v106 offset:8
	s_waitcnt lgkmcnt(0)
	v_mul_f64 v[104:105], v[104:105], v[106:107]
	scratch_store_dwordx2 off, v[104:105], off offset:8
.LBB49_476:
	s_or_b64 exec, exec, s[4:5]
	scratch_load_dwordx2 v[104:105], off, off
	v_cmp_ne_u32_e32 vcc, 0, v0
	s_waitcnt vmcnt(0)
	ds_write_b64 v1, v[104:105]
	s_waitcnt lgkmcnt(0)
	; wave barrier
	s_and_saveexec_b64 s[0:1], vcc
	s_cbranch_execz .LBB49_486
; %bb.477:
	s_andn2_b64 vcc, exec, s[6:7]
	s_cbranch_vccnz .LBB49_479
; %bb.478:
	scratch_load_dwordx2 v[104:105], v17, off
	ds_read_b64 v[106:107], v1
	s_waitcnt vmcnt(0) lgkmcnt(0)
	v_mul_f64 v[104:105], v[104:105], v[106:107]
	s_cbranch_execz .LBB49_480
	s_branch .LBB49_481
.LBB49_479:
                                        ; implicit-def: $vgpr104_vgpr105
.LBB49_480:
	ds_read_b64 v[104:105], v1
.LBB49_481:
	s_and_saveexec_b64 s[4:5], s[2:3]
	s_cbranch_execz .LBB49_485
; %bb.482:
	s_or_b32 s8, 0, 8
	v_add_u32_e32 v106, -1, v0
	s_movk_i32 s9, 0x198
	s_mov_b64 s[2:3], 0
.LBB49_483:                             ; =>This Inner Loop Header: Depth=1
	scratch_load_dwordx2 v[108:109], off, s8
	v_mov_b32_e32 v107, s9
	ds_read_b64 v[110:111], v107
	v_add_u32_e32 v106, -1, v106
	s_add_i32 s9, s9, 8
	s_add_i32 s8, s8, 8
	v_cmp_eq_u32_e32 vcc, 0, v106
	s_or_b64 s[2:3], vcc, s[2:3]
	s_waitcnt vmcnt(0) lgkmcnt(0)
	v_fmac_f64_e32 v[104:105], v[108:109], v[110:111]
	s_andn2_b64 exec, exec, s[2:3]
	s_cbranch_execnz .LBB49_483
; %bb.484:
	s_or_b64 exec, exec, s[2:3]
.LBB49_485:
	s_or_b64 exec, exec, s[4:5]
	v_mov_b32_e32 v106, 0
	ds_read_b64 v[106:107], v106
	s_waitcnt lgkmcnt(0)
	v_mul_f64 v[104:105], v[104:105], v[106:107]
	scratch_store_dwordx2 off, v[104:105], off
.LBB49_486:
	s_or_b64 exec, exec, s[0:1]
	s_mov_b64 s[0:1], 0
.LBB49_487:
	s_and_b64 vcc, exec, s[0:1]
	s_cbranch_vccz .LBB49_969
; %bb.488:
	scratch_load_dwordx2 v[104:105], off, off offset:8
	v_cmp_eq_u32_e64 s[2:3], 0, v0
	s_waitcnt vmcnt(0)
	ds_write_b64 v1, v[104:105]
	s_waitcnt lgkmcnt(0)
	; wave barrier
	s_and_saveexec_b64 s[0:1], s[2:3]
	s_cbranch_execz .LBB49_494
; %bb.489:
	s_and_b64 vcc, exec, s[6:7]
	s_cbranch_vccz .LBB49_491
; %bb.490:
	scratch_load_dwordx2 v[104:105], v17, off
	ds_read_b64 v[106:107], v1
	s_waitcnt vmcnt(0) lgkmcnt(0)
	v_mul_f64 v[104:105], v[104:105], v[106:107]
	s_cbranch_execz .LBB49_492
	s_branch .LBB49_493
.LBB49_491:
                                        ; implicit-def: $vgpr104_vgpr105
.LBB49_492:
	ds_read_b64 v[104:105], v1
.LBB49_493:
	v_mov_b32_e32 v106, 0
	ds_read_b64 v[106:107], v106 offset:8
	s_waitcnt lgkmcnt(0)
	v_mul_f64 v[104:105], v[104:105], v[106:107]
	scratch_store_dwordx2 off, v[104:105], off offset:8
.LBB49_494:
	s_or_b64 exec, exec, s[0:1]
	scratch_load_dwordx2 v[104:105], off, off offset:16
	v_cndmask_b32_e64 v106, 0, 1, s[6:7]
	v_cmp_gt_u32_e32 vcc, 2, v0
	v_cmp_ne_u32_e64 s[0:1], 1, v106
	s_waitcnt vmcnt(0)
	ds_write_b64 v1, v[104:105]
	s_waitcnt lgkmcnt(0)
	; wave barrier
	s_and_saveexec_b64 s[4:5], vcc
	s_cbranch_execz .LBB49_500
; %bb.495:
	s_and_b64 vcc, exec, s[0:1]
	s_cbranch_vccnz .LBB49_497
; %bb.496:
	scratch_load_dwordx2 v[104:105], v17, off
	ds_read_b64 v[106:107], v1
	s_waitcnt vmcnt(0) lgkmcnt(0)
	v_mul_f64 v[104:105], v[104:105], v[106:107]
	s_cbranch_execz .LBB49_498
	s_branch .LBB49_499
.LBB49_497:
                                        ; implicit-def: $vgpr104_vgpr105
.LBB49_498:
	ds_read_b64 v[104:105], v1
.LBB49_499:
	scratch_load_dwordx2 v[110:111], off, off offset:8
	v_mov_b32_e32 v106, 0
	ds_read2_b64 v[106:109], v106 offset0:2 offset1:51
	s_waitcnt vmcnt(0) lgkmcnt(0)
	v_fma_f64 v[108:109], v[110:111], v[108:109], v[104:105]
	v_cndmask_b32_e64 v105, v105, v109, s[2:3]
	v_cndmask_b32_e64 v104, v104, v108, s[2:3]
	v_mul_f64 v[104:105], v[104:105], v[106:107]
	scratch_store_dwordx2 off, v[104:105], off offset:16
.LBB49_500:
	s_or_b64 exec, exec, s[4:5]
	scratch_load_dwordx2 v[104:105], off, off offset:24
	v_cmp_gt_u32_e32 vcc, 3, v0
	s_waitcnt vmcnt(0)
	ds_write_b64 v1, v[104:105]
	s_waitcnt lgkmcnt(0)
	; wave barrier
	s_and_saveexec_b64 s[4:5], vcc
	s_cbranch_execz .LBB49_508
; %bb.501:
	s_and_b64 vcc, exec, s[0:1]
	s_cbranch_vccnz .LBB49_503
; %bb.502:
	scratch_load_dwordx2 v[104:105], v17, off
	ds_read_b64 v[106:107], v1
	s_waitcnt vmcnt(0) lgkmcnt(0)
	v_mul_f64 v[104:105], v[104:105], v[106:107]
	s_cbranch_execz .LBB49_504
	s_branch .LBB49_505
.LBB49_503:
                                        ; implicit-def: $vgpr104_vgpr105
.LBB49_504:
	ds_read_b64 v[104:105], v1
.LBB49_505:
	v_cmp_ne_u32_e32 vcc, 2, v0
	s_and_saveexec_b64 s[6:7], vcc
	s_cbranch_execz .LBB49_507
; %bb.506:
	scratch_load_dwordx2 v[106:107], v17, off offset:8
	scratch_load_dwordx2 v[108:109], off, off offset:16
	ds_read_b64 v[110:111], v1 offset:8
	v_mov_b32_e32 v112, 0
	ds_read_b64 v[112:113], v112 offset:416
	s_waitcnt vmcnt(1) lgkmcnt(1)
	v_fmac_f64_e32 v[104:105], v[106:107], v[110:111]
	s_waitcnt vmcnt(0) lgkmcnt(0)
	v_fma_f64 v[106:107], v[108:109], v[112:113], v[104:105]
	v_cndmask_b32_e64 v105, v105, v107, s[2:3]
	v_cndmask_b32_e64 v104, v104, v106, s[2:3]
.LBB49_507:
	s_or_b64 exec, exec, s[6:7]
	v_mov_b32_e32 v106, 0
	ds_read_b64 v[106:107], v106 offset:24
	s_waitcnt lgkmcnt(0)
	v_mul_f64 v[104:105], v[104:105], v[106:107]
	scratch_store_dwordx2 off, v[104:105], off offset:24
.LBB49_508:
	s_or_b64 exec, exec, s[4:5]
	scratch_load_dwordx2 v[104:105], off, off offset:32
	v_cmp_gt_u32_e32 vcc, 4, v0
	s_waitcnt vmcnt(0)
	ds_write_b64 v1, v[104:105]
	s_waitcnt lgkmcnt(0)
	; wave barrier
	s_and_saveexec_b64 s[2:3], vcc
	s_cbranch_execz .LBB49_518
; %bb.509:
	s_and_b64 vcc, exec, s[0:1]
	s_cbranch_vccnz .LBB49_511
; %bb.510:
	scratch_load_dwordx2 v[104:105], v17, off
	ds_read_b64 v[106:107], v1
	s_waitcnt vmcnt(0) lgkmcnt(0)
	v_mul_f64 v[104:105], v[104:105], v[106:107]
	s_cbranch_execz .LBB49_512
	s_branch .LBB49_513
.LBB49_511:
                                        ; implicit-def: $vgpr104_vgpr105
.LBB49_512:
	ds_read_b64 v[104:105], v1
.LBB49_513:
	v_cmp_ne_u32_e32 vcc, 3, v0
	s_and_saveexec_b64 s[4:5], vcc
	s_cbranch_execz .LBB49_517
; %bb.514:
	s_mov_b32 s6, 0
	v_add_u32_e32 v106, 0x198, v16
	v_add3_u32 v107, v16, s6, 8
	s_mov_b64 s[6:7], 0
	v_mov_b32_e32 v108, v0
.LBB49_515:                             ; =>This Inner Loop Header: Depth=1
	scratch_load_dwordx2 v[110:111], v107, off
	ds_read_b64 v[112:113], v106
	v_add_u32_e32 v108, 1, v108
	v_cmp_lt_u32_e32 vcc, 2, v108
	v_add_u32_e32 v106, 8, v106
	v_add_u32_e32 v107, 8, v107
	s_or_b64 s[6:7], vcc, s[6:7]
	s_waitcnt vmcnt(0) lgkmcnt(0)
	v_fmac_f64_e32 v[104:105], v[110:111], v[112:113]
	s_andn2_b64 exec, exec, s[6:7]
	s_cbranch_execnz .LBB49_515
; %bb.516:
	s_or_b64 exec, exec, s[6:7]
.LBB49_517:
	s_or_b64 exec, exec, s[4:5]
	v_mov_b32_e32 v106, 0
	ds_read_b64 v[106:107], v106 offset:32
	s_waitcnt lgkmcnt(0)
	v_mul_f64 v[104:105], v[104:105], v[106:107]
	scratch_store_dwordx2 off, v[104:105], off offset:32
.LBB49_518:
	s_or_b64 exec, exec, s[2:3]
	scratch_load_dwordx2 v[104:105], off, off offset:40
	v_cmp_gt_u32_e32 vcc, 5, v0
	s_waitcnt vmcnt(0)
	ds_write_b64 v1, v[104:105]
	s_waitcnt lgkmcnt(0)
	; wave barrier
	s_and_saveexec_b64 s[2:3], vcc
	s_cbranch_execz .LBB49_528
; %bb.519:
	s_and_b64 vcc, exec, s[0:1]
	s_cbranch_vccnz .LBB49_521
; %bb.520:
	scratch_load_dwordx2 v[104:105], v17, off
	ds_read_b64 v[106:107], v1
	s_waitcnt vmcnt(0) lgkmcnt(0)
	v_mul_f64 v[104:105], v[104:105], v[106:107]
	s_cbranch_execz .LBB49_522
	s_branch .LBB49_523
.LBB49_521:
                                        ; implicit-def: $vgpr104_vgpr105
.LBB49_522:
	ds_read_b64 v[104:105], v1
.LBB49_523:
	v_cmp_ne_u32_e32 vcc, 4, v0
	s_and_saveexec_b64 s[4:5], vcc
	s_cbranch_execz .LBB49_527
; %bb.524:
	s_mov_b32 s6, 0
	v_add_u32_e32 v106, 0x198, v16
	v_add3_u32 v107, v16, s6, 8
	s_mov_b64 s[6:7], 0
	v_mov_b32_e32 v108, v0
.LBB49_525:                             ; =>This Inner Loop Header: Depth=1
	scratch_load_dwordx2 v[110:111], v107, off
	ds_read_b64 v[112:113], v106
	v_add_u32_e32 v108, 1, v108
	v_cmp_lt_u32_e32 vcc, 3, v108
	v_add_u32_e32 v106, 8, v106
	v_add_u32_e32 v107, 8, v107
	s_or_b64 s[6:7], vcc, s[6:7]
	s_waitcnt vmcnt(0) lgkmcnt(0)
	v_fmac_f64_e32 v[104:105], v[110:111], v[112:113]
	s_andn2_b64 exec, exec, s[6:7]
	s_cbranch_execnz .LBB49_525
; %bb.526:
	s_or_b64 exec, exec, s[6:7]
.LBB49_527:
	s_or_b64 exec, exec, s[4:5]
	v_mov_b32_e32 v106, 0
	ds_read_b64 v[106:107], v106 offset:40
	s_waitcnt lgkmcnt(0)
	v_mul_f64 v[104:105], v[104:105], v[106:107]
	scratch_store_dwordx2 off, v[104:105], off offset:40
.LBB49_528:
	;; [unrolled: 55-line block ×44, first 2 shown]
	s_or_b64 exec, exec, s[2:3]
	scratch_load_dwordx2 v[104:105], off, off offset:384
	v_cmp_gt_u32_e64 s[2:3], 48, v0
	s_waitcnt vmcnt(0)
	ds_write_b64 v1, v[104:105]
	s_waitcnt lgkmcnt(0)
	; wave barrier
	s_and_saveexec_b64 s[4:5], s[2:3]
	s_cbranch_execz .LBB49_958
; %bb.949:
	s_and_b64 vcc, exec, s[0:1]
	s_cbranch_vccnz .LBB49_951
; %bb.950:
	scratch_load_dwordx2 v[104:105], v17, off
	ds_read_b64 v[106:107], v1
	s_waitcnt vmcnt(0) lgkmcnt(0)
	v_mul_f64 v[104:105], v[104:105], v[106:107]
	s_cbranch_execz .LBB49_952
	s_branch .LBB49_953
.LBB49_951:
                                        ; implicit-def: $vgpr104_vgpr105
.LBB49_952:
	ds_read_b64 v[104:105], v1
.LBB49_953:
	v_cmp_ne_u32_e32 vcc, 47, v0
	s_and_saveexec_b64 s[6:7], vcc
	s_cbranch_execz .LBB49_957
; %bb.954:
	s_mov_b32 s8, 0
	v_add_u32_e32 v106, 0x198, v16
	v_add3_u32 v107, v16, s8, 8
	s_mov_b64 s[8:9], 0
	v_mov_b32_e32 v108, v0
.LBB49_955:                             ; =>This Inner Loop Header: Depth=1
	scratch_load_dwordx2 v[110:111], v107, off
	ds_read_b64 v[112:113], v106
	v_add_u32_e32 v108, 1, v108
	v_cmp_lt_u32_e32 vcc, 46, v108
	v_add_u32_e32 v106, 8, v106
	v_add_u32_e32 v107, 8, v107
	s_or_b64 s[8:9], vcc, s[8:9]
	s_waitcnt vmcnt(0) lgkmcnt(0)
	v_fmac_f64_e32 v[104:105], v[110:111], v[112:113]
	s_andn2_b64 exec, exec, s[8:9]
	s_cbranch_execnz .LBB49_955
; %bb.956:
	s_or_b64 exec, exec, s[8:9]
.LBB49_957:
	s_or_b64 exec, exec, s[6:7]
	v_mov_b32_e32 v106, 0
	ds_read_b64 v[106:107], v106 offset:384
	s_waitcnt lgkmcnt(0)
	v_mul_f64 v[104:105], v[104:105], v[106:107]
	scratch_store_dwordx2 off, v[104:105], off offset:384
.LBB49_958:
	s_or_b64 exec, exec, s[4:5]
	scratch_load_dwordx2 v[104:105], off, off offset:392
	v_cmp_ne_u32_e32 vcc, 49, v0
	s_waitcnt vmcnt(0)
	ds_write_b64 v1, v[104:105]
	s_waitcnt lgkmcnt(0)
	; wave barrier
	s_and_saveexec_b64 s[4:5], vcc
	s_cbranch_execz .LBB49_968
; %bb.959:
	s_and_b64 vcc, exec, s[0:1]
	s_cbranch_vccnz .LBB49_961
; %bb.960:
	scratch_load_dwordx2 v[104:105], v17, off
	ds_read_b64 v[106:107], v1
	s_waitcnt vmcnt(0) lgkmcnt(0)
	v_mul_f64 v[104:105], v[104:105], v[106:107]
	s_cbranch_execz .LBB49_962
	s_branch .LBB49_963
.LBB49_961:
                                        ; implicit-def: $vgpr104_vgpr105
.LBB49_962:
	ds_read_b64 v[104:105], v1
.LBB49_963:
	s_and_saveexec_b64 s[0:1], s[2:3]
	s_cbranch_execz .LBB49_967
; %bb.964:
	s_mov_b32 s2, 0
	v_add_u32_e32 v1, 0x198, v16
	v_add3_u32 v16, v16, s2, 8
	s_mov_b64 s[2:3], 0
.LBB49_965:                             ; =>This Inner Loop Header: Depth=1
	scratch_load_dwordx2 v[106:107], v16, off
	ds_read_b64 v[108:109], v1
	v_add_u32_e32 v0, 1, v0
	v_cmp_lt_u32_e32 vcc, 47, v0
	v_add_u32_e32 v1, 8, v1
	v_add_u32_e32 v16, 8, v16
	s_or_b64 s[2:3], vcc, s[2:3]
	s_waitcnt vmcnt(0) lgkmcnt(0)
	v_fmac_f64_e32 v[104:105], v[106:107], v[108:109]
	s_andn2_b64 exec, exec, s[2:3]
	s_cbranch_execnz .LBB49_965
; %bb.966:
	s_or_b64 exec, exec, s[2:3]
.LBB49_967:
	s_or_b64 exec, exec, s[0:1]
	v_mov_b32_e32 v0, 0
	ds_read_b64 v[0:1], v0 offset:392
	s_waitcnt lgkmcnt(0)
	v_mul_f64 v[0:1], v[104:105], v[0:1]
	scratch_store_dwordx2 off, v[0:1], off offset:392
.LBB49_968:
	s_or_b64 exec, exec, s[4:5]
.LBB49_969:
	scratch_load_dwordx4 v[104:107], off, off
	s_waitcnt vmcnt(0)
	global_store_dwordx2 v[2:3], v[104:105], off
	global_store_dwordx2 v[4:5], v[106:107], off
	scratch_load_dwordx4 v[0:3], off, off offset:16
	s_waitcnt vmcnt(0)
	global_store_dwordx2 v[6:7], v[0:1], off
	global_store_dwordx2 v[8:9], v[2:3], off
	scratch_load_dwordx4 v[0:3], off, off offset:32
	;; [unrolled: 4-line block ×24, first 2 shown]
	s_waitcnt vmcnt(0)
	global_store_dwordx2 v[86:87], v[0:1], off
	global_store_dwordx2 v[90:91], v[2:3], off
.LBB49_970:
	s_endpgm
	.section	.rodata,"a",@progbits
	.p2align	6, 0x0
	.amdhsa_kernel _ZN9rocsolver6v33100L18trti2_kernel_smallILi50EdPdEEv13rocblas_fill_17rocblas_diagonal_T1_iil
		.amdhsa_group_segment_fixed_size 800
		.amdhsa_private_segment_fixed_size 416
		.amdhsa_kernarg_size 32
		.amdhsa_user_sgpr_count 2
		.amdhsa_user_sgpr_dispatch_ptr 0
		.amdhsa_user_sgpr_queue_ptr 0
		.amdhsa_user_sgpr_kernarg_segment_ptr 1
		.amdhsa_user_sgpr_dispatch_id 0
		.amdhsa_user_sgpr_kernarg_preload_length 0
		.amdhsa_user_sgpr_kernarg_preload_offset 0
		.amdhsa_user_sgpr_private_segment_size 0
		.amdhsa_uses_dynamic_stack 0
		.amdhsa_enable_private_segment 1
		.amdhsa_system_sgpr_workgroup_id_x 1
		.amdhsa_system_sgpr_workgroup_id_y 0
		.amdhsa_system_sgpr_workgroup_id_z 0
		.amdhsa_system_sgpr_workgroup_info 0
		.amdhsa_system_vgpr_workitem_id 0
		.amdhsa_next_free_vgpr 114
		.amdhsa_next_free_sgpr 36
		.amdhsa_accum_offset 116
		.amdhsa_reserve_vcc 1
		.amdhsa_float_round_mode_32 0
		.amdhsa_float_round_mode_16_64 0
		.amdhsa_float_denorm_mode_32 3
		.amdhsa_float_denorm_mode_16_64 3
		.amdhsa_dx10_clamp 1
		.amdhsa_ieee_mode 1
		.amdhsa_fp16_overflow 0
		.amdhsa_tg_split 0
		.amdhsa_exception_fp_ieee_invalid_op 0
		.amdhsa_exception_fp_denorm_src 0
		.amdhsa_exception_fp_ieee_div_zero 0
		.amdhsa_exception_fp_ieee_overflow 0
		.amdhsa_exception_fp_ieee_underflow 0
		.amdhsa_exception_fp_ieee_inexact 0
		.amdhsa_exception_int_div_zero 0
	.end_amdhsa_kernel
	.section	.text._ZN9rocsolver6v33100L18trti2_kernel_smallILi50EdPdEEv13rocblas_fill_17rocblas_diagonal_T1_iil,"axG",@progbits,_ZN9rocsolver6v33100L18trti2_kernel_smallILi50EdPdEEv13rocblas_fill_17rocblas_diagonal_T1_iil,comdat
.Lfunc_end49:
	.size	_ZN9rocsolver6v33100L18trti2_kernel_smallILi50EdPdEEv13rocblas_fill_17rocblas_diagonal_T1_iil, .Lfunc_end49-_ZN9rocsolver6v33100L18trti2_kernel_smallILi50EdPdEEv13rocblas_fill_17rocblas_diagonal_T1_iil
                                        ; -- End function
	.set _ZN9rocsolver6v33100L18trti2_kernel_smallILi50EdPdEEv13rocblas_fill_17rocblas_diagonal_T1_iil.num_vgpr, 114
	.set _ZN9rocsolver6v33100L18trti2_kernel_smallILi50EdPdEEv13rocblas_fill_17rocblas_diagonal_T1_iil.num_agpr, 0
	.set _ZN9rocsolver6v33100L18trti2_kernel_smallILi50EdPdEEv13rocblas_fill_17rocblas_diagonal_T1_iil.numbered_sgpr, 36
	.set _ZN9rocsolver6v33100L18trti2_kernel_smallILi50EdPdEEv13rocblas_fill_17rocblas_diagonal_T1_iil.num_named_barrier, 0
	.set _ZN9rocsolver6v33100L18trti2_kernel_smallILi50EdPdEEv13rocblas_fill_17rocblas_diagonal_T1_iil.private_seg_size, 416
	.set _ZN9rocsolver6v33100L18trti2_kernel_smallILi50EdPdEEv13rocblas_fill_17rocblas_diagonal_T1_iil.uses_vcc, 1
	.set _ZN9rocsolver6v33100L18trti2_kernel_smallILi50EdPdEEv13rocblas_fill_17rocblas_diagonal_T1_iil.uses_flat_scratch, 0
	.set _ZN9rocsolver6v33100L18trti2_kernel_smallILi50EdPdEEv13rocblas_fill_17rocblas_diagonal_T1_iil.has_dyn_sized_stack, 0
	.set _ZN9rocsolver6v33100L18trti2_kernel_smallILi50EdPdEEv13rocblas_fill_17rocblas_diagonal_T1_iil.has_recursion, 0
	.set _ZN9rocsolver6v33100L18trti2_kernel_smallILi50EdPdEEv13rocblas_fill_17rocblas_diagonal_T1_iil.has_indirect_call, 0
	.section	.AMDGPU.csdata,"",@progbits
; Kernel info:
; codeLenInByte = 23816
; TotalNumSgprs: 42
; NumVgprs: 114
; NumAgprs: 0
; TotalNumVgprs: 114
; ScratchSize: 416
; MemoryBound: 0
; FloatMode: 240
; IeeeMode: 1
; LDSByteSize: 800 bytes/workgroup (compile time only)
; SGPRBlocks: 5
; VGPRBlocks: 14
; NumSGPRsForWavesPerEU: 42
; NumVGPRsForWavesPerEU: 114
; AccumOffset: 116
; Occupancy: 4
; WaveLimiterHint : 0
; COMPUTE_PGM_RSRC2:SCRATCH_EN: 1
; COMPUTE_PGM_RSRC2:USER_SGPR: 2
; COMPUTE_PGM_RSRC2:TRAP_HANDLER: 0
; COMPUTE_PGM_RSRC2:TGID_X_EN: 1
; COMPUTE_PGM_RSRC2:TGID_Y_EN: 0
; COMPUTE_PGM_RSRC2:TGID_Z_EN: 0
; COMPUTE_PGM_RSRC2:TIDIG_COMP_CNT: 0
; COMPUTE_PGM_RSRC3_GFX90A:ACCUM_OFFSET: 28
; COMPUTE_PGM_RSRC3_GFX90A:TG_SPLIT: 0
	.section	.text._ZN9rocsolver6v33100L18trti2_kernel_smallILi51EdPdEEv13rocblas_fill_17rocblas_diagonal_T1_iil,"axG",@progbits,_ZN9rocsolver6v33100L18trti2_kernel_smallILi51EdPdEEv13rocblas_fill_17rocblas_diagonal_T1_iil,comdat
	.globl	_ZN9rocsolver6v33100L18trti2_kernel_smallILi51EdPdEEv13rocblas_fill_17rocblas_diagonal_T1_iil ; -- Begin function _ZN9rocsolver6v33100L18trti2_kernel_smallILi51EdPdEEv13rocblas_fill_17rocblas_diagonal_T1_iil
	.p2align	8
	.type	_ZN9rocsolver6v33100L18trti2_kernel_smallILi51EdPdEEv13rocblas_fill_17rocblas_diagonal_T1_iil,@function
_ZN9rocsolver6v33100L18trti2_kernel_smallILi51EdPdEEv13rocblas_fill_17rocblas_diagonal_T1_iil: ; @_ZN9rocsolver6v33100L18trti2_kernel_smallILi51EdPdEEv13rocblas_fill_17rocblas_diagonal_T1_iil
; %bb.0:
	v_cmp_gt_u32_e32 vcc, 51, v0
	s_and_saveexec_b64 s[4:5], vcc
	s_cbranch_execz .LBB50_990
; %bb.1:
	s_load_dwordx8 s[4:11], s[0:1], 0x0
	s_ashr_i32 s3, s2, 31
	v_lshlrev_b32_e32 v10, 3, v0
	v_mov_b32_e32 v11, 0
	s_waitcnt lgkmcnt(0)
	s_ashr_i32 s1, s8, 31
	s_mov_b32 s0, s8
	s_mul_hi_u32 s8, s10, s2
	s_mul_i32 s3, s10, s3
	s_add_i32 s3, s8, s3
	s_mul_i32 s8, s11, s2
	s_add_i32 s3, s3, s8
	s_mul_i32 s2, s10, s2
	s_lshl_b64 s[2:3], s[2:3], 3
	s_add_u32 s2, s6, s2
	s_addc_u32 s3, s7, s3
	s_lshl_b64 s[0:1], s[0:1], 3
	s_add_u32 s0, s2, s0
	s_addc_u32 s1, s3, s1
	v_lshl_add_u64 v[2:3], s[0:1], 0, v[10:11]
	s_ashr_i32 s3, s9, 31
	s_mov_b32 s2, s9
	v_lshl_add_u64 v[4:5], s[2:3], 3, v[2:3]
	global_load_dwordx2 v[6:7], v10, s[0:1]
	global_load_dwordx2 v[8:9], v[4:5], off
	s_add_i32 s2, s9, s9
	s_cmpk_lg_i32 s5, 0x84
	s_cselect_b64 s[6:7], -1, 0
	s_cmpk_eq_i32 s5, 0x84
	s_waitcnt vmcnt(0)
	scratch_store_dwordx4 off, v[6:9], off
	s_nop 1
	v_add_u32_e32 v8, s2, v0
	v_add_u32_e32 v12, s9, v8
	v_ashrrev_i32_e32 v9, 31, v8
	v_ashrrev_i32_e32 v13, 31, v12
	v_lshl_add_u64 v[6:7], v[8:9], 3, s[0:1]
	v_lshl_add_u64 v[8:9], v[12:13], 3, s[0:1]
	global_load_dwordx2 v[14:15], v[6:7], off
	global_load_dwordx2 v[16:17], v[8:9], off
	s_waitcnt vmcnt(0)
	scratch_store_dwordx4 off, v[14:17], off offset:16
	s_nop 1
	v_add_u32_e32 v14, s9, v12
	v_add_u32_e32 v16, s9, v14
	v_ashrrev_i32_e32 v15, 31, v14
	v_ashrrev_i32_e32 v17, 31, v16
	v_lshl_add_u64 v[12:13], v[14:15], 3, s[0:1]
	v_lshl_add_u64 v[14:15], v[16:17], 3, s[0:1]
	global_load_dwordx2 v[18:19], v[12:13], off
	global_load_dwordx2 v[20:21], v[14:15], off
	s_waitcnt vmcnt(0)
	scratch_store_dwordx4 off, v[18:21], off offset:32
	;; [unrolled: 11-line block ×22, first 2 shown]
	s_nop 1
	v_add_u32_e32 v98, s9, v96
	v_ashrrev_i32_e32 v99, 31, v98
	v_lshl_add_u64 v[96:97], v[98:99], 3, s[0:1]
	v_add_u32_e32 v98, s9, v98
	v_ashrrev_i32_e32 v99, 31, v98
	v_lshl_add_u64 v[100:101], v[98:99], 3, s[0:1]
	global_load_dwordx2 v[102:103], v[96:97], off
	global_load_dwordx2 v[104:105], v[100:101], off
	v_add_u32_e32 v98, s9, v98
	v_ashrrev_i32_e32 v99, 31, v98
	s_waitcnt vmcnt(0)
	scratch_store_dwordx4 off, v[102:105], off offset:368
	s_nop 1
	v_lshl_add_u64 v[102:103], v[98:99], 3, s[0:1]
	v_add_u32_e32 v98, s9, v98
	v_ashrrev_i32_e32 v99, 31, v98
	v_lshl_add_u64 v[104:105], v[98:99], 3, s[0:1]
	global_load_dwordx2 v[106:107], v[102:103], off
	global_load_dwordx2 v[108:109], v[104:105], off
	v_add_u32_e32 v98, s9, v98
	v_ashrrev_i32_e32 v99, 31, v98
	v_lshl_add_u64 v[98:99], v[98:99], 3, s[0:1]
	s_waitcnt vmcnt(0)
	scratch_store_dwordx4 off, v[106:109], off offset:384
	global_load_dwordx2 v[106:107], v[98:99], off
	s_waitcnt vmcnt(0)
	scratch_store_dwordx2 off, v[106:107], off offset:400
	v_mov_b64_e32 v[106:107], -1.0
	s_cbranch_scc1 .LBB50_3
; %bb.2:
	scratch_load_dwordx2 v[106:107], v10, off
	s_waitcnt vmcnt(0)
	v_div_scale_f64 v[108:109], s[0:1], v[106:107], v[106:107], 1.0
	v_rcp_f64_e32 v[110:111], v[108:109]
	v_div_scale_f64 v[112:113], vcc, 1.0, v[106:107], 1.0
	v_fma_f64 v[114:115], -v[108:109], v[110:111], 1.0
	v_fmac_f64_e32 v[110:111], v[110:111], v[114:115]
	v_fma_f64 v[114:115], -v[108:109], v[110:111], 1.0
	v_fmac_f64_e32 v[110:111], v[110:111], v[114:115]
	v_mul_f64 v[114:115], v[112:113], v[110:111]
	v_fma_f64 v[108:109], -v[108:109], v[114:115], v[112:113]
	v_div_fmas_f64 v[108:109], v[108:109], v[110:111], v[114:115]
	v_div_fixup_f64 v[106:107], v[108:109], v[106:107], 1.0
	scratch_store_dwordx2 v10, v[106:107], off
	v_xor_b32_e32 v107, 0x80000000, v107
.LBB50_3:
	s_cmpk_eq_i32 s4, 0x79
	v_add_u32_e32 v1, 0x1a0, v10
	v_mov_b32_e32 v11, v10
	s_mov_b64 s[0:1], -1
	ds_write_b64 v10, v[106:107]
	s_cbranch_scc1 .LBB50_497
; %bb.4:
	scratch_load_dwordx2 v[106:107], off, off offset:392
	s_movk_i32 s8, 0x50
	s_movk_i32 s9, 0x60
	;; [unrolled: 1-line block ×20, first 2 shown]
	v_cmp_eq_u32_e64 s[0:1], 50, v0
	s_waitcnt vmcnt(0)
	ds_write_b64 v1, v[106:107]
	s_waitcnt lgkmcnt(0)
	; wave barrier
	s_and_saveexec_b64 s[2:3], s[0:1]
	s_cbranch_execz .LBB50_10
; %bb.5:
	s_and_b64 vcc, exec, s[6:7]
	s_cbranch_vccz .LBB50_7
; %bb.6:
	scratch_load_dwordx2 v[106:107], v11, off
	ds_read_b64 v[108:109], v1
	s_waitcnt vmcnt(0) lgkmcnt(0)
	v_mul_f64 v[106:107], v[106:107], v[108:109]
	s_cbranch_execz .LBB50_8
	s_branch .LBB50_9
.LBB50_7:
                                        ; implicit-def: $vgpr106_vgpr107
.LBB50_8:
	ds_read_b64 v[106:107], v1
.LBB50_9:
	v_mov_b32_e32 v108, 0
	ds_read_b64 v[108:109], v108 offset:392
	s_waitcnt lgkmcnt(0)
	v_mul_f64 v[106:107], v[106:107], v[108:109]
	scratch_store_dwordx2 off, v[106:107], off offset:392
.LBB50_10:
	s_or_b64 exec, exec, s[2:3]
	scratch_load_dwordx2 v[106:107], off, off offset:384
	s_mov_b32 s10, 16
	s_mov_b32 s11, 32
	;; [unrolled: 1-line block ×6, first 2 shown]
	v_cmp_lt_u32_e64 s[4:5], 48, v0
	s_waitcnt vmcnt(0)
	ds_write_b64 v1, v[106:107]
	s_waitcnt lgkmcnt(0)
	; wave barrier
	s_and_saveexec_b64 s[2:3], s[4:5]
	s_cbranch_execz .LBB50_16
; %bb.11:
	s_andn2_b64 vcc, exec, s[6:7]
	s_cbranch_vccnz .LBB50_13
; %bb.12:
	scratch_load_dwordx2 v[106:107], v11, off
	ds_read_b64 v[108:109], v1
	s_waitcnt vmcnt(0) lgkmcnt(0)
	v_mul_f64 v[106:107], v[106:107], v[108:109]
	s_cbranch_execz .LBB50_14
	s_branch .LBB50_15
.LBB50_13:
                                        ; implicit-def: $vgpr106_vgpr107
.LBB50_14:
	ds_read_b64 v[106:107], v1
.LBB50_15:
	scratch_load_dwordx2 v[112:113], off, off offset:392
	v_mov_b32_e32 v108, 0
	ds_read2_b64 v[108:111], v108 offset0:48 offset1:101
	s_waitcnt vmcnt(0) lgkmcnt(0)
	v_fma_f64 v[110:111], v[112:113], v[110:111], v[106:107]
	v_cndmask_b32_e64 v107, v107, v111, s[0:1]
	v_cndmask_b32_e64 v106, v106, v110, s[0:1]
	v_mul_f64 v[106:107], v[106:107], v[108:109]
	scratch_store_dwordx2 off, v[106:107], off offset:384
.LBB50_16:
	s_or_b64 exec, exec, s[2:3]
	scratch_load_dwordx2 v[106:107], off, off offset:376
	v_cmp_lt_u32_e64 s[2:3], 47, v0
	s_waitcnt vmcnt(0)
	ds_write_b64 v1, v[106:107]
	s_waitcnt lgkmcnt(0)
	; wave barrier
	s_and_saveexec_b64 s[0:1], s[2:3]
	s_cbranch_execz .LBB50_26
; %bb.17:
	s_andn2_b64 vcc, exec, s[6:7]
	s_cbranch_vccnz .LBB50_19
; %bb.18:
	scratch_load_dwordx2 v[106:107], v11, off
	ds_read_b64 v[108:109], v1
	s_waitcnt vmcnt(0) lgkmcnt(0)
	v_mul_f64 v[106:107], v[106:107], v[108:109]
	s_cbranch_execz .LBB50_20
	s_branch .LBB50_21
.LBB50_19:
                                        ; implicit-def: $vgpr106_vgpr107
.LBB50_20:
	ds_read_b64 v[106:107], v1
.LBB50_21:
	s_and_saveexec_b64 s[8:9], s[4:5]
	s_cbranch_execz .LBB50_25
; %bb.22:
	v_subrev_u32_e32 v108, 48, v0
	s_movk_i32 s35, 0x320
	s_mov_b64 s[4:5], 0
.LBB50_23:                              ; =>This Inner Loop Header: Depth=1
	scratch_load_dwordx2 v[110:111], off, s34
	v_mov_b32_e32 v109, s35
	ds_read_b64 v[112:113], v109
	v_add_u32_e32 v108, -1, v108
	s_add_i32 s35, s35, 8
	s_add_i32 s34, s34, 8
	v_cmp_eq_u32_e32 vcc, 0, v108
	s_or_b64 s[4:5], vcc, s[4:5]
	s_waitcnt vmcnt(0) lgkmcnt(0)
	v_fmac_f64_e32 v[106:107], v[110:111], v[112:113]
	s_andn2_b64 exec, exec, s[4:5]
	s_cbranch_execnz .LBB50_23
; %bb.24:
	s_or_b64 exec, exec, s[4:5]
.LBB50_25:
	s_or_b64 exec, exec, s[8:9]
	v_mov_b32_e32 v108, 0
	ds_read_b64 v[108:109], v108 offset:376
	s_waitcnt lgkmcnt(0)
	v_mul_f64 v[106:107], v[106:107], v[108:109]
	scratch_store_dwordx2 off, v[106:107], off offset:376
.LBB50_26:
	s_or_b64 exec, exec, s[0:1]
	scratch_load_dwordx2 v[106:107], off, off offset:368
	v_cmp_lt_u32_e64 s[0:1], 46, v0
	s_waitcnt vmcnt(0)
	ds_write_b64 v1, v[106:107]
	s_waitcnt lgkmcnt(0)
	; wave barrier
	s_and_saveexec_b64 s[4:5], s[0:1]
	s_cbranch_execz .LBB50_36
; %bb.27:
	s_andn2_b64 vcc, exec, s[6:7]
	s_cbranch_vccnz .LBB50_29
; %bb.28:
	scratch_load_dwordx2 v[106:107], v11, off
	ds_read_b64 v[108:109], v1
	s_waitcnt vmcnt(0) lgkmcnt(0)
	v_mul_f64 v[106:107], v[106:107], v[108:109]
	s_cbranch_execz .LBB50_30
	s_branch .LBB50_31
.LBB50_29:
                                        ; implicit-def: $vgpr106_vgpr107
.LBB50_30:
	ds_read_b64 v[106:107], v1
.LBB50_31:
	s_and_saveexec_b64 s[8:9], s[2:3]
	s_cbranch_execz .LBB50_35
; %bb.32:
	s_movk_i32 s34, 0x178
	v_subrev_u32_e32 v108, 47, v0
	s_movk_i32 s35, 0x318
	s_mov_b64 s[2:3], 0
.LBB50_33:                              ; =>This Inner Loop Header: Depth=1
	scratch_load_dwordx2 v[110:111], off, s34
	v_mov_b32_e32 v109, s35
	ds_read_b64 v[112:113], v109
	v_add_u32_e32 v108, -1, v108
	s_add_i32 s35, s35, 8
	s_add_i32 s34, s34, 8
	v_cmp_eq_u32_e32 vcc, 0, v108
	s_or_b64 s[2:3], vcc, s[2:3]
	s_waitcnt vmcnt(0) lgkmcnt(0)
	v_fmac_f64_e32 v[106:107], v[110:111], v[112:113]
	s_andn2_b64 exec, exec, s[2:3]
	s_cbranch_execnz .LBB50_33
; %bb.34:
	s_or_b64 exec, exec, s[2:3]
.LBB50_35:
	s_or_b64 exec, exec, s[8:9]
	v_mov_b32_e32 v108, 0
	ds_read_b64 v[108:109], v108 offset:368
	s_waitcnt lgkmcnt(0)
	v_mul_f64 v[106:107], v[106:107], v[108:109]
	scratch_store_dwordx2 off, v[106:107], off offset:368
.LBB50_36:
	s_or_b64 exec, exec, s[4:5]
	scratch_load_dwordx2 v[106:107], off, off offset:360
	v_cmp_lt_u32_e64 s[2:3], 45, v0
	s_waitcnt vmcnt(0)
	ds_write_b64 v1, v[106:107]
	s_waitcnt lgkmcnt(0)
	; wave barrier
	s_and_saveexec_b64 s[4:5], s[2:3]
	s_cbranch_execz .LBB50_46
; %bb.37:
	s_andn2_b64 vcc, exec, s[6:7]
	s_cbranch_vccnz .LBB50_39
; %bb.38:
	scratch_load_dwordx2 v[106:107], v11, off
	ds_read_b64 v[108:109], v1
	s_waitcnt vmcnt(0) lgkmcnt(0)
	v_mul_f64 v[106:107], v[106:107], v[108:109]
	s_cbranch_execz .LBB50_40
	s_branch .LBB50_41
.LBB50_39:
                                        ; implicit-def: $vgpr106_vgpr107
.LBB50_40:
	ds_read_b64 v[106:107], v1
.LBB50_41:
	s_and_saveexec_b64 s[8:9], s[0:1]
	s_cbranch_execz .LBB50_45
; %bb.42:
	v_subrev_u32_e32 v108, 46, v0
	s_movk_i32 s34, 0x310
	s_mov_b64 s[0:1], 0
.LBB50_43:                              ; =>This Inner Loop Header: Depth=1
	scratch_load_dwordx2 v[110:111], off, s33
	v_mov_b32_e32 v109, s34
	ds_read_b64 v[112:113], v109
	v_add_u32_e32 v108, -1, v108
	s_add_i32 s34, s34, 8
	s_add_i32 s33, s33, 8
	v_cmp_eq_u32_e32 vcc, 0, v108
	s_or_b64 s[0:1], vcc, s[0:1]
	s_waitcnt vmcnt(0) lgkmcnt(0)
	v_fmac_f64_e32 v[106:107], v[110:111], v[112:113]
	s_andn2_b64 exec, exec, s[0:1]
	s_cbranch_execnz .LBB50_43
; %bb.44:
	s_or_b64 exec, exec, s[0:1]
.LBB50_45:
	s_or_b64 exec, exec, s[8:9]
	v_mov_b32_e32 v108, 0
	ds_read_b64 v[108:109], v108 offset:360
	s_waitcnt lgkmcnt(0)
	v_mul_f64 v[106:107], v[106:107], v[108:109]
	scratch_store_dwordx2 off, v[106:107], off offset:360
.LBB50_46:
	s_or_b64 exec, exec, s[4:5]
	scratch_load_dwordx2 v[106:107], off, off offset:352
	v_cmp_lt_u32_e64 s[0:1], 44, v0
	s_waitcnt vmcnt(0)
	ds_write_b64 v1, v[106:107]
	s_waitcnt lgkmcnt(0)
	; wave barrier
	s_and_saveexec_b64 s[4:5], s[0:1]
	s_cbranch_execz .LBB50_56
; %bb.47:
	s_andn2_b64 vcc, exec, s[6:7]
	s_cbranch_vccnz .LBB50_49
; %bb.48:
	scratch_load_dwordx2 v[106:107], v11, off
	ds_read_b64 v[108:109], v1
	s_waitcnt vmcnt(0) lgkmcnt(0)
	v_mul_f64 v[106:107], v[106:107], v[108:109]
	s_cbranch_execz .LBB50_50
	s_branch .LBB50_51
.LBB50_49:
                                        ; implicit-def: $vgpr106_vgpr107
.LBB50_50:
	ds_read_b64 v[106:107], v1
.LBB50_51:
	s_and_saveexec_b64 s[8:9], s[2:3]
	s_cbranch_execz .LBB50_55
; %bb.52:
	s_movk_i32 s33, 0x168
	v_subrev_u32_e32 v108, 45, v0
	s_movk_i32 s34, 0x308
	s_mov_b64 s[2:3], 0
.LBB50_53:                              ; =>This Inner Loop Header: Depth=1
	scratch_load_dwordx2 v[110:111], off, s33
	v_mov_b32_e32 v109, s34
	ds_read_b64 v[112:113], v109
	v_add_u32_e32 v108, -1, v108
	s_add_i32 s34, s34, 8
	s_add_i32 s33, s33, 8
	v_cmp_eq_u32_e32 vcc, 0, v108
	s_or_b64 s[2:3], vcc, s[2:3]
	s_waitcnt vmcnt(0) lgkmcnt(0)
	v_fmac_f64_e32 v[106:107], v[110:111], v[112:113]
	s_andn2_b64 exec, exec, s[2:3]
	s_cbranch_execnz .LBB50_53
; %bb.54:
	s_or_b64 exec, exec, s[2:3]
.LBB50_55:
	s_or_b64 exec, exec, s[8:9]
	v_mov_b32_e32 v108, 0
	ds_read_b64 v[108:109], v108 offset:352
	s_waitcnt lgkmcnt(0)
	v_mul_f64 v[106:107], v[106:107], v[108:109]
	scratch_store_dwordx2 off, v[106:107], off offset:352
.LBB50_56:
	s_or_b64 exec, exec, s[4:5]
	scratch_load_dwordx2 v[106:107], off, off offset:344
	v_cmp_lt_u32_e64 s[2:3], 43, v0
	s_waitcnt vmcnt(0)
	ds_write_b64 v1, v[106:107]
	s_waitcnt lgkmcnt(0)
	; wave barrier
	s_and_saveexec_b64 s[4:5], s[2:3]
	s_cbranch_execz .LBB50_66
; %bb.57:
	s_andn2_b64 vcc, exec, s[6:7]
	s_cbranch_vccnz .LBB50_59
; %bb.58:
	scratch_load_dwordx2 v[106:107], v11, off
	ds_read_b64 v[108:109], v1
	s_waitcnt vmcnt(0) lgkmcnt(0)
	v_mul_f64 v[106:107], v[106:107], v[108:109]
	s_cbranch_execz .LBB50_60
	s_branch .LBB50_61
.LBB50_59:
                                        ; implicit-def: $vgpr106_vgpr107
.LBB50_60:
	ds_read_b64 v[106:107], v1
.LBB50_61:
	s_and_saveexec_b64 s[8:9], s[0:1]
	s_cbranch_execz .LBB50_65
; %bb.62:
	v_subrev_u32_e32 v108, 44, v0
	s_movk_i32 s33, 0x300
	s_mov_b64 s[0:1], 0
.LBB50_63:                              ; =>This Inner Loop Header: Depth=1
	scratch_load_dwordx2 v[110:111], off, s31
	v_mov_b32_e32 v109, s33
	ds_read_b64 v[112:113], v109
	v_add_u32_e32 v108, -1, v108
	s_add_i32 s33, s33, 8
	s_add_i32 s31, s31, 8
	v_cmp_eq_u32_e32 vcc, 0, v108
	s_or_b64 s[0:1], vcc, s[0:1]
	s_waitcnt vmcnt(0) lgkmcnt(0)
	v_fmac_f64_e32 v[106:107], v[110:111], v[112:113]
	s_andn2_b64 exec, exec, s[0:1]
	s_cbranch_execnz .LBB50_63
; %bb.64:
	s_or_b64 exec, exec, s[0:1]
.LBB50_65:
	s_or_b64 exec, exec, s[8:9]
	v_mov_b32_e32 v108, 0
	ds_read_b64 v[108:109], v108 offset:344
	s_waitcnt lgkmcnt(0)
	v_mul_f64 v[106:107], v[106:107], v[108:109]
	scratch_store_dwordx2 off, v[106:107], off offset:344
.LBB50_66:
	s_or_b64 exec, exec, s[4:5]
	scratch_load_dwordx2 v[106:107], off, off offset:336
	v_cmp_lt_u32_e64 s[0:1], 42, v0
	s_waitcnt vmcnt(0)
	ds_write_b64 v1, v[106:107]
	s_waitcnt lgkmcnt(0)
	; wave barrier
	s_and_saveexec_b64 s[4:5], s[0:1]
	s_cbranch_execz .LBB50_76
; %bb.67:
	s_andn2_b64 vcc, exec, s[6:7]
	s_cbranch_vccnz .LBB50_69
; %bb.68:
	scratch_load_dwordx2 v[106:107], v11, off
	ds_read_b64 v[108:109], v1
	s_waitcnt vmcnt(0) lgkmcnt(0)
	v_mul_f64 v[106:107], v[106:107], v[108:109]
	s_cbranch_execz .LBB50_70
	s_branch .LBB50_71
.LBB50_69:
                                        ; implicit-def: $vgpr106_vgpr107
.LBB50_70:
	ds_read_b64 v[106:107], v1
.LBB50_71:
	s_and_saveexec_b64 s[8:9], s[2:3]
	s_cbranch_execz .LBB50_75
; %bb.72:
	s_movk_i32 s31, 0x158
	v_subrev_u32_e32 v108, 43, v0
	s_movk_i32 s33, 0x2f8
	s_mov_b64 s[2:3], 0
.LBB50_73:                              ; =>This Inner Loop Header: Depth=1
	scratch_load_dwordx2 v[110:111], off, s31
	v_mov_b32_e32 v109, s33
	ds_read_b64 v[112:113], v109
	v_add_u32_e32 v108, -1, v108
	s_add_i32 s33, s33, 8
	s_add_i32 s31, s31, 8
	v_cmp_eq_u32_e32 vcc, 0, v108
	s_or_b64 s[2:3], vcc, s[2:3]
	s_waitcnt vmcnt(0) lgkmcnt(0)
	v_fmac_f64_e32 v[106:107], v[110:111], v[112:113]
	s_andn2_b64 exec, exec, s[2:3]
	s_cbranch_execnz .LBB50_73
; %bb.74:
	s_or_b64 exec, exec, s[2:3]
.LBB50_75:
	s_or_b64 exec, exec, s[8:9]
	v_mov_b32_e32 v108, 0
	ds_read_b64 v[108:109], v108 offset:336
	s_waitcnt lgkmcnt(0)
	v_mul_f64 v[106:107], v[106:107], v[108:109]
	scratch_store_dwordx2 off, v[106:107], off offset:336
.LBB50_76:
	s_or_b64 exec, exec, s[4:5]
	scratch_load_dwordx2 v[106:107], off, off offset:328
	v_cmp_lt_u32_e64 s[2:3], 41, v0
	s_waitcnt vmcnt(0)
	ds_write_b64 v1, v[106:107]
	s_waitcnt lgkmcnt(0)
	; wave barrier
	s_and_saveexec_b64 s[4:5], s[2:3]
	s_cbranch_execz .LBB50_86
; %bb.77:
	s_andn2_b64 vcc, exec, s[6:7]
	s_cbranch_vccnz .LBB50_79
; %bb.78:
	scratch_load_dwordx2 v[106:107], v11, off
	ds_read_b64 v[108:109], v1
	s_waitcnt vmcnt(0) lgkmcnt(0)
	v_mul_f64 v[106:107], v[106:107], v[108:109]
	s_cbranch_execz .LBB50_80
	s_branch .LBB50_81
.LBB50_79:
                                        ; implicit-def: $vgpr106_vgpr107
.LBB50_80:
	ds_read_b64 v[106:107], v1
.LBB50_81:
	s_and_saveexec_b64 s[8:9], s[0:1]
	s_cbranch_execz .LBB50_85
; %bb.82:
	v_subrev_u32_e32 v108, 42, v0
	s_movk_i32 s31, 0x2f0
	s_mov_b64 s[0:1], 0
.LBB50_83:                              ; =>This Inner Loop Header: Depth=1
	scratch_load_dwordx2 v[110:111], off, s30
	v_mov_b32_e32 v109, s31
	ds_read_b64 v[112:113], v109
	v_add_u32_e32 v108, -1, v108
	s_add_i32 s31, s31, 8
	s_add_i32 s30, s30, 8
	v_cmp_eq_u32_e32 vcc, 0, v108
	s_or_b64 s[0:1], vcc, s[0:1]
	s_waitcnt vmcnt(0) lgkmcnt(0)
	v_fmac_f64_e32 v[106:107], v[110:111], v[112:113]
	s_andn2_b64 exec, exec, s[0:1]
	s_cbranch_execnz .LBB50_83
; %bb.84:
	s_or_b64 exec, exec, s[0:1]
.LBB50_85:
	s_or_b64 exec, exec, s[8:9]
	v_mov_b32_e32 v108, 0
	ds_read_b64 v[108:109], v108 offset:328
	s_waitcnt lgkmcnt(0)
	v_mul_f64 v[106:107], v[106:107], v[108:109]
	scratch_store_dwordx2 off, v[106:107], off offset:328
.LBB50_86:
	s_or_b64 exec, exec, s[4:5]
	scratch_load_dwordx2 v[106:107], off, off offset:320
	v_cmp_lt_u32_e64 s[0:1], 40, v0
	s_waitcnt vmcnt(0)
	ds_write_b64 v1, v[106:107]
	s_waitcnt lgkmcnt(0)
	; wave barrier
	s_and_saveexec_b64 s[4:5], s[0:1]
	s_cbranch_execz .LBB50_96
; %bb.87:
	s_andn2_b64 vcc, exec, s[6:7]
	s_cbranch_vccnz .LBB50_89
; %bb.88:
	scratch_load_dwordx2 v[106:107], v11, off
	ds_read_b64 v[108:109], v1
	s_waitcnt vmcnt(0) lgkmcnt(0)
	v_mul_f64 v[106:107], v[106:107], v[108:109]
	s_cbranch_execz .LBB50_90
	s_branch .LBB50_91
.LBB50_89:
                                        ; implicit-def: $vgpr106_vgpr107
.LBB50_90:
	ds_read_b64 v[106:107], v1
.LBB50_91:
	s_and_saveexec_b64 s[8:9], s[2:3]
	s_cbranch_execz .LBB50_95
; %bb.92:
	s_movk_i32 s30, 0x148
	v_subrev_u32_e32 v108, 41, v0
	s_movk_i32 s31, 0x2e8
	s_mov_b64 s[2:3], 0
.LBB50_93:                              ; =>This Inner Loop Header: Depth=1
	scratch_load_dwordx2 v[110:111], off, s30
	v_mov_b32_e32 v109, s31
	ds_read_b64 v[112:113], v109
	v_add_u32_e32 v108, -1, v108
	s_add_i32 s31, s31, 8
	s_add_i32 s30, s30, 8
	v_cmp_eq_u32_e32 vcc, 0, v108
	s_or_b64 s[2:3], vcc, s[2:3]
	s_waitcnt vmcnt(0) lgkmcnt(0)
	v_fmac_f64_e32 v[106:107], v[110:111], v[112:113]
	s_andn2_b64 exec, exec, s[2:3]
	s_cbranch_execnz .LBB50_93
; %bb.94:
	s_or_b64 exec, exec, s[2:3]
.LBB50_95:
	s_or_b64 exec, exec, s[8:9]
	v_mov_b32_e32 v108, 0
	ds_read_b64 v[108:109], v108 offset:320
	s_waitcnt lgkmcnt(0)
	v_mul_f64 v[106:107], v[106:107], v[108:109]
	scratch_store_dwordx2 off, v[106:107], off offset:320
.LBB50_96:
	s_or_b64 exec, exec, s[4:5]
	scratch_load_dwordx2 v[106:107], off, off offset:312
	v_cmp_lt_u32_e64 s[2:3], 39, v0
	s_waitcnt vmcnt(0)
	ds_write_b64 v1, v[106:107]
	s_waitcnt lgkmcnt(0)
	; wave barrier
	s_and_saveexec_b64 s[4:5], s[2:3]
	s_cbranch_execz .LBB50_106
; %bb.97:
	s_andn2_b64 vcc, exec, s[6:7]
	s_cbranch_vccnz .LBB50_99
; %bb.98:
	scratch_load_dwordx2 v[106:107], v11, off
	ds_read_b64 v[108:109], v1
	s_waitcnt vmcnt(0) lgkmcnt(0)
	v_mul_f64 v[106:107], v[106:107], v[108:109]
	s_cbranch_execz .LBB50_100
	s_branch .LBB50_101
.LBB50_99:
                                        ; implicit-def: $vgpr106_vgpr107
.LBB50_100:
	ds_read_b64 v[106:107], v1
.LBB50_101:
	s_and_saveexec_b64 s[8:9], s[0:1]
	s_cbranch_execz .LBB50_105
; %bb.102:
	v_subrev_u32_e32 v108, 40, v0
	s_movk_i32 s30, 0x2e0
	s_mov_b64 s[0:1], 0
.LBB50_103:                             ; =>This Inner Loop Header: Depth=1
	scratch_load_dwordx2 v[110:111], off, s29
	v_mov_b32_e32 v109, s30
	ds_read_b64 v[112:113], v109
	v_add_u32_e32 v108, -1, v108
	s_add_i32 s30, s30, 8
	s_add_i32 s29, s29, 8
	v_cmp_eq_u32_e32 vcc, 0, v108
	s_or_b64 s[0:1], vcc, s[0:1]
	s_waitcnt vmcnt(0) lgkmcnt(0)
	v_fmac_f64_e32 v[106:107], v[110:111], v[112:113]
	s_andn2_b64 exec, exec, s[0:1]
	s_cbranch_execnz .LBB50_103
; %bb.104:
	s_or_b64 exec, exec, s[0:1]
.LBB50_105:
	s_or_b64 exec, exec, s[8:9]
	v_mov_b32_e32 v108, 0
	ds_read_b64 v[108:109], v108 offset:312
	s_waitcnt lgkmcnt(0)
	v_mul_f64 v[106:107], v[106:107], v[108:109]
	scratch_store_dwordx2 off, v[106:107], off offset:312
.LBB50_106:
	s_or_b64 exec, exec, s[4:5]
	scratch_load_dwordx2 v[106:107], off, off offset:304
	v_cmp_lt_u32_e64 s[0:1], 38, v0
	s_waitcnt vmcnt(0)
	ds_write_b64 v1, v[106:107]
	s_waitcnt lgkmcnt(0)
	; wave barrier
	s_and_saveexec_b64 s[4:5], s[0:1]
	s_cbranch_execz .LBB50_116
; %bb.107:
	s_andn2_b64 vcc, exec, s[6:7]
	s_cbranch_vccnz .LBB50_109
; %bb.108:
	scratch_load_dwordx2 v[106:107], v11, off
	ds_read_b64 v[108:109], v1
	s_waitcnt vmcnt(0) lgkmcnt(0)
	v_mul_f64 v[106:107], v[106:107], v[108:109]
	s_cbranch_execz .LBB50_110
	s_branch .LBB50_111
.LBB50_109:
                                        ; implicit-def: $vgpr106_vgpr107
.LBB50_110:
	ds_read_b64 v[106:107], v1
.LBB50_111:
	s_and_saveexec_b64 s[8:9], s[2:3]
	s_cbranch_execz .LBB50_115
; %bb.112:
	s_movk_i32 s29, 0x138
	v_subrev_u32_e32 v108, 39, v0
	s_movk_i32 s30, 0x2d8
	s_mov_b64 s[2:3], 0
.LBB50_113:                             ; =>This Inner Loop Header: Depth=1
	scratch_load_dwordx2 v[110:111], off, s29
	v_mov_b32_e32 v109, s30
	ds_read_b64 v[112:113], v109
	v_add_u32_e32 v108, -1, v108
	s_add_i32 s30, s30, 8
	s_add_i32 s29, s29, 8
	v_cmp_eq_u32_e32 vcc, 0, v108
	s_or_b64 s[2:3], vcc, s[2:3]
	s_waitcnt vmcnt(0) lgkmcnt(0)
	v_fmac_f64_e32 v[106:107], v[110:111], v[112:113]
	s_andn2_b64 exec, exec, s[2:3]
	s_cbranch_execnz .LBB50_113
; %bb.114:
	s_or_b64 exec, exec, s[2:3]
.LBB50_115:
	s_or_b64 exec, exec, s[8:9]
	v_mov_b32_e32 v108, 0
	ds_read_b64 v[108:109], v108 offset:304
	s_waitcnt lgkmcnt(0)
	v_mul_f64 v[106:107], v[106:107], v[108:109]
	scratch_store_dwordx2 off, v[106:107], off offset:304
.LBB50_116:
	s_or_b64 exec, exec, s[4:5]
	scratch_load_dwordx2 v[106:107], off, off offset:296
	v_cmp_lt_u32_e64 s[2:3], 37, v0
	s_waitcnt vmcnt(0)
	ds_write_b64 v1, v[106:107]
	s_waitcnt lgkmcnt(0)
	; wave barrier
	s_and_saveexec_b64 s[4:5], s[2:3]
	s_cbranch_execz .LBB50_126
; %bb.117:
	s_andn2_b64 vcc, exec, s[6:7]
	s_cbranch_vccnz .LBB50_119
; %bb.118:
	scratch_load_dwordx2 v[106:107], v11, off
	ds_read_b64 v[108:109], v1
	s_waitcnt vmcnt(0) lgkmcnt(0)
	v_mul_f64 v[106:107], v[106:107], v[108:109]
	s_cbranch_execz .LBB50_120
	s_branch .LBB50_121
.LBB50_119:
                                        ; implicit-def: $vgpr106_vgpr107
.LBB50_120:
	ds_read_b64 v[106:107], v1
.LBB50_121:
	s_and_saveexec_b64 s[8:9], s[0:1]
	s_cbranch_execz .LBB50_125
; %bb.122:
	v_subrev_u32_e32 v108, 38, v0
	s_movk_i32 s29, 0x2d0
	s_mov_b64 s[0:1], 0
.LBB50_123:                             ; =>This Inner Loop Header: Depth=1
	scratch_load_dwordx2 v[110:111], off, s28
	v_mov_b32_e32 v109, s29
	ds_read_b64 v[112:113], v109
	v_add_u32_e32 v108, -1, v108
	s_add_i32 s29, s29, 8
	s_add_i32 s28, s28, 8
	v_cmp_eq_u32_e32 vcc, 0, v108
	s_or_b64 s[0:1], vcc, s[0:1]
	s_waitcnt vmcnt(0) lgkmcnt(0)
	v_fmac_f64_e32 v[106:107], v[110:111], v[112:113]
	s_andn2_b64 exec, exec, s[0:1]
	s_cbranch_execnz .LBB50_123
; %bb.124:
	s_or_b64 exec, exec, s[0:1]
.LBB50_125:
	s_or_b64 exec, exec, s[8:9]
	v_mov_b32_e32 v108, 0
	ds_read_b64 v[108:109], v108 offset:296
	s_waitcnt lgkmcnt(0)
	v_mul_f64 v[106:107], v[106:107], v[108:109]
	scratch_store_dwordx2 off, v[106:107], off offset:296
.LBB50_126:
	s_or_b64 exec, exec, s[4:5]
	scratch_load_dwordx2 v[106:107], off, off offset:288
	v_cmp_lt_u32_e64 s[0:1], 36, v0
	s_waitcnt vmcnt(0)
	ds_write_b64 v1, v[106:107]
	s_waitcnt lgkmcnt(0)
	; wave barrier
	s_and_saveexec_b64 s[4:5], s[0:1]
	s_cbranch_execz .LBB50_136
; %bb.127:
	s_andn2_b64 vcc, exec, s[6:7]
	s_cbranch_vccnz .LBB50_129
; %bb.128:
	scratch_load_dwordx2 v[106:107], v11, off
	ds_read_b64 v[108:109], v1
	s_waitcnt vmcnt(0) lgkmcnt(0)
	v_mul_f64 v[106:107], v[106:107], v[108:109]
	s_cbranch_execz .LBB50_130
	s_branch .LBB50_131
.LBB50_129:
                                        ; implicit-def: $vgpr106_vgpr107
.LBB50_130:
	ds_read_b64 v[106:107], v1
.LBB50_131:
	s_and_saveexec_b64 s[8:9], s[2:3]
	s_cbranch_execz .LBB50_135
; %bb.132:
	s_movk_i32 s28, 0x128
	v_subrev_u32_e32 v108, 37, v0
	s_movk_i32 s29, 0x2c8
	s_mov_b64 s[2:3], 0
.LBB50_133:                             ; =>This Inner Loop Header: Depth=1
	scratch_load_dwordx2 v[110:111], off, s28
	v_mov_b32_e32 v109, s29
	ds_read_b64 v[112:113], v109
	v_add_u32_e32 v108, -1, v108
	s_add_i32 s29, s29, 8
	s_add_i32 s28, s28, 8
	v_cmp_eq_u32_e32 vcc, 0, v108
	s_or_b64 s[2:3], vcc, s[2:3]
	s_waitcnt vmcnt(0) lgkmcnt(0)
	v_fmac_f64_e32 v[106:107], v[110:111], v[112:113]
	s_andn2_b64 exec, exec, s[2:3]
	s_cbranch_execnz .LBB50_133
; %bb.134:
	s_or_b64 exec, exec, s[2:3]
.LBB50_135:
	s_or_b64 exec, exec, s[8:9]
	v_mov_b32_e32 v108, 0
	ds_read_b64 v[108:109], v108 offset:288
	s_waitcnt lgkmcnt(0)
	v_mul_f64 v[106:107], v[106:107], v[108:109]
	scratch_store_dwordx2 off, v[106:107], off offset:288
.LBB50_136:
	s_or_b64 exec, exec, s[4:5]
	scratch_load_dwordx2 v[106:107], off, off offset:280
	v_cmp_lt_u32_e64 s[2:3], 35, v0
	s_waitcnt vmcnt(0)
	ds_write_b64 v1, v[106:107]
	s_waitcnt lgkmcnt(0)
	; wave barrier
	s_and_saveexec_b64 s[4:5], s[2:3]
	s_cbranch_execz .LBB50_146
; %bb.137:
	s_andn2_b64 vcc, exec, s[6:7]
	s_cbranch_vccnz .LBB50_139
; %bb.138:
	scratch_load_dwordx2 v[106:107], v11, off
	ds_read_b64 v[108:109], v1
	s_waitcnt vmcnt(0) lgkmcnt(0)
	v_mul_f64 v[106:107], v[106:107], v[108:109]
	s_cbranch_execz .LBB50_140
	s_branch .LBB50_141
.LBB50_139:
                                        ; implicit-def: $vgpr106_vgpr107
.LBB50_140:
	ds_read_b64 v[106:107], v1
.LBB50_141:
	s_and_saveexec_b64 s[8:9], s[0:1]
	s_cbranch_execz .LBB50_145
; %bb.142:
	v_subrev_u32_e32 v108, 36, v0
	s_movk_i32 s28, 0x2c0
	s_mov_b64 s[0:1], 0
.LBB50_143:                             ; =>This Inner Loop Header: Depth=1
	scratch_load_dwordx2 v[110:111], off, s27
	v_mov_b32_e32 v109, s28
	ds_read_b64 v[112:113], v109
	v_add_u32_e32 v108, -1, v108
	s_add_i32 s28, s28, 8
	s_add_i32 s27, s27, 8
	v_cmp_eq_u32_e32 vcc, 0, v108
	s_or_b64 s[0:1], vcc, s[0:1]
	s_waitcnt vmcnt(0) lgkmcnt(0)
	v_fmac_f64_e32 v[106:107], v[110:111], v[112:113]
	s_andn2_b64 exec, exec, s[0:1]
	s_cbranch_execnz .LBB50_143
; %bb.144:
	s_or_b64 exec, exec, s[0:1]
.LBB50_145:
	s_or_b64 exec, exec, s[8:9]
	v_mov_b32_e32 v108, 0
	ds_read_b64 v[108:109], v108 offset:280
	s_waitcnt lgkmcnt(0)
	v_mul_f64 v[106:107], v[106:107], v[108:109]
	scratch_store_dwordx2 off, v[106:107], off offset:280
.LBB50_146:
	s_or_b64 exec, exec, s[4:5]
	scratch_load_dwordx2 v[106:107], off, off offset:272
	v_cmp_lt_u32_e64 s[0:1], 34, v0
	s_waitcnt vmcnt(0)
	ds_write_b64 v1, v[106:107]
	s_waitcnt lgkmcnt(0)
	; wave barrier
	s_and_saveexec_b64 s[4:5], s[0:1]
	s_cbranch_execz .LBB50_156
; %bb.147:
	s_andn2_b64 vcc, exec, s[6:7]
	s_cbranch_vccnz .LBB50_149
; %bb.148:
	scratch_load_dwordx2 v[106:107], v11, off
	ds_read_b64 v[108:109], v1
	s_waitcnt vmcnt(0) lgkmcnt(0)
	v_mul_f64 v[106:107], v[106:107], v[108:109]
	s_cbranch_execz .LBB50_150
	s_branch .LBB50_151
.LBB50_149:
                                        ; implicit-def: $vgpr106_vgpr107
.LBB50_150:
	ds_read_b64 v[106:107], v1
.LBB50_151:
	s_and_saveexec_b64 s[8:9], s[2:3]
	s_cbranch_execz .LBB50_155
; %bb.152:
	s_movk_i32 s27, 0x118
	v_subrev_u32_e32 v108, 35, v0
	s_movk_i32 s28, 0x2b8
	s_mov_b64 s[2:3], 0
.LBB50_153:                             ; =>This Inner Loop Header: Depth=1
	scratch_load_dwordx2 v[110:111], off, s27
	v_mov_b32_e32 v109, s28
	ds_read_b64 v[112:113], v109
	v_add_u32_e32 v108, -1, v108
	s_add_i32 s28, s28, 8
	s_add_i32 s27, s27, 8
	v_cmp_eq_u32_e32 vcc, 0, v108
	s_or_b64 s[2:3], vcc, s[2:3]
	s_waitcnt vmcnt(0) lgkmcnt(0)
	v_fmac_f64_e32 v[106:107], v[110:111], v[112:113]
	s_andn2_b64 exec, exec, s[2:3]
	s_cbranch_execnz .LBB50_153
; %bb.154:
	s_or_b64 exec, exec, s[2:3]
.LBB50_155:
	s_or_b64 exec, exec, s[8:9]
	v_mov_b32_e32 v108, 0
	ds_read_b64 v[108:109], v108 offset:272
	s_waitcnt lgkmcnt(0)
	v_mul_f64 v[106:107], v[106:107], v[108:109]
	scratch_store_dwordx2 off, v[106:107], off offset:272
.LBB50_156:
	s_or_b64 exec, exec, s[4:5]
	scratch_load_dwordx2 v[106:107], off, off offset:264
	v_cmp_lt_u32_e64 s[2:3], 33, v0
	s_waitcnt vmcnt(0)
	ds_write_b64 v1, v[106:107]
	s_waitcnt lgkmcnt(0)
	; wave barrier
	s_and_saveexec_b64 s[4:5], s[2:3]
	s_cbranch_execz .LBB50_166
; %bb.157:
	s_andn2_b64 vcc, exec, s[6:7]
	s_cbranch_vccnz .LBB50_159
; %bb.158:
	scratch_load_dwordx2 v[106:107], v11, off
	ds_read_b64 v[108:109], v1
	s_waitcnt vmcnt(0) lgkmcnt(0)
	v_mul_f64 v[106:107], v[106:107], v[108:109]
	s_cbranch_execz .LBB50_160
	s_branch .LBB50_161
.LBB50_159:
                                        ; implicit-def: $vgpr106_vgpr107
.LBB50_160:
	ds_read_b64 v[106:107], v1
.LBB50_161:
	s_and_saveexec_b64 s[8:9], s[0:1]
	s_cbranch_execz .LBB50_165
; %bb.162:
	v_subrev_u32_e32 v108, 34, v0
	s_movk_i32 s27, 0x2b0
	s_mov_b64 s[0:1], 0
.LBB50_163:                             ; =>This Inner Loop Header: Depth=1
	scratch_load_dwordx2 v[110:111], off, s26
	v_mov_b32_e32 v109, s27
	ds_read_b64 v[112:113], v109
	v_add_u32_e32 v108, -1, v108
	s_add_i32 s27, s27, 8
	s_add_i32 s26, s26, 8
	v_cmp_eq_u32_e32 vcc, 0, v108
	s_or_b64 s[0:1], vcc, s[0:1]
	s_waitcnt vmcnt(0) lgkmcnt(0)
	v_fmac_f64_e32 v[106:107], v[110:111], v[112:113]
	s_andn2_b64 exec, exec, s[0:1]
	s_cbranch_execnz .LBB50_163
; %bb.164:
	s_or_b64 exec, exec, s[0:1]
.LBB50_165:
	s_or_b64 exec, exec, s[8:9]
	v_mov_b32_e32 v108, 0
	ds_read_b64 v[108:109], v108 offset:264
	s_waitcnt lgkmcnt(0)
	v_mul_f64 v[106:107], v[106:107], v[108:109]
	scratch_store_dwordx2 off, v[106:107], off offset:264
.LBB50_166:
	s_or_b64 exec, exec, s[4:5]
	scratch_load_dwordx2 v[106:107], off, off offset:256
	v_cmp_lt_u32_e64 s[0:1], 32, v0
	s_waitcnt vmcnt(0)
	ds_write_b64 v1, v[106:107]
	s_waitcnt lgkmcnt(0)
	; wave barrier
	s_and_saveexec_b64 s[4:5], s[0:1]
	s_cbranch_execz .LBB50_176
; %bb.167:
	s_andn2_b64 vcc, exec, s[6:7]
	s_cbranch_vccnz .LBB50_169
; %bb.168:
	scratch_load_dwordx2 v[106:107], v11, off
	ds_read_b64 v[108:109], v1
	s_waitcnt vmcnt(0) lgkmcnt(0)
	v_mul_f64 v[106:107], v[106:107], v[108:109]
	s_cbranch_execz .LBB50_170
	s_branch .LBB50_171
.LBB50_169:
                                        ; implicit-def: $vgpr106_vgpr107
.LBB50_170:
	ds_read_b64 v[106:107], v1
.LBB50_171:
	s_and_saveexec_b64 s[8:9], s[2:3]
	s_cbranch_execz .LBB50_175
; %bb.172:
	s_movk_i32 s26, 0x108
	v_subrev_u32_e32 v108, 33, v0
	s_movk_i32 s27, 0x2a8
	s_mov_b64 s[2:3], 0
.LBB50_173:                             ; =>This Inner Loop Header: Depth=1
	scratch_load_dwordx2 v[110:111], off, s26
	v_mov_b32_e32 v109, s27
	ds_read_b64 v[112:113], v109
	v_add_u32_e32 v108, -1, v108
	s_add_i32 s27, s27, 8
	s_add_i32 s26, s26, 8
	v_cmp_eq_u32_e32 vcc, 0, v108
	s_or_b64 s[2:3], vcc, s[2:3]
	s_waitcnt vmcnt(0) lgkmcnt(0)
	v_fmac_f64_e32 v[106:107], v[110:111], v[112:113]
	s_andn2_b64 exec, exec, s[2:3]
	s_cbranch_execnz .LBB50_173
; %bb.174:
	s_or_b64 exec, exec, s[2:3]
.LBB50_175:
	s_or_b64 exec, exec, s[8:9]
	v_mov_b32_e32 v108, 0
	ds_read_b64 v[108:109], v108 offset:256
	s_waitcnt lgkmcnt(0)
	v_mul_f64 v[106:107], v[106:107], v[108:109]
	scratch_store_dwordx2 off, v[106:107], off offset:256
.LBB50_176:
	s_or_b64 exec, exec, s[4:5]
	scratch_load_dwordx2 v[106:107], off, off offset:248
	v_cmp_lt_u32_e64 s[2:3], 31, v0
	s_waitcnt vmcnt(0)
	ds_write_b64 v1, v[106:107]
	s_waitcnt lgkmcnt(0)
	; wave barrier
	s_and_saveexec_b64 s[4:5], s[2:3]
	s_cbranch_execz .LBB50_186
; %bb.177:
	s_andn2_b64 vcc, exec, s[6:7]
	s_cbranch_vccnz .LBB50_179
; %bb.178:
	scratch_load_dwordx2 v[106:107], v11, off
	ds_read_b64 v[108:109], v1
	s_waitcnt vmcnt(0) lgkmcnt(0)
	v_mul_f64 v[106:107], v[106:107], v[108:109]
	s_cbranch_execz .LBB50_180
	s_branch .LBB50_181
.LBB50_179:
                                        ; implicit-def: $vgpr106_vgpr107
.LBB50_180:
	ds_read_b64 v[106:107], v1
.LBB50_181:
	s_and_saveexec_b64 s[8:9], s[0:1]
	s_cbranch_execz .LBB50_185
; %bb.182:
	v_subrev_u32_e32 v108, 32, v0
	s_movk_i32 s26, 0x2a0
	s_mov_b64 s[0:1], 0
.LBB50_183:                             ; =>This Inner Loop Header: Depth=1
	scratch_load_dwordx2 v[110:111], off, s25
	v_mov_b32_e32 v109, s26
	ds_read_b64 v[112:113], v109
	v_add_u32_e32 v108, -1, v108
	s_add_i32 s26, s26, 8
	s_add_i32 s25, s25, 8
	v_cmp_eq_u32_e32 vcc, 0, v108
	s_or_b64 s[0:1], vcc, s[0:1]
	s_waitcnt vmcnt(0) lgkmcnt(0)
	v_fmac_f64_e32 v[106:107], v[110:111], v[112:113]
	s_andn2_b64 exec, exec, s[0:1]
	s_cbranch_execnz .LBB50_183
; %bb.184:
	s_or_b64 exec, exec, s[0:1]
.LBB50_185:
	s_or_b64 exec, exec, s[8:9]
	v_mov_b32_e32 v108, 0
	ds_read_b64 v[108:109], v108 offset:248
	s_waitcnt lgkmcnt(0)
	v_mul_f64 v[106:107], v[106:107], v[108:109]
	scratch_store_dwordx2 off, v[106:107], off offset:248
.LBB50_186:
	s_or_b64 exec, exec, s[4:5]
	scratch_load_dwordx2 v[106:107], off, off offset:240
	v_cmp_lt_u32_e64 s[0:1], 30, v0
	s_waitcnt vmcnt(0)
	ds_write_b64 v1, v[106:107]
	s_waitcnt lgkmcnt(0)
	; wave barrier
	s_and_saveexec_b64 s[4:5], s[0:1]
	s_cbranch_execz .LBB50_196
; %bb.187:
	s_andn2_b64 vcc, exec, s[6:7]
	s_cbranch_vccnz .LBB50_189
; %bb.188:
	scratch_load_dwordx2 v[106:107], v11, off
	ds_read_b64 v[108:109], v1
	s_waitcnt vmcnt(0) lgkmcnt(0)
	v_mul_f64 v[106:107], v[106:107], v[108:109]
	s_cbranch_execz .LBB50_190
	s_branch .LBB50_191
.LBB50_189:
                                        ; implicit-def: $vgpr106_vgpr107
.LBB50_190:
	ds_read_b64 v[106:107], v1
.LBB50_191:
	s_and_saveexec_b64 s[8:9], s[2:3]
	s_cbranch_execz .LBB50_195
; %bb.192:
	s_movk_i32 s25, 0xf8
	v_subrev_u32_e32 v108, 31, v0
	s_movk_i32 s26, 0x298
	s_mov_b64 s[2:3], 0
.LBB50_193:                             ; =>This Inner Loop Header: Depth=1
	scratch_load_dwordx2 v[110:111], off, s25
	v_mov_b32_e32 v109, s26
	ds_read_b64 v[112:113], v109
	v_add_u32_e32 v108, -1, v108
	s_add_i32 s26, s26, 8
	s_add_i32 s25, s25, 8
	v_cmp_eq_u32_e32 vcc, 0, v108
	s_or_b64 s[2:3], vcc, s[2:3]
	s_waitcnt vmcnt(0) lgkmcnt(0)
	v_fmac_f64_e32 v[106:107], v[110:111], v[112:113]
	s_andn2_b64 exec, exec, s[2:3]
	s_cbranch_execnz .LBB50_193
; %bb.194:
	s_or_b64 exec, exec, s[2:3]
.LBB50_195:
	s_or_b64 exec, exec, s[8:9]
	v_mov_b32_e32 v108, 0
	ds_read_b64 v[108:109], v108 offset:240
	s_waitcnt lgkmcnt(0)
	v_mul_f64 v[106:107], v[106:107], v[108:109]
	scratch_store_dwordx2 off, v[106:107], off offset:240
.LBB50_196:
	s_or_b64 exec, exec, s[4:5]
	scratch_load_dwordx2 v[106:107], off, off offset:232
	v_cmp_lt_u32_e64 s[2:3], 29, v0
	s_waitcnt vmcnt(0)
	ds_write_b64 v1, v[106:107]
	s_waitcnt lgkmcnt(0)
	; wave barrier
	s_and_saveexec_b64 s[4:5], s[2:3]
	s_cbranch_execz .LBB50_206
; %bb.197:
	s_andn2_b64 vcc, exec, s[6:7]
	s_cbranch_vccnz .LBB50_199
; %bb.198:
	scratch_load_dwordx2 v[106:107], v11, off
	ds_read_b64 v[108:109], v1
	s_waitcnt vmcnt(0) lgkmcnt(0)
	v_mul_f64 v[106:107], v[106:107], v[108:109]
	s_cbranch_execz .LBB50_200
	s_branch .LBB50_201
.LBB50_199:
                                        ; implicit-def: $vgpr106_vgpr107
.LBB50_200:
	ds_read_b64 v[106:107], v1
.LBB50_201:
	s_and_saveexec_b64 s[8:9], s[0:1]
	s_cbranch_execz .LBB50_205
; %bb.202:
	v_subrev_u32_e32 v108, 30, v0
	s_movk_i32 s25, 0x290
	s_mov_b64 s[0:1], 0
.LBB50_203:                             ; =>This Inner Loop Header: Depth=1
	scratch_load_dwordx2 v[110:111], off, s24
	v_mov_b32_e32 v109, s25
	ds_read_b64 v[112:113], v109
	v_add_u32_e32 v108, -1, v108
	s_add_i32 s25, s25, 8
	s_add_i32 s24, s24, 8
	v_cmp_eq_u32_e32 vcc, 0, v108
	s_or_b64 s[0:1], vcc, s[0:1]
	s_waitcnt vmcnt(0) lgkmcnt(0)
	v_fmac_f64_e32 v[106:107], v[110:111], v[112:113]
	s_andn2_b64 exec, exec, s[0:1]
	s_cbranch_execnz .LBB50_203
; %bb.204:
	s_or_b64 exec, exec, s[0:1]
.LBB50_205:
	s_or_b64 exec, exec, s[8:9]
	v_mov_b32_e32 v108, 0
	ds_read_b64 v[108:109], v108 offset:232
	s_waitcnt lgkmcnt(0)
	v_mul_f64 v[106:107], v[106:107], v[108:109]
	scratch_store_dwordx2 off, v[106:107], off offset:232
.LBB50_206:
	s_or_b64 exec, exec, s[4:5]
	scratch_load_dwordx2 v[106:107], off, off offset:224
	v_cmp_lt_u32_e64 s[0:1], 28, v0
	s_waitcnt vmcnt(0)
	ds_write_b64 v1, v[106:107]
	s_waitcnt lgkmcnt(0)
	; wave barrier
	s_and_saveexec_b64 s[4:5], s[0:1]
	s_cbranch_execz .LBB50_216
; %bb.207:
	s_andn2_b64 vcc, exec, s[6:7]
	s_cbranch_vccnz .LBB50_209
; %bb.208:
	scratch_load_dwordx2 v[106:107], v11, off
	ds_read_b64 v[108:109], v1
	s_waitcnt vmcnt(0) lgkmcnt(0)
	v_mul_f64 v[106:107], v[106:107], v[108:109]
	s_cbranch_execz .LBB50_210
	s_branch .LBB50_211
.LBB50_209:
                                        ; implicit-def: $vgpr106_vgpr107
.LBB50_210:
	ds_read_b64 v[106:107], v1
.LBB50_211:
	s_and_saveexec_b64 s[8:9], s[2:3]
	s_cbranch_execz .LBB50_215
; %bb.212:
	s_movk_i32 s24, 0xe8
	v_subrev_u32_e32 v108, 29, v0
	s_movk_i32 s25, 0x288
	s_mov_b64 s[2:3], 0
.LBB50_213:                             ; =>This Inner Loop Header: Depth=1
	scratch_load_dwordx2 v[110:111], off, s24
	v_mov_b32_e32 v109, s25
	ds_read_b64 v[112:113], v109
	v_add_u32_e32 v108, -1, v108
	s_add_i32 s25, s25, 8
	s_add_i32 s24, s24, 8
	v_cmp_eq_u32_e32 vcc, 0, v108
	s_or_b64 s[2:3], vcc, s[2:3]
	s_waitcnt vmcnt(0) lgkmcnt(0)
	v_fmac_f64_e32 v[106:107], v[110:111], v[112:113]
	s_andn2_b64 exec, exec, s[2:3]
	s_cbranch_execnz .LBB50_213
; %bb.214:
	s_or_b64 exec, exec, s[2:3]
.LBB50_215:
	s_or_b64 exec, exec, s[8:9]
	v_mov_b32_e32 v108, 0
	ds_read_b64 v[108:109], v108 offset:224
	s_waitcnt lgkmcnt(0)
	v_mul_f64 v[106:107], v[106:107], v[108:109]
	scratch_store_dwordx2 off, v[106:107], off offset:224
.LBB50_216:
	s_or_b64 exec, exec, s[4:5]
	scratch_load_dwordx2 v[106:107], off, off offset:216
	v_cmp_lt_u32_e64 s[2:3], 27, v0
	s_waitcnt vmcnt(0)
	ds_write_b64 v1, v[106:107]
	s_waitcnt lgkmcnt(0)
	; wave barrier
	s_and_saveexec_b64 s[4:5], s[2:3]
	s_cbranch_execz .LBB50_226
; %bb.217:
	s_andn2_b64 vcc, exec, s[6:7]
	s_cbranch_vccnz .LBB50_219
; %bb.218:
	scratch_load_dwordx2 v[106:107], v11, off
	ds_read_b64 v[108:109], v1
	s_waitcnt vmcnt(0) lgkmcnt(0)
	v_mul_f64 v[106:107], v[106:107], v[108:109]
	s_cbranch_execz .LBB50_220
	s_branch .LBB50_221
.LBB50_219:
                                        ; implicit-def: $vgpr106_vgpr107
.LBB50_220:
	ds_read_b64 v[106:107], v1
.LBB50_221:
	s_and_saveexec_b64 s[8:9], s[0:1]
	s_cbranch_execz .LBB50_225
; %bb.222:
	v_subrev_u32_e32 v108, 28, v0
	s_movk_i32 s24, 0x280
	s_mov_b64 s[0:1], 0
.LBB50_223:                             ; =>This Inner Loop Header: Depth=1
	scratch_load_dwordx2 v[110:111], off, s23
	v_mov_b32_e32 v109, s24
	ds_read_b64 v[112:113], v109
	v_add_u32_e32 v108, -1, v108
	s_add_i32 s24, s24, 8
	s_add_i32 s23, s23, 8
	v_cmp_eq_u32_e32 vcc, 0, v108
	s_or_b64 s[0:1], vcc, s[0:1]
	s_waitcnt vmcnt(0) lgkmcnt(0)
	v_fmac_f64_e32 v[106:107], v[110:111], v[112:113]
	s_andn2_b64 exec, exec, s[0:1]
	s_cbranch_execnz .LBB50_223
; %bb.224:
	s_or_b64 exec, exec, s[0:1]
.LBB50_225:
	s_or_b64 exec, exec, s[8:9]
	v_mov_b32_e32 v108, 0
	ds_read_b64 v[108:109], v108 offset:216
	s_waitcnt lgkmcnt(0)
	v_mul_f64 v[106:107], v[106:107], v[108:109]
	scratch_store_dwordx2 off, v[106:107], off offset:216
.LBB50_226:
	s_or_b64 exec, exec, s[4:5]
	scratch_load_dwordx2 v[106:107], off, off offset:208
	v_cmp_lt_u32_e64 s[0:1], 26, v0
	s_waitcnt vmcnt(0)
	ds_write_b64 v1, v[106:107]
	s_waitcnt lgkmcnt(0)
	; wave barrier
	s_and_saveexec_b64 s[4:5], s[0:1]
	s_cbranch_execz .LBB50_236
; %bb.227:
	s_andn2_b64 vcc, exec, s[6:7]
	s_cbranch_vccnz .LBB50_229
; %bb.228:
	scratch_load_dwordx2 v[106:107], v11, off
	ds_read_b64 v[108:109], v1
	s_waitcnt vmcnt(0) lgkmcnt(0)
	v_mul_f64 v[106:107], v[106:107], v[108:109]
	s_cbranch_execz .LBB50_230
	s_branch .LBB50_231
.LBB50_229:
                                        ; implicit-def: $vgpr106_vgpr107
.LBB50_230:
	ds_read_b64 v[106:107], v1
.LBB50_231:
	s_and_saveexec_b64 s[8:9], s[2:3]
	s_cbranch_execz .LBB50_235
; %bb.232:
	s_movk_i32 s23, 0xd8
	v_subrev_u32_e32 v108, 27, v0
	s_movk_i32 s24, 0x278
	s_mov_b64 s[2:3], 0
.LBB50_233:                             ; =>This Inner Loop Header: Depth=1
	scratch_load_dwordx2 v[110:111], off, s23
	v_mov_b32_e32 v109, s24
	ds_read_b64 v[112:113], v109
	v_add_u32_e32 v108, -1, v108
	s_add_i32 s24, s24, 8
	s_add_i32 s23, s23, 8
	v_cmp_eq_u32_e32 vcc, 0, v108
	s_or_b64 s[2:3], vcc, s[2:3]
	s_waitcnt vmcnt(0) lgkmcnt(0)
	v_fmac_f64_e32 v[106:107], v[110:111], v[112:113]
	s_andn2_b64 exec, exec, s[2:3]
	s_cbranch_execnz .LBB50_233
; %bb.234:
	s_or_b64 exec, exec, s[2:3]
.LBB50_235:
	s_or_b64 exec, exec, s[8:9]
	v_mov_b32_e32 v108, 0
	ds_read_b64 v[108:109], v108 offset:208
	s_waitcnt lgkmcnt(0)
	v_mul_f64 v[106:107], v[106:107], v[108:109]
	scratch_store_dwordx2 off, v[106:107], off offset:208
.LBB50_236:
	s_or_b64 exec, exec, s[4:5]
	scratch_load_dwordx2 v[106:107], off, off offset:200
	v_cmp_lt_u32_e64 s[2:3], 25, v0
	s_waitcnt vmcnt(0)
	ds_write_b64 v1, v[106:107]
	s_waitcnt lgkmcnt(0)
	; wave barrier
	s_and_saveexec_b64 s[4:5], s[2:3]
	s_cbranch_execz .LBB50_246
; %bb.237:
	s_andn2_b64 vcc, exec, s[6:7]
	s_cbranch_vccnz .LBB50_239
; %bb.238:
	scratch_load_dwordx2 v[106:107], v11, off
	ds_read_b64 v[108:109], v1
	s_waitcnt vmcnt(0) lgkmcnt(0)
	v_mul_f64 v[106:107], v[106:107], v[108:109]
	s_cbranch_execz .LBB50_240
	s_branch .LBB50_241
.LBB50_239:
                                        ; implicit-def: $vgpr106_vgpr107
.LBB50_240:
	ds_read_b64 v[106:107], v1
.LBB50_241:
	s_and_saveexec_b64 s[8:9], s[0:1]
	s_cbranch_execz .LBB50_245
; %bb.242:
	v_subrev_u32_e32 v108, 26, v0
	s_movk_i32 s23, 0x270
	s_mov_b64 s[0:1], 0
.LBB50_243:                             ; =>This Inner Loop Header: Depth=1
	scratch_load_dwordx2 v[110:111], off, s22
	v_mov_b32_e32 v109, s23
	ds_read_b64 v[112:113], v109
	v_add_u32_e32 v108, -1, v108
	s_add_i32 s23, s23, 8
	s_add_i32 s22, s22, 8
	v_cmp_eq_u32_e32 vcc, 0, v108
	s_or_b64 s[0:1], vcc, s[0:1]
	s_waitcnt vmcnt(0) lgkmcnt(0)
	v_fmac_f64_e32 v[106:107], v[110:111], v[112:113]
	s_andn2_b64 exec, exec, s[0:1]
	s_cbranch_execnz .LBB50_243
; %bb.244:
	s_or_b64 exec, exec, s[0:1]
.LBB50_245:
	s_or_b64 exec, exec, s[8:9]
	v_mov_b32_e32 v108, 0
	ds_read_b64 v[108:109], v108 offset:200
	s_waitcnt lgkmcnt(0)
	v_mul_f64 v[106:107], v[106:107], v[108:109]
	scratch_store_dwordx2 off, v[106:107], off offset:200
.LBB50_246:
	s_or_b64 exec, exec, s[4:5]
	scratch_load_dwordx2 v[106:107], off, off offset:192
	v_cmp_lt_u32_e64 s[0:1], 24, v0
	s_waitcnt vmcnt(0)
	ds_write_b64 v1, v[106:107]
	s_waitcnt lgkmcnt(0)
	; wave barrier
	s_and_saveexec_b64 s[4:5], s[0:1]
	s_cbranch_execz .LBB50_256
; %bb.247:
	s_andn2_b64 vcc, exec, s[6:7]
	s_cbranch_vccnz .LBB50_249
; %bb.248:
	scratch_load_dwordx2 v[106:107], v11, off
	ds_read_b64 v[108:109], v1
	s_waitcnt vmcnt(0) lgkmcnt(0)
	v_mul_f64 v[106:107], v[106:107], v[108:109]
	s_cbranch_execz .LBB50_250
	s_branch .LBB50_251
.LBB50_249:
                                        ; implicit-def: $vgpr106_vgpr107
.LBB50_250:
	ds_read_b64 v[106:107], v1
.LBB50_251:
	s_and_saveexec_b64 s[8:9], s[2:3]
	s_cbranch_execz .LBB50_255
; %bb.252:
	s_movk_i32 s22, 0xc8
	v_subrev_u32_e32 v108, 25, v0
	s_movk_i32 s23, 0x268
	s_mov_b64 s[2:3], 0
.LBB50_253:                             ; =>This Inner Loop Header: Depth=1
	scratch_load_dwordx2 v[110:111], off, s22
	v_mov_b32_e32 v109, s23
	ds_read_b64 v[112:113], v109
	v_add_u32_e32 v108, -1, v108
	s_add_i32 s23, s23, 8
	s_add_i32 s22, s22, 8
	v_cmp_eq_u32_e32 vcc, 0, v108
	s_or_b64 s[2:3], vcc, s[2:3]
	s_waitcnt vmcnt(0) lgkmcnt(0)
	v_fmac_f64_e32 v[106:107], v[110:111], v[112:113]
	s_andn2_b64 exec, exec, s[2:3]
	s_cbranch_execnz .LBB50_253
; %bb.254:
	s_or_b64 exec, exec, s[2:3]
.LBB50_255:
	s_or_b64 exec, exec, s[8:9]
	v_mov_b32_e32 v108, 0
	ds_read_b64 v[108:109], v108 offset:192
	s_waitcnt lgkmcnt(0)
	v_mul_f64 v[106:107], v[106:107], v[108:109]
	scratch_store_dwordx2 off, v[106:107], off offset:192
.LBB50_256:
	s_or_b64 exec, exec, s[4:5]
	scratch_load_dwordx2 v[106:107], off, off offset:184
	v_cmp_lt_u32_e64 s[2:3], 23, v0
	s_waitcnt vmcnt(0)
	ds_write_b64 v1, v[106:107]
	s_waitcnt lgkmcnt(0)
	; wave barrier
	s_and_saveexec_b64 s[4:5], s[2:3]
	s_cbranch_execz .LBB50_266
; %bb.257:
	s_andn2_b64 vcc, exec, s[6:7]
	s_cbranch_vccnz .LBB50_259
; %bb.258:
	scratch_load_dwordx2 v[106:107], v11, off
	ds_read_b64 v[108:109], v1
	s_waitcnt vmcnt(0) lgkmcnt(0)
	v_mul_f64 v[106:107], v[106:107], v[108:109]
	s_cbranch_execz .LBB50_260
	s_branch .LBB50_261
.LBB50_259:
                                        ; implicit-def: $vgpr106_vgpr107
.LBB50_260:
	ds_read_b64 v[106:107], v1
.LBB50_261:
	s_and_saveexec_b64 s[8:9], s[0:1]
	s_cbranch_execz .LBB50_265
; %bb.262:
	v_subrev_u32_e32 v108, 24, v0
	s_movk_i32 s22, 0x260
	s_mov_b64 s[0:1], 0
.LBB50_263:                             ; =>This Inner Loop Header: Depth=1
	scratch_load_dwordx2 v[110:111], off, s21
	v_mov_b32_e32 v109, s22
	ds_read_b64 v[112:113], v109
	v_add_u32_e32 v108, -1, v108
	s_add_i32 s22, s22, 8
	s_add_i32 s21, s21, 8
	v_cmp_eq_u32_e32 vcc, 0, v108
	s_or_b64 s[0:1], vcc, s[0:1]
	s_waitcnt vmcnt(0) lgkmcnt(0)
	v_fmac_f64_e32 v[106:107], v[110:111], v[112:113]
	s_andn2_b64 exec, exec, s[0:1]
	s_cbranch_execnz .LBB50_263
; %bb.264:
	s_or_b64 exec, exec, s[0:1]
.LBB50_265:
	s_or_b64 exec, exec, s[8:9]
	v_mov_b32_e32 v108, 0
	ds_read_b64 v[108:109], v108 offset:184
	s_waitcnt lgkmcnt(0)
	v_mul_f64 v[106:107], v[106:107], v[108:109]
	scratch_store_dwordx2 off, v[106:107], off offset:184
.LBB50_266:
	s_or_b64 exec, exec, s[4:5]
	scratch_load_dwordx2 v[106:107], off, off offset:176
	v_cmp_lt_u32_e64 s[0:1], 22, v0
	s_waitcnt vmcnt(0)
	ds_write_b64 v1, v[106:107]
	s_waitcnt lgkmcnt(0)
	; wave barrier
	s_and_saveexec_b64 s[4:5], s[0:1]
	s_cbranch_execz .LBB50_276
; %bb.267:
	s_andn2_b64 vcc, exec, s[6:7]
	s_cbranch_vccnz .LBB50_269
; %bb.268:
	scratch_load_dwordx2 v[106:107], v11, off
	ds_read_b64 v[108:109], v1
	s_waitcnt vmcnt(0) lgkmcnt(0)
	v_mul_f64 v[106:107], v[106:107], v[108:109]
	s_cbranch_execz .LBB50_270
	s_branch .LBB50_271
.LBB50_269:
                                        ; implicit-def: $vgpr106_vgpr107
.LBB50_270:
	ds_read_b64 v[106:107], v1
.LBB50_271:
	s_and_saveexec_b64 s[8:9], s[2:3]
	s_cbranch_execz .LBB50_275
; %bb.272:
	s_movk_i32 s21, 0xb8
	v_subrev_u32_e32 v108, 23, v0
	s_movk_i32 s22, 0x258
	s_mov_b64 s[2:3], 0
.LBB50_273:                             ; =>This Inner Loop Header: Depth=1
	scratch_load_dwordx2 v[110:111], off, s21
	v_mov_b32_e32 v109, s22
	ds_read_b64 v[112:113], v109
	v_add_u32_e32 v108, -1, v108
	s_add_i32 s22, s22, 8
	s_add_i32 s21, s21, 8
	v_cmp_eq_u32_e32 vcc, 0, v108
	s_or_b64 s[2:3], vcc, s[2:3]
	s_waitcnt vmcnt(0) lgkmcnt(0)
	v_fmac_f64_e32 v[106:107], v[110:111], v[112:113]
	s_andn2_b64 exec, exec, s[2:3]
	s_cbranch_execnz .LBB50_273
; %bb.274:
	s_or_b64 exec, exec, s[2:3]
.LBB50_275:
	s_or_b64 exec, exec, s[8:9]
	v_mov_b32_e32 v108, 0
	ds_read_b64 v[108:109], v108 offset:176
	s_waitcnt lgkmcnt(0)
	v_mul_f64 v[106:107], v[106:107], v[108:109]
	scratch_store_dwordx2 off, v[106:107], off offset:176
.LBB50_276:
	s_or_b64 exec, exec, s[4:5]
	scratch_load_dwordx2 v[106:107], off, off offset:168
	v_cmp_lt_u32_e64 s[2:3], 21, v0
	s_waitcnt vmcnt(0)
	ds_write_b64 v1, v[106:107]
	s_waitcnt lgkmcnt(0)
	; wave barrier
	s_and_saveexec_b64 s[4:5], s[2:3]
	s_cbranch_execz .LBB50_286
; %bb.277:
	s_andn2_b64 vcc, exec, s[6:7]
	s_cbranch_vccnz .LBB50_279
; %bb.278:
	scratch_load_dwordx2 v[106:107], v11, off
	ds_read_b64 v[108:109], v1
	s_waitcnt vmcnt(0) lgkmcnt(0)
	v_mul_f64 v[106:107], v[106:107], v[108:109]
	s_cbranch_execz .LBB50_280
	s_branch .LBB50_281
.LBB50_279:
                                        ; implicit-def: $vgpr106_vgpr107
.LBB50_280:
	ds_read_b64 v[106:107], v1
.LBB50_281:
	s_and_saveexec_b64 s[8:9], s[0:1]
	s_cbranch_execz .LBB50_285
; %bb.282:
	v_subrev_u32_e32 v108, 22, v0
	s_movk_i32 s21, 0x250
	s_mov_b64 s[0:1], 0
.LBB50_283:                             ; =>This Inner Loop Header: Depth=1
	scratch_load_dwordx2 v[110:111], off, s20
	v_mov_b32_e32 v109, s21
	ds_read_b64 v[112:113], v109
	v_add_u32_e32 v108, -1, v108
	s_add_i32 s21, s21, 8
	s_add_i32 s20, s20, 8
	v_cmp_eq_u32_e32 vcc, 0, v108
	s_or_b64 s[0:1], vcc, s[0:1]
	s_waitcnt vmcnt(0) lgkmcnt(0)
	v_fmac_f64_e32 v[106:107], v[110:111], v[112:113]
	s_andn2_b64 exec, exec, s[0:1]
	s_cbranch_execnz .LBB50_283
; %bb.284:
	s_or_b64 exec, exec, s[0:1]
.LBB50_285:
	s_or_b64 exec, exec, s[8:9]
	v_mov_b32_e32 v108, 0
	ds_read_b64 v[108:109], v108 offset:168
	s_waitcnt lgkmcnt(0)
	v_mul_f64 v[106:107], v[106:107], v[108:109]
	scratch_store_dwordx2 off, v[106:107], off offset:168
.LBB50_286:
	s_or_b64 exec, exec, s[4:5]
	scratch_load_dwordx2 v[106:107], off, off offset:160
	v_cmp_lt_u32_e64 s[0:1], 20, v0
	s_waitcnt vmcnt(0)
	ds_write_b64 v1, v[106:107]
	s_waitcnt lgkmcnt(0)
	; wave barrier
	s_and_saveexec_b64 s[4:5], s[0:1]
	s_cbranch_execz .LBB50_296
; %bb.287:
	s_andn2_b64 vcc, exec, s[6:7]
	s_cbranch_vccnz .LBB50_289
; %bb.288:
	scratch_load_dwordx2 v[106:107], v11, off
	ds_read_b64 v[108:109], v1
	s_waitcnt vmcnt(0) lgkmcnt(0)
	v_mul_f64 v[106:107], v[106:107], v[108:109]
	s_cbranch_execz .LBB50_290
	s_branch .LBB50_291
.LBB50_289:
                                        ; implicit-def: $vgpr106_vgpr107
.LBB50_290:
	ds_read_b64 v[106:107], v1
.LBB50_291:
	s_and_saveexec_b64 s[8:9], s[2:3]
	s_cbranch_execz .LBB50_295
; %bb.292:
	s_movk_i32 s20, 0xa8
	v_subrev_u32_e32 v108, 21, v0
	s_movk_i32 s21, 0x248
	s_mov_b64 s[2:3], 0
.LBB50_293:                             ; =>This Inner Loop Header: Depth=1
	scratch_load_dwordx2 v[110:111], off, s20
	v_mov_b32_e32 v109, s21
	ds_read_b64 v[112:113], v109
	v_add_u32_e32 v108, -1, v108
	s_add_i32 s21, s21, 8
	s_add_i32 s20, s20, 8
	v_cmp_eq_u32_e32 vcc, 0, v108
	s_or_b64 s[2:3], vcc, s[2:3]
	s_waitcnt vmcnt(0) lgkmcnt(0)
	v_fmac_f64_e32 v[106:107], v[110:111], v[112:113]
	s_andn2_b64 exec, exec, s[2:3]
	s_cbranch_execnz .LBB50_293
; %bb.294:
	s_or_b64 exec, exec, s[2:3]
.LBB50_295:
	s_or_b64 exec, exec, s[8:9]
	v_mov_b32_e32 v108, 0
	ds_read_b64 v[108:109], v108 offset:160
	s_waitcnt lgkmcnt(0)
	v_mul_f64 v[106:107], v[106:107], v[108:109]
	scratch_store_dwordx2 off, v[106:107], off offset:160
.LBB50_296:
	s_or_b64 exec, exec, s[4:5]
	scratch_load_dwordx2 v[106:107], off, off offset:152
	v_cmp_lt_u32_e64 s[2:3], 19, v0
	s_waitcnt vmcnt(0)
	ds_write_b64 v1, v[106:107]
	s_waitcnt lgkmcnt(0)
	; wave barrier
	s_and_saveexec_b64 s[4:5], s[2:3]
	s_cbranch_execz .LBB50_306
; %bb.297:
	s_andn2_b64 vcc, exec, s[6:7]
	s_cbranch_vccnz .LBB50_299
; %bb.298:
	scratch_load_dwordx2 v[106:107], v11, off
	ds_read_b64 v[108:109], v1
	s_waitcnt vmcnt(0) lgkmcnt(0)
	v_mul_f64 v[106:107], v[106:107], v[108:109]
	s_cbranch_execz .LBB50_300
	s_branch .LBB50_301
.LBB50_299:
                                        ; implicit-def: $vgpr106_vgpr107
.LBB50_300:
	ds_read_b64 v[106:107], v1
.LBB50_301:
	s_and_saveexec_b64 s[8:9], s[0:1]
	s_cbranch_execz .LBB50_305
; %bb.302:
	v_subrev_u32_e32 v108, 20, v0
	s_movk_i32 s20, 0x240
	s_mov_b64 s[0:1], 0
.LBB50_303:                             ; =>This Inner Loop Header: Depth=1
	scratch_load_dwordx2 v[110:111], off, s19
	v_mov_b32_e32 v109, s20
	ds_read_b64 v[112:113], v109
	v_add_u32_e32 v108, -1, v108
	s_add_i32 s20, s20, 8
	s_add_i32 s19, s19, 8
	v_cmp_eq_u32_e32 vcc, 0, v108
	s_or_b64 s[0:1], vcc, s[0:1]
	s_waitcnt vmcnt(0) lgkmcnt(0)
	v_fmac_f64_e32 v[106:107], v[110:111], v[112:113]
	s_andn2_b64 exec, exec, s[0:1]
	s_cbranch_execnz .LBB50_303
; %bb.304:
	s_or_b64 exec, exec, s[0:1]
.LBB50_305:
	s_or_b64 exec, exec, s[8:9]
	v_mov_b32_e32 v108, 0
	ds_read_b64 v[108:109], v108 offset:152
	s_waitcnt lgkmcnt(0)
	v_mul_f64 v[106:107], v[106:107], v[108:109]
	scratch_store_dwordx2 off, v[106:107], off offset:152
.LBB50_306:
	s_or_b64 exec, exec, s[4:5]
	scratch_load_dwordx2 v[106:107], off, off offset:144
	v_cmp_lt_u32_e64 s[0:1], 18, v0
	s_waitcnt vmcnt(0)
	ds_write_b64 v1, v[106:107]
	s_waitcnt lgkmcnt(0)
	; wave barrier
	s_and_saveexec_b64 s[4:5], s[0:1]
	s_cbranch_execz .LBB50_316
; %bb.307:
	s_andn2_b64 vcc, exec, s[6:7]
	s_cbranch_vccnz .LBB50_309
; %bb.308:
	scratch_load_dwordx2 v[106:107], v11, off
	ds_read_b64 v[108:109], v1
	s_waitcnt vmcnt(0) lgkmcnt(0)
	v_mul_f64 v[106:107], v[106:107], v[108:109]
	s_cbranch_execz .LBB50_310
	s_branch .LBB50_311
.LBB50_309:
                                        ; implicit-def: $vgpr106_vgpr107
.LBB50_310:
	ds_read_b64 v[106:107], v1
.LBB50_311:
	s_and_saveexec_b64 s[8:9], s[2:3]
	s_cbranch_execz .LBB50_315
; %bb.312:
	s_movk_i32 s19, 0x98
	v_subrev_u32_e32 v108, 19, v0
	s_movk_i32 s20, 0x238
	s_mov_b64 s[2:3], 0
.LBB50_313:                             ; =>This Inner Loop Header: Depth=1
	scratch_load_dwordx2 v[110:111], off, s19
	v_mov_b32_e32 v109, s20
	ds_read_b64 v[112:113], v109
	v_add_u32_e32 v108, -1, v108
	s_add_i32 s20, s20, 8
	s_add_i32 s19, s19, 8
	v_cmp_eq_u32_e32 vcc, 0, v108
	s_or_b64 s[2:3], vcc, s[2:3]
	s_waitcnt vmcnt(0) lgkmcnt(0)
	v_fmac_f64_e32 v[106:107], v[110:111], v[112:113]
	s_andn2_b64 exec, exec, s[2:3]
	s_cbranch_execnz .LBB50_313
; %bb.314:
	s_or_b64 exec, exec, s[2:3]
.LBB50_315:
	s_or_b64 exec, exec, s[8:9]
	v_mov_b32_e32 v108, 0
	ds_read_b64 v[108:109], v108 offset:144
	s_waitcnt lgkmcnt(0)
	v_mul_f64 v[106:107], v[106:107], v[108:109]
	scratch_store_dwordx2 off, v[106:107], off offset:144
.LBB50_316:
	s_or_b64 exec, exec, s[4:5]
	scratch_load_dwordx2 v[106:107], off, off offset:136
	v_cmp_lt_u32_e64 s[2:3], 17, v0
	s_waitcnt vmcnt(0)
	ds_write_b64 v1, v[106:107]
	s_waitcnt lgkmcnt(0)
	; wave barrier
	s_and_saveexec_b64 s[4:5], s[2:3]
	s_cbranch_execz .LBB50_326
; %bb.317:
	s_andn2_b64 vcc, exec, s[6:7]
	s_cbranch_vccnz .LBB50_319
; %bb.318:
	scratch_load_dwordx2 v[106:107], v11, off
	ds_read_b64 v[108:109], v1
	s_waitcnt vmcnt(0) lgkmcnt(0)
	v_mul_f64 v[106:107], v[106:107], v[108:109]
	s_cbranch_execz .LBB50_320
	s_branch .LBB50_321
.LBB50_319:
                                        ; implicit-def: $vgpr106_vgpr107
.LBB50_320:
	ds_read_b64 v[106:107], v1
.LBB50_321:
	s_and_saveexec_b64 s[8:9], s[0:1]
	s_cbranch_execz .LBB50_325
; %bb.322:
	v_subrev_u32_e32 v108, 18, v0
	s_movk_i32 s19, 0x230
	s_mov_b64 s[0:1], 0
.LBB50_323:                             ; =>This Inner Loop Header: Depth=1
	scratch_load_dwordx2 v[110:111], off, s18
	v_mov_b32_e32 v109, s19
	ds_read_b64 v[112:113], v109
	v_add_u32_e32 v108, -1, v108
	s_add_i32 s19, s19, 8
	s_add_i32 s18, s18, 8
	v_cmp_eq_u32_e32 vcc, 0, v108
	s_or_b64 s[0:1], vcc, s[0:1]
	s_waitcnt vmcnt(0) lgkmcnt(0)
	v_fmac_f64_e32 v[106:107], v[110:111], v[112:113]
	s_andn2_b64 exec, exec, s[0:1]
	s_cbranch_execnz .LBB50_323
; %bb.324:
	s_or_b64 exec, exec, s[0:1]
.LBB50_325:
	s_or_b64 exec, exec, s[8:9]
	v_mov_b32_e32 v108, 0
	ds_read_b64 v[108:109], v108 offset:136
	s_waitcnt lgkmcnt(0)
	v_mul_f64 v[106:107], v[106:107], v[108:109]
	scratch_store_dwordx2 off, v[106:107], off offset:136
.LBB50_326:
	s_or_b64 exec, exec, s[4:5]
	scratch_load_dwordx2 v[106:107], off, off offset:128
	v_cmp_lt_u32_e64 s[0:1], 16, v0
	s_waitcnt vmcnt(0)
	ds_write_b64 v1, v[106:107]
	s_waitcnt lgkmcnt(0)
	; wave barrier
	s_and_saveexec_b64 s[4:5], s[0:1]
	s_cbranch_execz .LBB50_336
; %bb.327:
	s_andn2_b64 vcc, exec, s[6:7]
	s_cbranch_vccnz .LBB50_329
; %bb.328:
	scratch_load_dwordx2 v[106:107], v11, off
	ds_read_b64 v[108:109], v1
	s_waitcnt vmcnt(0) lgkmcnt(0)
	v_mul_f64 v[106:107], v[106:107], v[108:109]
	s_cbranch_execz .LBB50_330
	s_branch .LBB50_331
.LBB50_329:
                                        ; implicit-def: $vgpr106_vgpr107
.LBB50_330:
	ds_read_b64 v[106:107], v1
.LBB50_331:
	s_and_saveexec_b64 s[8:9], s[2:3]
	s_cbranch_execz .LBB50_335
; %bb.332:
	s_movk_i32 s18, 0x88
	v_subrev_u32_e32 v108, 17, v0
	s_movk_i32 s19, 0x228
	s_mov_b64 s[2:3], 0
.LBB50_333:                             ; =>This Inner Loop Header: Depth=1
	scratch_load_dwordx2 v[110:111], off, s18
	v_mov_b32_e32 v109, s19
	ds_read_b64 v[112:113], v109
	v_add_u32_e32 v108, -1, v108
	s_add_i32 s19, s19, 8
	s_add_i32 s18, s18, 8
	v_cmp_eq_u32_e32 vcc, 0, v108
	s_or_b64 s[2:3], vcc, s[2:3]
	s_waitcnt vmcnt(0) lgkmcnt(0)
	v_fmac_f64_e32 v[106:107], v[110:111], v[112:113]
	s_andn2_b64 exec, exec, s[2:3]
	s_cbranch_execnz .LBB50_333
; %bb.334:
	s_or_b64 exec, exec, s[2:3]
.LBB50_335:
	s_or_b64 exec, exec, s[8:9]
	v_mov_b32_e32 v108, 0
	ds_read_b64 v[108:109], v108 offset:128
	s_waitcnt lgkmcnt(0)
	v_mul_f64 v[106:107], v[106:107], v[108:109]
	scratch_store_dwordx2 off, v[106:107], off offset:128
.LBB50_336:
	s_or_b64 exec, exec, s[4:5]
	scratch_load_dwordx2 v[106:107], off, off offset:120
	v_cmp_lt_u32_e64 s[2:3], 15, v0
	s_waitcnt vmcnt(0)
	ds_write_b64 v1, v[106:107]
	s_waitcnt lgkmcnt(0)
	; wave barrier
	s_and_saveexec_b64 s[4:5], s[2:3]
	s_cbranch_execz .LBB50_346
; %bb.337:
	s_andn2_b64 vcc, exec, s[6:7]
	s_cbranch_vccnz .LBB50_339
; %bb.338:
	scratch_load_dwordx2 v[106:107], v11, off
	ds_read_b64 v[108:109], v1
	s_waitcnt vmcnt(0) lgkmcnt(0)
	v_mul_f64 v[106:107], v[106:107], v[108:109]
	s_cbranch_execz .LBB50_340
	s_branch .LBB50_341
.LBB50_339:
                                        ; implicit-def: $vgpr106_vgpr107
.LBB50_340:
	ds_read_b64 v[106:107], v1
.LBB50_341:
	s_and_saveexec_b64 s[8:9], s[0:1]
	s_cbranch_execz .LBB50_345
; %bb.342:
	v_add_u32_e32 v108, -16, v0
	s_movk_i32 s18, 0x220
	s_mov_b64 s[0:1], 0
.LBB50_343:                             ; =>This Inner Loop Header: Depth=1
	scratch_load_dwordx2 v[110:111], off, s17
	v_mov_b32_e32 v109, s18
	ds_read_b64 v[112:113], v109
	v_add_u32_e32 v108, -1, v108
	s_add_i32 s18, s18, 8
	s_add_i32 s17, s17, 8
	v_cmp_eq_u32_e32 vcc, 0, v108
	s_or_b64 s[0:1], vcc, s[0:1]
	s_waitcnt vmcnt(0) lgkmcnt(0)
	v_fmac_f64_e32 v[106:107], v[110:111], v[112:113]
	s_andn2_b64 exec, exec, s[0:1]
	s_cbranch_execnz .LBB50_343
; %bb.344:
	s_or_b64 exec, exec, s[0:1]
.LBB50_345:
	s_or_b64 exec, exec, s[8:9]
	v_mov_b32_e32 v108, 0
	ds_read_b64 v[108:109], v108 offset:120
	s_waitcnt lgkmcnt(0)
	v_mul_f64 v[106:107], v[106:107], v[108:109]
	scratch_store_dwordx2 off, v[106:107], off offset:120
.LBB50_346:
	s_or_b64 exec, exec, s[4:5]
	scratch_load_dwordx2 v[106:107], off, off offset:112
	v_cmp_lt_u32_e64 s[0:1], 14, v0
	s_waitcnt vmcnt(0)
	ds_write_b64 v1, v[106:107]
	s_waitcnt lgkmcnt(0)
	; wave barrier
	s_and_saveexec_b64 s[4:5], s[0:1]
	s_cbranch_execz .LBB50_356
; %bb.347:
	s_andn2_b64 vcc, exec, s[6:7]
	s_cbranch_vccnz .LBB50_349
; %bb.348:
	scratch_load_dwordx2 v[106:107], v11, off
	ds_read_b64 v[108:109], v1
	s_waitcnt vmcnt(0) lgkmcnt(0)
	v_mul_f64 v[106:107], v[106:107], v[108:109]
	s_cbranch_execz .LBB50_350
	s_branch .LBB50_351
.LBB50_349:
                                        ; implicit-def: $vgpr106_vgpr107
.LBB50_350:
	ds_read_b64 v[106:107], v1
.LBB50_351:
	s_and_saveexec_b64 s[8:9], s[2:3]
	s_cbranch_execz .LBB50_355
; %bb.352:
	s_movk_i32 s17, 0x78
	v_add_u32_e32 v108, -15, v0
	s_movk_i32 s18, 0x218
	s_mov_b64 s[2:3], 0
.LBB50_353:                             ; =>This Inner Loop Header: Depth=1
	scratch_load_dwordx2 v[110:111], off, s17
	v_mov_b32_e32 v109, s18
	ds_read_b64 v[112:113], v109
	v_add_u32_e32 v108, -1, v108
	s_add_i32 s18, s18, 8
	s_add_i32 s17, s17, 8
	v_cmp_eq_u32_e32 vcc, 0, v108
	s_or_b64 s[2:3], vcc, s[2:3]
	s_waitcnt vmcnt(0) lgkmcnt(0)
	v_fmac_f64_e32 v[106:107], v[110:111], v[112:113]
	s_andn2_b64 exec, exec, s[2:3]
	s_cbranch_execnz .LBB50_353
; %bb.354:
	s_or_b64 exec, exec, s[2:3]
.LBB50_355:
	s_or_b64 exec, exec, s[8:9]
	v_mov_b32_e32 v108, 0
	ds_read_b64 v[108:109], v108 offset:112
	s_waitcnt lgkmcnt(0)
	v_mul_f64 v[106:107], v[106:107], v[108:109]
	scratch_store_dwordx2 off, v[106:107], off offset:112
.LBB50_356:
	s_or_b64 exec, exec, s[4:5]
	scratch_load_dwordx2 v[106:107], off, off offset:104
	v_cmp_lt_u32_e64 s[2:3], 13, v0
	s_waitcnt vmcnt(0)
	ds_write_b64 v1, v[106:107]
	s_waitcnt lgkmcnt(0)
	; wave barrier
	s_and_saveexec_b64 s[4:5], s[2:3]
	s_cbranch_execz .LBB50_366
; %bb.357:
	s_andn2_b64 vcc, exec, s[6:7]
	s_cbranch_vccnz .LBB50_359
; %bb.358:
	scratch_load_dwordx2 v[106:107], v11, off
	ds_read_b64 v[108:109], v1
	s_waitcnt vmcnt(0) lgkmcnt(0)
	v_mul_f64 v[106:107], v[106:107], v[108:109]
	s_cbranch_execz .LBB50_360
	s_branch .LBB50_361
.LBB50_359:
                                        ; implicit-def: $vgpr106_vgpr107
.LBB50_360:
	ds_read_b64 v[106:107], v1
.LBB50_361:
	s_and_saveexec_b64 s[8:9], s[0:1]
	s_cbranch_execz .LBB50_365
; %bb.362:
	v_add_u32_e32 v108, -14, v0
	s_movk_i32 s17, 0x210
	s_mov_b64 s[0:1], 0
.LBB50_363:                             ; =>This Inner Loop Header: Depth=1
	scratch_load_dwordx2 v[110:111], off, s16
	v_mov_b32_e32 v109, s17
	ds_read_b64 v[112:113], v109
	v_add_u32_e32 v108, -1, v108
	s_add_i32 s17, s17, 8
	s_add_i32 s16, s16, 8
	v_cmp_eq_u32_e32 vcc, 0, v108
	s_or_b64 s[0:1], vcc, s[0:1]
	s_waitcnt vmcnt(0) lgkmcnt(0)
	v_fmac_f64_e32 v[106:107], v[110:111], v[112:113]
	s_andn2_b64 exec, exec, s[0:1]
	s_cbranch_execnz .LBB50_363
; %bb.364:
	s_or_b64 exec, exec, s[0:1]
.LBB50_365:
	s_or_b64 exec, exec, s[8:9]
	v_mov_b32_e32 v108, 0
	ds_read_b64 v[108:109], v108 offset:104
	s_waitcnt lgkmcnt(0)
	v_mul_f64 v[106:107], v[106:107], v[108:109]
	scratch_store_dwordx2 off, v[106:107], off offset:104
.LBB50_366:
	s_or_b64 exec, exec, s[4:5]
	scratch_load_dwordx2 v[106:107], off, off offset:96
	v_cmp_lt_u32_e64 s[0:1], 12, v0
	s_waitcnt vmcnt(0)
	ds_write_b64 v1, v[106:107]
	s_waitcnt lgkmcnt(0)
	; wave barrier
	s_and_saveexec_b64 s[4:5], s[0:1]
	s_cbranch_execz .LBB50_376
; %bb.367:
	s_andn2_b64 vcc, exec, s[6:7]
	s_cbranch_vccnz .LBB50_369
; %bb.368:
	scratch_load_dwordx2 v[106:107], v11, off
	ds_read_b64 v[108:109], v1
	s_waitcnt vmcnt(0) lgkmcnt(0)
	v_mul_f64 v[106:107], v[106:107], v[108:109]
	s_cbranch_execz .LBB50_370
	s_branch .LBB50_371
.LBB50_369:
                                        ; implicit-def: $vgpr106_vgpr107
.LBB50_370:
	ds_read_b64 v[106:107], v1
.LBB50_371:
	s_and_saveexec_b64 s[8:9], s[2:3]
	s_cbranch_execz .LBB50_375
; %bb.372:
	s_movk_i32 s16, 0x68
	v_add_u32_e32 v108, -13, v0
	s_movk_i32 s17, 0x208
	s_mov_b64 s[2:3], 0
.LBB50_373:                             ; =>This Inner Loop Header: Depth=1
	scratch_load_dwordx2 v[110:111], off, s16
	v_mov_b32_e32 v109, s17
	ds_read_b64 v[112:113], v109
	v_add_u32_e32 v108, -1, v108
	s_add_i32 s17, s17, 8
	s_add_i32 s16, s16, 8
	v_cmp_eq_u32_e32 vcc, 0, v108
	s_or_b64 s[2:3], vcc, s[2:3]
	s_waitcnt vmcnt(0) lgkmcnt(0)
	v_fmac_f64_e32 v[106:107], v[110:111], v[112:113]
	s_andn2_b64 exec, exec, s[2:3]
	s_cbranch_execnz .LBB50_373
; %bb.374:
	s_or_b64 exec, exec, s[2:3]
.LBB50_375:
	s_or_b64 exec, exec, s[8:9]
	v_mov_b32_e32 v108, 0
	ds_read_b64 v[108:109], v108 offset:96
	s_waitcnt lgkmcnt(0)
	v_mul_f64 v[106:107], v[106:107], v[108:109]
	scratch_store_dwordx2 off, v[106:107], off offset:96
.LBB50_376:
	s_or_b64 exec, exec, s[4:5]
	scratch_load_dwordx2 v[106:107], off, off offset:88
	v_cmp_lt_u32_e64 s[2:3], 11, v0
	s_waitcnt vmcnt(0)
	ds_write_b64 v1, v[106:107]
	s_waitcnt lgkmcnt(0)
	; wave barrier
	s_and_saveexec_b64 s[4:5], s[2:3]
	s_cbranch_execz .LBB50_386
; %bb.377:
	s_andn2_b64 vcc, exec, s[6:7]
	s_cbranch_vccnz .LBB50_379
; %bb.378:
	scratch_load_dwordx2 v[106:107], v11, off
	ds_read_b64 v[108:109], v1
	s_waitcnt vmcnt(0) lgkmcnt(0)
	v_mul_f64 v[106:107], v[106:107], v[108:109]
	s_cbranch_execz .LBB50_380
	s_branch .LBB50_381
.LBB50_379:
                                        ; implicit-def: $vgpr106_vgpr107
.LBB50_380:
	ds_read_b64 v[106:107], v1
.LBB50_381:
	s_and_saveexec_b64 s[8:9], s[0:1]
	s_cbranch_execz .LBB50_385
; %bb.382:
	v_add_u32_e32 v108, -12, v0
	s_movk_i32 s16, 0x200
	s_mov_b64 s[0:1], 0
.LBB50_383:                             ; =>This Inner Loop Header: Depth=1
	scratch_load_dwordx2 v[110:111], off, s15
	v_mov_b32_e32 v109, s16
	ds_read_b64 v[112:113], v109
	v_add_u32_e32 v108, -1, v108
	s_add_i32 s16, s16, 8
	s_add_i32 s15, s15, 8
	v_cmp_eq_u32_e32 vcc, 0, v108
	s_or_b64 s[0:1], vcc, s[0:1]
	s_waitcnt vmcnt(0) lgkmcnt(0)
	v_fmac_f64_e32 v[106:107], v[110:111], v[112:113]
	s_andn2_b64 exec, exec, s[0:1]
	s_cbranch_execnz .LBB50_383
; %bb.384:
	s_or_b64 exec, exec, s[0:1]
.LBB50_385:
	s_or_b64 exec, exec, s[8:9]
	v_mov_b32_e32 v108, 0
	ds_read_b64 v[108:109], v108 offset:88
	s_waitcnt lgkmcnt(0)
	v_mul_f64 v[106:107], v[106:107], v[108:109]
	scratch_store_dwordx2 off, v[106:107], off offset:88
.LBB50_386:
	s_or_b64 exec, exec, s[4:5]
	scratch_load_dwordx2 v[106:107], off, off offset:80
	v_cmp_lt_u32_e64 s[0:1], 10, v0
	s_waitcnt vmcnt(0)
	ds_write_b64 v1, v[106:107]
	s_waitcnt lgkmcnt(0)
	; wave barrier
	s_and_saveexec_b64 s[4:5], s[0:1]
	s_cbranch_execz .LBB50_396
; %bb.387:
	s_andn2_b64 vcc, exec, s[6:7]
	s_cbranch_vccnz .LBB50_389
; %bb.388:
	scratch_load_dwordx2 v[106:107], v11, off
	ds_read_b64 v[108:109], v1
	s_waitcnt vmcnt(0) lgkmcnt(0)
	v_mul_f64 v[106:107], v[106:107], v[108:109]
	s_cbranch_execz .LBB50_390
	s_branch .LBB50_391
.LBB50_389:
                                        ; implicit-def: $vgpr106_vgpr107
.LBB50_390:
	ds_read_b64 v[106:107], v1
.LBB50_391:
	s_and_saveexec_b64 s[8:9], s[2:3]
	s_cbranch_execz .LBB50_395
; %bb.392:
	s_movk_i32 s15, 0x58
	v_add_u32_e32 v108, -11, v0
	s_movk_i32 s16, 0x1f8
	s_mov_b64 s[2:3], 0
.LBB50_393:                             ; =>This Inner Loop Header: Depth=1
	scratch_load_dwordx2 v[110:111], off, s15
	v_mov_b32_e32 v109, s16
	ds_read_b64 v[112:113], v109
	v_add_u32_e32 v108, -1, v108
	s_add_i32 s16, s16, 8
	s_add_i32 s15, s15, 8
	v_cmp_eq_u32_e32 vcc, 0, v108
	s_or_b64 s[2:3], vcc, s[2:3]
	s_waitcnt vmcnt(0) lgkmcnt(0)
	v_fmac_f64_e32 v[106:107], v[110:111], v[112:113]
	s_andn2_b64 exec, exec, s[2:3]
	s_cbranch_execnz .LBB50_393
; %bb.394:
	s_or_b64 exec, exec, s[2:3]
.LBB50_395:
	s_or_b64 exec, exec, s[8:9]
	v_mov_b32_e32 v108, 0
	ds_read_b64 v[108:109], v108 offset:80
	s_waitcnt lgkmcnt(0)
	v_mul_f64 v[106:107], v[106:107], v[108:109]
	scratch_store_dwordx2 off, v[106:107], off offset:80
.LBB50_396:
	s_or_b64 exec, exec, s[4:5]
	scratch_load_dwordx2 v[106:107], off, off offset:72
	v_cmp_lt_u32_e64 s[2:3], 9, v0
	s_waitcnt vmcnt(0)
	ds_write_b64 v1, v[106:107]
	s_waitcnt lgkmcnt(0)
	; wave barrier
	s_and_saveexec_b64 s[4:5], s[2:3]
	s_cbranch_execz .LBB50_406
; %bb.397:
	s_andn2_b64 vcc, exec, s[6:7]
	s_cbranch_vccnz .LBB50_399
; %bb.398:
	scratch_load_dwordx2 v[106:107], v11, off
	ds_read_b64 v[108:109], v1
	s_waitcnt vmcnt(0) lgkmcnt(0)
	v_mul_f64 v[106:107], v[106:107], v[108:109]
	s_cbranch_execz .LBB50_400
	s_branch .LBB50_401
.LBB50_399:
                                        ; implicit-def: $vgpr106_vgpr107
.LBB50_400:
	ds_read_b64 v[106:107], v1
.LBB50_401:
	s_and_saveexec_b64 s[8:9], s[0:1]
	s_cbranch_execz .LBB50_405
; %bb.402:
	v_add_u32_e32 v108, -10, v0
	s_movk_i32 s15, 0x1f0
	s_mov_b64 s[0:1], 0
.LBB50_403:                             ; =>This Inner Loop Header: Depth=1
	scratch_load_dwordx2 v[110:111], off, s14
	v_mov_b32_e32 v109, s15
	ds_read_b64 v[112:113], v109
	v_add_u32_e32 v108, -1, v108
	s_add_i32 s15, s15, 8
	s_add_i32 s14, s14, 8
	v_cmp_eq_u32_e32 vcc, 0, v108
	s_or_b64 s[0:1], vcc, s[0:1]
	s_waitcnt vmcnt(0) lgkmcnt(0)
	v_fmac_f64_e32 v[106:107], v[110:111], v[112:113]
	s_andn2_b64 exec, exec, s[0:1]
	s_cbranch_execnz .LBB50_403
; %bb.404:
	s_or_b64 exec, exec, s[0:1]
.LBB50_405:
	s_or_b64 exec, exec, s[8:9]
	v_mov_b32_e32 v108, 0
	ds_read_b64 v[108:109], v108 offset:72
	s_waitcnt lgkmcnt(0)
	v_mul_f64 v[106:107], v[106:107], v[108:109]
	scratch_store_dwordx2 off, v[106:107], off offset:72
.LBB50_406:
	s_or_b64 exec, exec, s[4:5]
	scratch_load_dwordx2 v[106:107], off, off offset:64
	v_cmp_lt_u32_e64 s[0:1], 8, v0
	s_waitcnt vmcnt(0)
	ds_write_b64 v1, v[106:107]
	s_waitcnt lgkmcnt(0)
	; wave barrier
	s_and_saveexec_b64 s[4:5], s[0:1]
	s_cbranch_execz .LBB50_416
; %bb.407:
	s_andn2_b64 vcc, exec, s[6:7]
	s_cbranch_vccnz .LBB50_409
; %bb.408:
	scratch_load_dwordx2 v[106:107], v11, off
	ds_read_b64 v[108:109], v1
	s_waitcnt vmcnt(0) lgkmcnt(0)
	v_mul_f64 v[106:107], v[106:107], v[108:109]
	s_cbranch_execz .LBB50_410
	s_branch .LBB50_411
.LBB50_409:
                                        ; implicit-def: $vgpr106_vgpr107
.LBB50_410:
	ds_read_b64 v[106:107], v1
.LBB50_411:
	s_and_saveexec_b64 s[8:9], s[2:3]
	s_cbranch_execz .LBB50_415
; %bb.412:
	s_movk_i32 s14, 0x48
	v_add_u32_e32 v108, -9, v0
	s_movk_i32 s15, 0x1e8
	s_mov_b64 s[2:3], 0
.LBB50_413:                             ; =>This Inner Loop Header: Depth=1
	scratch_load_dwordx2 v[110:111], off, s14
	v_mov_b32_e32 v109, s15
	ds_read_b64 v[112:113], v109
	v_add_u32_e32 v108, -1, v108
	s_add_i32 s15, s15, 8
	s_add_i32 s14, s14, 8
	v_cmp_eq_u32_e32 vcc, 0, v108
	s_or_b64 s[2:3], vcc, s[2:3]
	s_waitcnt vmcnt(0) lgkmcnt(0)
	v_fmac_f64_e32 v[106:107], v[110:111], v[112:113]
	s_andn2_b64 exec, exec, s[2:3]
	s_cbranch_execnz .LBB50_413
; %bb.414:
	s_or_b64 exec, exec, s[2:3]
.LBB50_415:
	s_or_b64 exec, exec, s[8:9]
	v_mov_b32_e32 v108, 0
	ds_read_b64 v[108:109], v108 offset:64
	s_waitcnt lgkmcnt(0)
	v_mul_f64 v[106:107], v[106:107], v[108:109]
	scratch_store_dwordx2 off, v[106:107], off offset:64
.LBB50_416:
	s_or_b64 exec, exec, s[4:5]
	scratch_load_dwordx2 v[106:107], off, off offset:56
	v_cmp_lt_u32_e64 s[2:3], 7, v0
	s_waitcnt vmcnt(0)
	ds_write_b64 v1, v[106:107]
	s_waitcnt lgkmcnt(0)
	; wave barrier
	s_and_saveexec_b64 s[4:5], s[2:3]
	s_cbranch_execz .LBB50_426
; %bb.417:
	s_andn2_b64 vcc, exec, s[6:7]
	s_cbranch_vccnz .LBB50_419
; %bb.418:
	scratch_load_dwordx2 v[106:107], v11, off
	ds_read_b64 v[108:109], v1
	s_waitcnt vmcnt(0) lgkmcnt(0)
	v_mul_f64 v[106:107], v[106:107], v[108:109]
	s_cbranch_execz .LBB50_420
	s_branch .LBB50_421
.LBB50_419:
                                        ; implicit-def: $vgpr106_vgpr107
.LBB50_420:
	ds_read_b64 v[106:107], v1
.LBB50_421:
	s_and_saveexec_b64 s[8:9], s[0:1]
	s_cbranch_execz .LBB50_425
; %bb.422:
	v_add_u32_e32 v108, -8, v0
	s_movk_i32 s14, 0x1e0
	s_mov_b64 s[0:1], 0
.LBB50_423:                             ; =>This Inner Loop Header: Depth=1
	scratch_load_dwordx2 v[110:111], off, s13
	v_mov_b32_e32 v109, s14
	ds_read_b64 v[112:113], v109
	v_add_u32_e32 v108, -1, v108
	s_add_i32 s14, s14, 8
	s_add_i32 s13, s13, 8
	v_cmp_eq_u32_e32 vcc, 0, v108
	s_or_b64 s[0:1], vcc, s[0:1]
	s_waitcnt vmcnt(0) lgkmcnt(0)
	v_fmac_f64_e32 v[106:107], v[110:111], v[112:113]
	s_andn2_b64 exec, exec, s[0:1]
	s_cbranch_execnz .LBB50_423
; %bb.424:
	s_or_b64 exec, exec, s[0:1]
.LBB50_425:
	s_or_b64 exec, exec, s[8:9]
	v_mov_b32_e32 v108, 0
	ds_read_b64 v[108:109], v108 offset:56
	s_waitcnt lgkmcnt(0)
	v_mul_f64 v[106:107], v[106:107], v[108:109]
	scratch_store_dwordx2 off, v[106:107], off offset:56
.LBB50_426:
	s_or_b64 exec, exec, s[4:5]
	scratch_load_dwordx2 v[106:107], off, off offset:48
	v_cmp_lt_u32_e64 s[0:1], 6, v0
	s_waitcnt vmcnt(0)
	ds_write_b64 v1, v[106:107]
	s_waitcnt lgkmcnt(0)
	; wave barrier
	s_and_saveexec_b64 s[4:5], s[0:1]
	s_cbranch_execz .LBB50_436
; %bb.427:
	s_andn2_b64 vcc, exec, s[6:7]
	s_cbranch_vccnz .LBB50_429
; %bb.428:
	scratch_load_dwordx2 v[106:107], v11, off
	ds_read_b64 v[108:109], v1
	s_waitcnt vmcnt(0) lgkmcnt(0)
	v_mul_f64 v[106:107], v[106:107], v[108:109]
	s_cbranch_execz .LBB50_430
	s_branch .LBB50_431
.LBB50_429:
                                        ; implicit-def: $vgpr106_vgpr107
.LBB50_430:
	ds_read_b64 v[106:107], v1
.LBB50_431:
	s_and_saveexec_b64 s[8:9], s[2:3]
	s_cbranch_execz .LBB50_435
; %bb.432:
	s_mov_b32 s13, 56
	v_add_u32_e32 v108, -7, v0
	s_movk_i32 s14, 0x1d8
	s_mov_b64 s[2:3], 0
.LBB50_433:                             ; =>This Inner Loop Header: Depth=1
	scratch_load_dwordx2 v[110:111], off, s13
	v_mov_b32_e32 v109, s14
	ds_read_b64 v[112:113], v109
	v_add_u32_e32 v108, -1, v108
	s_add_i32 s14, s14, 8
	s_add_i32 s13, s13, 8
	v_cmp_eq_u32_e32 vcc, 0, v108
	s_or_b64 s[2:3], vcc, s[2:3]
	s_waitcnt vmcnt(0) lgkmcnt(0)
	v_fmac_f64_e32 v[106:107], v[110:111], v[112:113]
	s_andn2_b64 exec, exec, s[2:3]
	s_cbranch_execnz .LBB50_433
; %bb.434:
	s_or_b64 exec, exec, s[2:3]
.LBB50_435:
	s_or_b64 exec, exec, s[8:9]
	v_mov_b32_e32 v108, 0
	ds_read_b64 v[108:109], v108 offset:48
	s_waitcnt lgkmcnt(0)
	v_mul_f64 v[106:107], v[106:107], v[108:109]
	scratch_store_dwordx2 off, v[106:107], off offset:48
.LBB50_436:
	s_or_b64 exec, exec, s[4:5]
	scratch_load_dwordx2 v[106:107], off, off offset:40
	v_cmp_lt_u32_e64 s[2:3], 5, v0
	s_waitcnt vmcnt(0)
	ds_write_b64 v1, v[106:107]
	s_waitcnt lgkmcnt(0)
	; wave barrier
	s_and_saveexec_b64 s[4:5], s[2:3]
	s_cbranch_execz .LBB50_446
; %bb.437:
	s_andn2_b64 vcc, exec, s[6:7]
	s_cbranch_vccnz .LBB50_439
; %bb.438:
	scratch_load_dwordx2 v[106:107], v11, off
	ds_read_b64 v[108:109], v1
	s_waitcnt vmcnt(0) lgkmcnt(0)
	v_mul_f64 v[106:107], v[106:107], v[108:109]
	s_cbranch_execz .LBB50_440
	s_branch .LBB50_441
.LBB50_439:
                                        ; implicit-def: $vgpr106_vgpr107
.LBB50_440:
	ds_read_b64 v[106:107], v1
.LBB50_441:
	s_and_saveexec_b64 s[8:9], s[0:1]
	s_cbranch_execz .LBB50_445
; %bb.442:
	v_add_u32_e32 v108, -6, v0
	s_movk_i32 s13, 0x1d0
	s_mov_b64 s[0:1], 0
.LBB50_443:                             ; =>This Inner Loop Header: Depth=1
	scratch_load_dwordx2 v[110:111], off, s12
	v_mov_b32_e32 v109, s13
	ds_read_b64 v[112:113], v109
	v_add_u32_e32 v108, -1, v108
	s_add_i32 s13, s13, 8
	s_add_i32 s12, s12, 8
	v_cmp_eq_u32_e32 vcc, 0, v108
	s_or_b64 s[0:1], vcc, s[0:1]
	s_waitcnt vmcnt(0) lgkmcnt(0)
	v_fmac_f64_e32 v[106:107], v[110:111], v[112:113]
	s_andn2_b64 exec, exec, s[0:1]
	s_cbranch_execnz .LBB50_443
; %bb.444:
	s_or_b64 exec, exec, s[0:1]
.LBB50_445:
	s_or_b64 exec, exec, s[8:9]
	v_mov_b32_e32 v108, 0
	ds_read_b64 v[108:109], v108 offset:40
	s_waitcnt lgkmcnt(0)
	v_mul_f64 v[106:107], v[106:107], v[108:109]
	scratch_store_dwordx2 off, v[106:107], off offset:40
.LBB50_446:
	s_or_b64 exec, exec, s[4:5]
	scratch_load_dwordx2 v[106:107], off, off offset:32
	v_cmp_lt_u32_e64 s[0:1], 4, v0
	s_waitcnt vmcnt(0)
	ds_write_b64 v1, v[106:107]
	s_waitcnt lgkmcnt(0)
	; wave barrier
	s_and_saveexec_b64 s[4:5], s[0:1]
	s_cbranch_execz .LBB50_456
; %bb.447:
	s_andn2_b64 vcc, exec, s[6:7]
	s_cbranch_vccnz .LBB50_449
; %bb.448:
	scratch_load_dwordx2 v[106:107], v11, off
	ds_read_b64 v[108:109], v1
	s_waitcnt vmcnt(0) lgkmcnt(0)
	v_mul_f64 v[106:107], v[106:107], v[108:109]
	s_cbranch_execz .LBB50_450
	s_branch .LBB50_451
.LBB50_449:
                                        ; implicit-def: $vgpr106_vgpr107
.LBB50_450:
	ds_read_b64 v[106:107], v1
.LBB50_451:
	s_and_saveexec_b64 s[8:9], s[2:3]
	s_cbranch_execz .LBB50_455
; %bb.452:
	s_mov_b32 s12, 40
	v_add_u32_e32 v108, -5, v0
	s_movk_i32 s13, 0x1c8
	s_mov_b64 s[2:3], 0
.LBB50_453:                             ; =>This Inner Loop Header: Depth=1
	scratch_load_dwordx2 v[110:111], off, s12
	v_mov_b32_e32 v109, s13
	ds_read_b64 v[112:113], v109
	v_add_u32_e32 v108, -1, v108
	s_add_i32 s13, s13, 8
	s_add_i32 s12, s12, 8
	v_cmp_eq_u32_e32 vcc, 0, v108
	s_or_b64 s[2:3], vcc, s[2:3]
	s_waitcnt vmcnt(0) lgkmcnt(0)
	v_fmac_f64_e32 v[106:107], v[110:111], v[112:113]
	s_andn2_b64 exec, exec, s[2:3]
	s_cbranch_execnz .LBB50_453
; %bb.454:
	s_or_b64 exec, exec, s[2:3]
.LBB50_455:
	s_or_b64 exec, exec, s[8:9]
	v_mov_b32_e32 v108, 0
	ds_read_b64 v[108:109], v108 offset:32
	s_waitcnt lgkmcnt(0)
	v_mul_f64 v[106:107], v[106:107], v[108:109]
	scratch_store_dwordx2 off, v[106:107], off offset:32
.LBB50_456:
	s_or_b64 exec, exec, s[4:5]
	scratch_load_dwordx2 v[106:107], off, off offset:24
	v_cmp_lt_u32_e64 s[2:3], 3, v0
	s_waitcnt vmcnt(0)
	ds_write_b64 v1, v[106:107]
	s_waitcnt lgkmcnt(0)
	; wave barrier
	s_and_saveexec_b64 s[4:5], s[2:3]
	s_cbranch_execz .LBB50_466
; %bb.457:
	s_andn2_b64 vcc, exec, s[6:7]
	s_cbranch_vccnz .LBB50_459
; %bb.458:
	scratch_load_dwordx2 v[106:107], v11, off
	ds_read_b64 v[108:109], v1
	s_waitcnt vmcnt(0) lgkmcnt(0)
	v_mul_f64 v[106:107], v[106:107], v[108:109]
	s_cbranch_execz .LBB50_460
	s_branch .LBB50_461
.LBB50_459:
                                        ; implicit-def: $vgpr106_vgpr107
.LBB50_460:
	ds_read_b64 v[106:107], v1
.LBB50_461:
	s_and_saveexec_b64 s[8:9], s[0:1]
	s_cbranch_execz .LBB50_465
; %bb.462:
	v_add_u32_e32 v108, -4, v0
	s_movk_i32 s12, 0x1c0
	s_mov_b64 s[0:1], 0
.LBB50_463:                             ; =>This Inner Loop Header: Depth=1
	scratch_load_dwordx2 v[110:111], off, s11
	v_mov_b32_e32 v109, s12
	ds_read_b64 v[112:113], v109
	v_add_u32_e32 v108, -1, v108
	s_add_i32 s12, s12, 8
	s_add_i32 s11, s11, 8
	v_cmp_eq_u32_e32 vcc, 0, v108
	s_or_b64 s[0:1], vcc, s[0:1]
	s_waitcnt vmcnt(0) lgkmcnt(0)
	v_fmac_f64_e32 v[106:107], v[110:111], v[112:113]
	s_andn2_b64 exec, exec, s[0:1]
	s_cbranch_execnz .LBB50_463
; %bb.464:
	s_or_b64 exec, exec, s[0:1]
.LBB50_465:
	s_or_b64 exec, exec, s[8:9]
	v_mov_b32_e32 v108, 0
	ds_read_b64 v[108:109], v108 offset:24
	s_waitcnt lgkmcnt(0)
	v_mul_f64 v[106:107], v[106:107], v[108:109]
	scratch_store_dwordx2 off, v[106:107], off offset:24
.LBB50_466:
	s_or_b64 exec, exec, s[4:5]
	scratch_load_dwordx2 v[106:107], off, off offset:16
	v_cmp_lt_u32_e64 s[0:1], 2, v0
	s_waitcnt vmcnt(0)
	ds_write_b64 v1, v[106:107]
	s_waitcnt lgkmcnt(0)
	; wave barrier
	s_and_saveexec_b64 s[4:5], s[0:1]
	s_cbranch_execz .LBB50_476
; %bb.467:
	s_andn2_b64 vcc, exec, s[6:7]
	s_cbranch_vccnz .LBB50_469
; %bb.468:
	scratch_load_dwordx2 v[106:107], v11, off
	ds_read_b64 v[108:109], v1
	s_waitcnt vmcnt(0) lgkmcnt(0)
	v_mul_f64 v[106:107], v[106:107], v[108:109]
	s_cbranch_execz .LBB50_470
	s_branch .LBB50_471
.LBB50_469:
                                        ; implicit-def: $vgpr106_vgpr107
.LBB50_470:
	ds_read_b64 v[106:107], v1
.LBB50_471:
	s_and_saveexec_b64 s[8:9], s[2:3]
	s_cbranch_execz .LBB50_475
; %bb.472:
	s_mov_b32 s11, 24
	v_add_u32_e32 v108, -3, v0
	s_movk_i32 s12, 0x1b8
	s_mov_b64 s[2:3], 0
.LBB50_473:                             ; =>This Inner Loop Header: Depth=1
	scratch_load_dwordx2 v[110:111], off, s11
	v_mov_b32_e32 v109, s12
	ds_read_b64 v[112:113], v109
	v_add_u32_e32 v108, -1, v108
	s_add_i32 s12, s12, 8
	s_add_i32 s11, s11, 8
	v_cmp_eq_u32_e32 vcc, 0, v108
	s_or_b64 s[2:3], vcc, s[2:3]
	s_waitcnt vmcnt(0) lgkmcnt(0)
	v_fmac_f64_e32 v[106:107], v[110:111], v[112:113]
	s_andn2_b64 exec, exec, s[2:3]
	s_cbranch_execnz .LBB50_473
; %bb.474:
	s_or_b64 exec, exec, s[2:3]
.LBB50_475:
	s_or_b64 exec, exec, s[8:9]
	v_mov_b32_e32 v108, 0
	ds_read_b64 v[108:109], v108 offset:16
	s_waitcnt lgkmcnt(0)
	v_mul_f64 v[106:107], v[106:107], v[108:109]
	scratch_store_dwordx2 off, v[106:107], off offset:16
.LBB50_476:
	s_or_b64 exec, exec, s[4:5]
	scratch_load_dwordx2 v[106:107], off, off offset:8
	v_cmp_lt_u32_e64 s[2:3], 1, v0
	s_waitcnt vmcnt(0)
	ds_write_b64 v1, v[106:107]
	s_waitcnt lgkmcnt(0)
	; wave barrier
	s_and_saveexec_b64 s[4:5], s[2:3]
	s_cbranch_execz .LBB50_486
; %bb.477:
	s_andn2_b64 vcc, exec, s[6:7]
	s_cbranch_vccnz .LBB50_479
; %bb.478:
	scratch_load_dwordx2 v[106:107], v11, off
	ds_read_b64 v[108:109], v1
	s_waitcnt vmcnt(0) lgkmcnt(0)
	v_mul_f64 v[106:107], v[106:107], v[108:109]
	s_cbranch_execz .LBB50_480
	s_branch .LBB50_481
.LBB50_479:
                                        ; implicit-def: $vgpr106_vgpr107
.LBB50_480:
	ds_read_b64 v[106:107], v1
.LBB50_481:
	s_and_saveexec_b64 s[8:9], s[0:1]
	s_cbranch_execz .LBB50_485
; %bb.482:
	v_add_u32_e32 v108, -2, v0
	s_movk_i32 s11, 0x1b0
	s_mov_b64 s[0:1], 0
.LBB50_483:                             ; =>This Inner Loop Header: Depth=1
	scratch_load_dwordx2 v[110:111], off, s10
	v_mov_b32_e32 v109, s11
	ds_read_b64 v[112:113], v109
	v_add_u32_e32 v108, -1, v108
	s_add_i32 s11, s11, 8
	s_add_i32 s10, s10, 8
	v_cmp_eq_u32_e32 vcc, 0, v108
	s_or_b64 s[0:1], vcc, s[0:1]
	s_waitcnt vmcnt(0) lgkmcnt(0)
	v_fmac_f64_e32 v[106:107], v[110:111], v[112:113]
	s_andn2_b64 exec, exec, s[0:1]
	s_cbranch_execnz .LBB50_483
; %bb.484:
	s_or_b64 exec, exec, s[0:1]
.LBB50_485:
	s_or_b64 exec, exec, s[8:9]
	v_mov_b32_e32 v108, 0
	ds_read_b64 v[108:109], v108 offset:8
	s_waitcnt lgkmcnt(0)
	v_mul_f64 v[106:107], v[106:107], v[108:109]
	scratch_store_dwordx2 off, v[106:107], off offset:8
.LBB50_486:
	s_or_b64 exec, exec, s[4:5]
	scratch_load_dwordx2 v[106:107], off, off
	v_cmp_ne_u32_e32 vcc, 0, v0
	s_waitcnt vmcnt(0)
	ds_write_b64 v1, v[106:107]
	s_waitcnt lgkmcnt(0)
	; wave barrier
	s_and_saveexec_b64 s[0:1], vcc
	s_cbranch_execz .LBB50_496
; %bb.487:
	s_andn2_b64 vcc, exec, s[6:7]
	s_cbranch_vccnz .LBB50_489
; %bb.488:
	scratch_load_dwordx2 v[106:107], v11, off
	ds_read_b64 v[108:109], v1
	s_waitcnt vmcnt(0) lgkmcnt(0)
	v_mul_f64 v[106:107], v[106:107], v[108:109]
	s_cbranch_execz .LBB50_490
	s_branch .LBB50_491
.LBB50_489:
                                        ; implicit-def: $vgpr106_vgpr107
.LBB50_490:
	ds_read_b64 v[106:107], v1
.LBB50_491:
	s_and_saveexec_b64 s[4:5], s[2:3]
	s_cbranch_execz .LBB50_495
; %bb.492:
	s_or_b32 s8, 0, 8
	v_add_u32_e32 v108, -1, v0
	s_movk_i32 s9, 0x1a8
	s_mov_b64 s[2:3], 0
.LBB50_493:                             ; =>This Inner Loop Header: Depth=1
	scratch_load_dwordx2 v[110:111], off, s8
	v_mov_b32_e32 v109, s9
	ds_read_b64 v[112:113], v109
	v_add_u32_e32 v108, -1, v108
	s_add_i32 s9, s9, 8
	s_add_i32 s8, s8, 8
	v_cmp_eq_u32_e32 vcc, 0, v108
	s_or_b64 s[2:3], vcc, s[2:3]
	s_waitcnt vmcnt(0) lgkmcnt(0)
	v_fmac_f64_e32 v[106:107], v[110:111], v[112:113]
	s_andn2_b64 exec, exec, s[2:3]
	s_cbranch_execnz .LBB50_493
; %bb.494:
	s_or_b64 exec, exec, s[2:3]
.LBB50_495:
	s_or_b64 exec, exec, s[4:5]
	v_mov_b32_e32 v108, 0
	ds_read_b64 v[108:109], v108
	s_waitcnt lgkmcnt(0)
	v_mul_f64 v[106:107], v[106:107], v[108:109]
	scratch_store_dwordx2 off, v[106:107], off
.LBB50_496:
	s_or_b64 exec, exec, s[0:1]
	s_mov_b64 s[0:1], 0
.LBB50_497:
	s_and_b64 vcc, exec, s[0:1]
	s_cbranch_vccz .LBB50_989
; %bb.498:
	scratch_load_dwordx2 v[106:107], off, off offset:8
	v_cmp_eq_u32_e64 s[2:3], 0, v0
	s_waitcnt vmcnt(0)
	ds_write_b64 v1, v[106:107]
	s_waitcnt lgkmcnt(0)
	; wave barrier
	s_and_saveexec_b64 s[0:1], s[2:3]
	s_cbranch_execz .LBB50_504
; %bb.499:
	s_and_b64 vcc, exec, s[6:7]
	s_cbranch_vccz .LBB50_501
; %bb.500:
	scratch_load_dwordx2 v[106:107], v11, off
	ds_read_b64 v[108:109], v1
	s_waitcnt vmcnt(0) lgkmcnt(0)
	v_mul_f64 v[106:107], v[106:107], v[108:109]
	s_cbranch_execz .LBB50_502
	s_branch .LBB50_503
.LBB50_501:
                                        ; implicit-def: $vgpr106_vgpr107
.LBB50_502:
	ds_read_b64 v[106:107], v1
.LBB50_503:
	v_mov_b32_e32 v108, 0
	ds_read_b64 v[108:109], v108 offset:8
	s_waitcnt lgkmcnt(0)
	v_mul_f64 v[106:107], v[106:107], v[108:109]
	scratch_store_dwordx2 off, v[106:107], off offset:8
.LBB50_504:
	s_or_b64 exec, exec, s[0:1]
	scratch_load_dwordx2 v[106:107], off, off offset:16
	v_cndmask_b32_e64 v108, 0, 1, s[6:7]
	v_cmp_gt_u32_e32 vcc, 2, v0
	v_cmp_ne_u32_e64 s[0:1], 1, v108
	s_waitcnt vmcnt(0)
	ds_write_b64 v1, v[106:107]
	s_waitcnt lgkmcnt(0)
	; wave barrier
	s_and_saveexec_b64 s[4:5], vcc
	s_cbranch_execz .LBB50_510
; %bb.505:
	s_and_b64 vcc, exec, s[0:1]
	s_cbranch_vccnz .LBB50_507
; %bb.506:
	scratch_load_dwordx2 v[106:107], v11, off
	ds_read_b64 v[108:109], v1
	s_waitcnt vmcnt(0) lgkmcnt(0)
	v_mul_f64 v[106:107], v[106:107], v[108:109]
	s_cbranch_execz .LBB50_508
	s_branch .LBB50_509
.LBB50_507:
                                        ; implicit-def: $vgpr106_vgpr107
.LBB50_508:
	ds_read_b64 v[106:107], v1
.LBB50_509:
	scratch_load_dwordx2 v[112:113], off, off offset:8
	v_mov_b32_e32 v108, 0
	ds_read2_b64 v[108:111], v108 offset0:2 offset1:53
	s_waitcnt vmcnt(0) lgkmcnt(0)
	v_fma_f64 v[110:111], v[112:113], v[110:111], v[106:107]
	v_cndmask_b32_e64 v107, v107, v111, s[2:3]
	v_cndmask_b32_e64 v106, v106, v110, s[2:3]
	v_mul_f64 v[106:107], v[106:107], v[108:109]
	scratch_store_dwordx2 off, v[106:107], off offset:16
.LBB50_510:
	s_or_b64 exec, exec, s[4:5]
	scratch_load_dwordx2 v[106:107], off, off offset:24
	v_cmp_gt_u32_e32 vcc, 3, v0
	s_waitcnt vmcnt(0)
	ds_write_b64 v1, v[106:107]
	s_waitcnt lgkmcnt(0)
	; wave barrier
	s_and_saveexec_b64 s[4:5], vcc
	s_cbranch_execz .LBB50_518
; %bb.511:
	s_and_b64 vcc, exec, s[0:1]
	s_cbranch_vccnz .LBB50_513
; %bb.512:
	scratch_load_dwordx2 v[106:107], v11, off
	ds_read_b64 v[108:109], v1
	s_waitcnt vmcnt(0) lgkmcnt(0)
	v_mul_f64 v[106:107], v[106:107], v[108:109]
	s_cbranch_execz .LBB50_514
	s_branch .LBB50_515
.LBB50_513:
                                        ; implicit-def: $vgpr106_vgpr107
.LBB50_514:
	ds_read_b64 v[106:107], v1
.LBB50_515:
	v_cmp_ne_u32_e32 vcc, 2, v0
	s_and_saveexec_b64 s[6:7], vcc
	s_cbranch_execz .LBB50_517
; %bb.516:
	scratch_load_dwordx2 v[108:109], v11, off offset:8
	scratch_load_dwordx2 v[110:111], off, off offset:16
	ds_read_b64 v[112:113], v1 offset:8
	v_mov_b32_e32 v114, 0
	ds_read_b64 v[114:115], v114 offset:432
	s_waitcnt vmcnt(1) lgkmcnt(1)
	v_fmac_f64_e32 v[106:107], v[108:109], v[112:113]
	s_waitcnt vmcnt(0) lgkmcnt(0)
	v_fma_f64 v[108:109], v[110:111], v[114:115], v[106:107]
	v_cndmask_b32_e64 v107, v107, v109, s[2:3]
	v_cndmask_b32_e64 v106, v106, v108, s[2:3]
.LBB50_517:
	s_or_b64 exec, exec, s[6:7]
	v_mov_b32_e32 v108, 0
	ds_read_b64 v[108:109], v108 offset:24
	s_waitcnt lgkmcnt(0)
	v_mul_f64 v[106:107], v[106:107], v[108:109]
	scratch_store_dwordx2 off, v[106:107], off offset:24
.LBB50_518:
	s_or_b64 exec, exec, s[4:5]
	scratch_load_dwordx2 v[106:107], off, off offset:32
	v_cmp_gt_u32_e32 vcc, 4, v0
	s_waitcnt vmcnt(0)
	ds_write_b64 v1, v[106:107]
	s_waitcnt lgkmcnt(0)
	; wave barrier
	s_and_saveexec_b64 s[2:3], vcc
	s_cbranch_execz .LBB50_528
; %bb.519:
	s_and_b64 vcc, exec, s[0:1]
	s_cbranch_vccnz .LBB50_521
; %bb.520:
	scratch_load_dwordx2 v[106:107], v11, off
	ds_read_b64 v[108:109], v1
	s_waitcnt vmcnt(0) lgkmcnt(0)
	v_mul_f64 v[106:107], v[106:107], v[108:109]
	s_cbranch_execz .LBB50_522
	s_branch .LBB50_523
.LBB50_521:
                                        ; implicit-def: $vgpr106_vgpr107
.LBB50_522:
	ds_read_b64 v[106:107], v1
.LBB50_523:
	v_cmp_ne_u32_e32 vcc, 3, v0
	s_and_saveexec_b64 s[4:5], vcc
	s_cbranch_execz .LBB50_527
; %bb.524:
	s_mov_b32 s6, 0
	v_add_u32_e32 v108, 0x1a8, v10
	v_add3_u32 v109, v10, s6, 8
	s_mov_b64 s[6:7], 0
	v_mov_b32_e32 v110, v0
.LBB50_525:                             ; =>This Inner Loop Header: Depth=1
	scratch_load_dwordx2 v[112:113], v109, off
	ds_read_b64 v[114:115], v108
	v_add_u32_e32 v110, 1, v110
	v_cmp_lt_u32_e32 vcc, 2, v110
	v_add_u32_e32 v108, 8, v108
	v_add_u32_e32 v109, 8, v109
	s_or_b64 s[6:7], vcc, s[6:7]
	s_waitcnt vmcnt(0) lgkmcnt(0)
	v_fmac_f64_e32 v[106:107], v[112:113], v[114:115]
	s_andn2_b64 exec, exec, s[6:7]
	s_cbranch_execnz .LBB50_525
; %bb.526:
	s_or_b64 exec, exec, s[6:7]
.LBB50_527:
	s_or_b64 exec, exec, s[4:5]
	v_mov_b32_e32 v108, 0
	ds_read_b64 v[108:109], v108 offset:32
	s_waitcnt lgkmcnt(0)
	v_mul_f64 v[106:107], v[106:107], v[108:109]
	scratch_store_dwordx2 off, v[106:107], off offset:32
.LBB50_528:
	s_or_b64 exec, exec, s[2:3]
	scratch_load_dwordx2 v[106:107], off, off offset:40
	v_cmp_gt_u32_e32 vcc, 5, v0
	s_waitcnt vmcnt(0)
	ds_write_b64 v1, v[106:107]
	s_waitcnt lgkmcnt(0)
	; wave barrier
	s_and_saveexec_b64 s[2:3], vcc
	s_cbranch_execz .LBB50_538
; %bb.529:
	s_and_b64 vcc, exec, s[0:1]
	s_cbranch_vccnz .LBB50_531
; %bb.530:
	scratch_load_dwordx2 v[106:107], v11, off
	ds_read_b64 v[108:109], v1
	s_waitcnt vmcnt(0) lgkmcnt(0)
	v_mul_f64 v[106:107], v[106:107], v[108:109]
	s_cbranch_execz .LBB50_532
	s_branch .LBB50_533
.LBB50_531:
                                        ; implicit-def: $vgpr106_vgpr107
.LBB50_532:
	ds_read_b64 v[106:107], v1
.LBB50_533:
	v_cmp_ne_u32_e32 vcc, 4, v0
	s_and_saveexec_b64 s[4:5], vcc
	s_cbranch_execz .LBB50_537
; %bb.534:
	s_mov_b32 s6, 0
	v_add_u32_e32 v108, 0x1a8, v10
	v_add3_u32 v109, v10, s6, 8
	s_mov_b64 s[6:7], 0
	v_mov_b32_e32 v110, v0
.LBB50_535:                             ; =>This Inner Loop Header: Depth=1
	scratch_load_dwordx2 v[112:113], v109, off
	ds_read_b64 v[114:115], v108
	v_add_u32_e32 v110, 1, v110
	v_cmp_lt_u32_e32 vcc, 3, v110
	v_add_u32_e32 v108, 8, v108
	v_add_u32_e32 v109, 8, v109
	s_or_b64 s[6:7], vcc, s[6:7]
	s_waitcnt vmcnt(0) lgkmcnt(0)
	v_fmac_f64_e32 v[106:107], v[112:113], v[114:115]
	s_andn2_b64 exec, exec, s[6:7]
	s_cbranch_execnz .LBB50_535
; %bb.536:
	s_or_b64 exec, exec, s[6:7]
.LBB50_537:
	s_or_b64 exec, exec, s[4:5]
	v_mov_b32_e32 v108, 0
	ds_read_b64 v[108:109], v108 offset:40
	s_waitcnt lgkmcnt(0)
	v_mul_f64 v[106:107], v[106:107], v[108:109]
	scratch_store_dwordx2 off, v[106:107], off offset:40
.LBB50_538:
	;; [unrolled: 55-line block ×45, first 2 shown]
	s_or_b64 exec, exec, s[2:3]
	scratch_load_dwordx2 v[106:107], off, off offset:392
	v_cmp_gt_u32_e64 s[2:3], 49, v0
	s_waitcnt vmcnt(0)
	ds_write_b64 v1, v[106:107]
	s_waitcnt lgkmcnt(0)
	; wave barrier
	s_and_saveexec_b64 s[4:5], s[2:3]
	s_cbranch_execz .LBB50_978
; %bb.969:
	s_and_b64 vcc, exec, s[0:1]
	s_cbranch_vccnz .LBB50_971
; %bb.970:
	scratch_load_dwordx2 v[106:107], v11, off
	ds_read_b64 v[108:109], v1
	s_waitcnt vmcnt(0) lgkmcnt(0)
	v_mul_f64 v[106:107], v[106:107], v[108:109]
	s_cbranch_execz .LBB50_972
	s_branch .LBB50_973
.LBB50_971:
                                        ; implicit-def: $vgpr106_vgpr107
.LBB50_972:
	ds_read_b64 v[106:107], v1
.LBB50_973:
	v_cmp_ne_u32_e32 vcc, 48, v0
	s_and_saveexec_b64 s[6:7], vcc
	s_cbranch_execz .LBB50_977
; %bb.974:
	s_mov_b32 s8, 0
	v_add_u32_e32 v108, 0x1a8, v10
	v_add3_u32 v109, v10, s8, 8
	s_mov_b64 s[8:9], 0
	v_mov_b32_e32 v110, v0
.LBB50_975:                             ; =>This Inner Loop Header: Depth=1
	scratch_load_dwordx2 v[112:113], v109, off
	ds_read_b64 v[114:115], v108
	v_add_u32_e32 v110, 1, v110
	v_cmp_lt_u32_e32 vcc, 47, v110
	v_add_u32_e32 v108, 8, v108
	v_add_u32_e32 v109, 8, v109
	s_or_b64 s[8:9], vcc, s[8:9]
	s_waitcnt vmcnt(0) lgkmcnt(0)
	v_fmac_f64_e32 v[106:107], v[112:113], v[114:115]
	s_andn2_b64 exec, exec, s[8:9]
	s_cbranch_execnz .LBB50_975
; %bb.976:
	s_or_b64 exec, exec, s[8:9]
.LBB50_977:
	s_or_b64 exec, exec, s[6:7]
	v_mov_b32_e32 v108, 0
	ds_read_b64 v[108:109], v108 offset:392
	s_waitcnt lgkmcnt(0)
	v_mul_f64 v[106:107], v[106:107], v[108:109]
	scratch_store_dwordx2 off, v[106:107], off offset:392
.LBB50_978:
	s_or_b64 exec, exec, s[4:5]
	scratch_load_dwordx2 v[106:107], off, off offset:400
	v_cmp_ne_u32_e32 vcc, 50, v0
	s_waitcnt vmcnt(0)
	ds_write_b64 v1, v[106:107]
	s_waitcnt lgkmcnt(0)
	; wave barrier
	s_and_saveexec_b64 s[4:5], vcc
	s_cbranch_execz .LBB50_988
; %bb.979:
	s_and_b64 vcc, exec, s[0:1]
	s_cbranch_vccnz .LBB50_981
; %bb.980:
	scratch_load_dwordx2 v[106:107], v11, off
	ds_read_b64 v[108:109], v1
	s_waitcnt vmcnt(0) lgkmcnt(0)
	v_mul_f64 v[106:107], v[106:107], v[108:109]
	s_cbranch_execz .LBB50_982
	s_branch .LBB50_983
.LBB50_981:
                                        ; implicit-def: $vgpr106_vgpr107
.LBB50_982:
	ds_read_b64 v[106:107], v1
.LBB50_983:
	s_and_saveexec_b64 s[0:1], s[2:3]
	s_cbranch_execz .LBB50_987
; %bb.984:
	s_mov_b32 s2, 0
	v_add_u32_e32 v1, 0x1a8, v10
	v_add3_u32 v10, v10, s2, 8
	s_mov_b64 s[2:3], 0
.LBB50_985:                             ; =>This Inner Loop Header: Depth=1
	scratch_load_dwordx2 v[108:109], v10, off
	ds_read_b64 v[110:111], v1
	v_add_u32_e32 v0, 1, v0
	v_cmp_lt_u32_e32 vcc, 48, v0
	v_add_u32_e32 v1, 8, v1
	v_add_u32_e32 v10, 8, v10
	s_or_b64 s[2:3], vcc, s[2:3]
	s_waitcnt vmcnt(0) lgkmcnt(0)
	v_fmac_f64_e32 v[106:107], v[108:109], v[110:111]
	s_andn2_b64 exec, exec, s[2:3]
	s_cbranch_execnz .LBB50_985
; %bb.986:
	s_or_b64 exec, exec, s[2:3]
.LBB50_987:
	s_or_b64 exec, exec, s[0:1]
	v_mov_b32_e32 v0, 0
	ds_read_b64 v[0:1], v0 offset:400
	s_waitcnt lgkmcnt(0)
	v_mul_f64 v[0:1], v[106:107], v[0:1]
	scratch_store_dwordx2 off, v[0:1], off offset:400
.LBB50_988:
	s_or_b64 exec, exec, s[4:5]
.LBB50_989:
	scratch_load_dwordx4 v[106:109], off, off
	s_waitcnt vmcnt(0)
	global_store_dwordx2 v[2:3], v[106:107], off
	global_store_dwordx2 v[4:5], v[108:109], off
	scratch_load_dwordx4 v[0:3], off, off offset:16
	s_waitcnt vmcnt(0)
	global_store_dwordx2 v[6:7], v[0:1], off
	global_store_dwordx2 v[8:9], v[2:3], off
	scratch_load_dwordx4 v[0:3], off, off offset:32
	;; [unrolled: 4-line block ×24, first 2 shown]
	s_waitcnt vmcnt(0)
	global_store_dwordx2 v[102:103], v[0:1], off
	global_store_dwordx2 v[104:105], v[2:3], off
	scratch_load_dwordx2 v[0:1], off, off offset:400
	s_waitcnt vmcnt(0)
	global_store_dwordx2 v[98:99], v[0:1], off
.LBB50_990:
	s_endpgm
	.section	.rodata,"a",@progbits
	.p2align	6, 0x0
	.amdhsa_kernel _ZN9rocsolver6v33100L18trti2_kernel_smallILi51EdPdEEv13rocblas_fill_17rocblas_diagonal_T1_iil
		.amdhsa_group_segment_fixed_size 824
		.amdhsa_private_segment_fixed_size 416
		.amdhsa_kernarg_size 32
		.amdhsa_user_sgpr_count 2
		.amdhsa_user_sgpr_dispatch_ptr 0
		.amdhsa_user_sgpr_queue_ptr 0
		.amdhsa_user_sgpr_kernarg_segment_ptr 1
		.amdhsa_user_sgpr_dispatch_id 0
		.amdhsa_user_sgpr_kernarg_preload_length 0
		.amdhsa_user_sgpr_kernarg_preload_offset 0
		.amdhsa_user_sgpr_private_segment_size 0
		.amdhsa_uses_dynamic_stack 0
		.amdhsa_enable_private_segment 1
		.amdhsa_system_sgpr_workgroup_id_x 1
		.amdhsa_system_sgpr_workgroup_id_y 0
		.amdhsa_system_sgpr_workgroup_id_z 0
		.amdhsa_system_sgpr_workgroup_info 0
		.amdhsa_system_vgpr_workitem_id 0
		.amdhsa_next_free_vgpr 116
		.amdhsa_next_free_sgpr 36
		.amdhsa_accum_offset 116
		.amdhsa_reserve_vcc 1
		.amdhsa_float_round_mode_32 0
		.amdhsa_float_round_mode_16_64 0
		.amdhsa_float_denorm_mode_32 3
		.amdhsa_float_denorm_mode_16_64 3
		.amdhsa_dx10_clamp 1
		.amdhsa_ieee_mode 1
		.amdhsa_fp16_overflow 0
		.amdhsa_tg_split 0
		.amdhsa_exception_fp_ieee_invalid_op 0
		.amdhsa_exception_fp_denorm_src 0
		.amdhsa_exception_fp_ieee_div_zero 0
		.amdhsa_exception_fp_ieee_overflow 0
		.amdhsa_exception_fp_ieee_underflow 0
		.amdhsa_exception_fp_ieee_inexact 0
		.amdhsa_exception_int_div_zero 0
	.end_amdhsa_kernel
	.section	.text._ZN9rocsolver6v33100L18trti2_kernel_smallILi51EdPdEEv13rocblas_fill_17rocblas_diagonal_T1_iil,"axG",@progbits,_ZN9rocsolver6v33100L18trti2_kernel_smallILi51EdPdEEv13rocblas_fill_17rocblas_diagonal_T1_iil,comdat
.Lfunc_end50:
	.size	_ZN9rocsolver6v33100L18trti2_kernel_smallILi51EdPdEEv13rocblas_fill_17rocblas_diagonal_T1_iil, .Lfunc_end50-_ZN9rocsolver6v33100L18trti2_kernel_smallILi51EdPdEEv13rocblas_fill_17rocblas_diagonal_T1_iil
                                        ; -- End function
	.set _ZN9rocsolver6v33100L18trti2_kernel_smallILi51EdPdEEv13rocblas_fill_17rocblas_diagonal_T1_iil.num_vgpr, 116
	.set _ZN9rocsolver6v33100L18trti2_kernel_smallILi51EdPdEEv13rocblas_fill_17rocblas_diagonal_T1_iil.num_agpr, 0
	.set _ZN9rocsolver6v33100L18trti2_kernel_smallILi51EdPdEEv13rocblas_fill_17rocblas_diagonal_T1_iil.numbered_sgpr, 36
	.set _ZN9rocsolver6v33100L18trti2_kernel_smallILi51EdPdEEv13rocblas_fill_17rocblas_diagonal_T1_iil.num_named_barrier, 0
	.set _ZN9rocsolver6v33100L18trti2_kernel_smallILi51EdPdEEv13rocblas_fill_17rocblas_diagonal_T1_iil.private_seg_size, 416
	.set _ZN9rocsolver6v33100L18trti2_kernel_smallILi51EdPdEEv13rocblas_fill_17rocblas_diagonal_T1_iil.uses_vcc, 1
	.set _ZN9rocsolver6v33100L18trti2_kernel_smallILi51EdPdEEv13rocblas_fill_17rocblas_diagonal_T1_iil.uses_flat_scratch, 0
	.set _ZN9rocsolver6v33100L18trti2_kernel_smallILi51EdPdEEv13rocblas_fill_17rocblas_diagonal_T1_iil.has_dyn_sized_stack, 0
	.set _ZN9rocsolver6v33100L18trti2_kernel_smallILi51EdPdEEv13rocblas_fill_17rocblas_diagonal_T1_iil.has_recursion, 0
	.set _ZN9rocsolver6v33100L18trti2_kernel_smallILi51EdPdEEv13rocblas_fill_17rocblas_diagonal_T1_iil.has_indirect_call, 0
	.section	.AMDGPU.csdata,"",@progbits
; Kernel info:
; codeLenInByte = 24308
; TotalNumSgprs: 42
; NumVgprs: 116
; NumAgprs: 0
; TotalNumVgprs: 116
; ScratchSize: 416
; MemoryBound: 0
; FloatMode: 240
; IeeeMode: 1
; LDSByteSize: 824 bytes/workgroup (compile time only)
; SGPRBlocks: 5
; VGPRBlocks: 14
; NumSGPRsForWavesPerEU: 42
; NumVGPRsForWavesPerEU: 116
; AccumOffset: 116
; Occupancy: 4
; WaveLimiterHint : 0
; COMPUTE_PGM_RSRC2:SCRATCH_EN: 1
; COMPUTE_PGM_RSRC2:USER_SGPR: 2
; COMPUTE_PGM_RSRC2:TRAP_HANDLER: 0
; COMPUTE_PGM_RSRC2:TGID_X_EN: 1
; COMPUTE_PGM_RSRC2:TGID_Y_EN: 0
; COMPUTE_PGM_RSRC2:TGID_Z_EN: 0
; COMPUTE_PGM_RSRC2:TIDIG_COMP_CNT: 0
; COMPUTE_PGM_RSRC3_GFX90A:ACCUM_OFFSET: 28
; COMPUTE_PGM_RSRC3_GFX90A:TG_SPLIT: 0
	.section	.text._ZN9rocsolver6v33100L18trti2_kernel_smallILi52EdPdEEv13rocblas_fill_17rocblas_diagonal_T1_iil,"axG",@progbits,_ZN9rocsolver6v33100L18trti2_kernel_smallILi52EdPdEEv13rocblas_fill_17rocblas_diagonal_T1_iil,comdat
	.globl	_ZN9rocsolver6v33100L18trti2_kernel_smallILi52EdPdEEv13rocblas_fill_17rocblas_diagonal_T1_iil ; -- Begin function _ZN9rocsolver6v33100L18trti2_kernel_smallILi52EdPdEEv13rocblas_fill_17rocblas_diagonal_T1_iil
	.p2align	8
	.type	_ZN9rocsolver6v33100L18trti2_kernel_smallILi52EdPdEEv13rocblas_fill_17rocblas_diagonal_T1_iil,@function
_ZN9rocsolver6v33100L18trti2_kernel_smallILi52EdPdEEv13rocblas_fill_17rocblas_diagonal_T1_iil: ; @_ZN9rocsolver6v33100L18trti2_kernel_smallILi52EdPdEEv13rocblas_fill_17rocblas_diagonal_T1_iil
; %bb.0:
	v_cmp_gt_u32_e32 vcc, 52, v0
	s_and_saveexec_b64 s[4:5], vcc
	s_cbranch_execz .LBB51_1010
; %bb.1:
	s_load_dwordx8 s[4:11], s[0:1], 0x0
	s_ashr_i32 s3, s2, 31
	v_lshlrev_b32_e32 v16, 3, v0
	v_mov_b32_e32 v17, 0
	s_waitcnt lgkmcnt(0)
	s_ashr_i32 s1, s8, 31
	s_mov_b32 s0, s8
	s_mul_hi_u32 s8, s10, s2
	s_mul_i32 s3, s10, s3
	s_add_i32 s3, s8, s3
	s_mul_i32 s8, s11, s2
	s_add_i32 s3, s3, s8
	s_mul_i32 s2, s10, s2
	s_lshl_b64 s[2:3], s[2:3], 3
	s_add_u32 s2, s6, s2
	s_addc_u32 s3, s7, s3
	s_lshl_b64 s[0:1], s[0:1], 3
	s_add_u32 s0, s2, s0
	s_addc_u32 s1, s3, s1
	v_lshl_add_u64 v[2:3], s[0:1], 0, v[16:17]
	s_ashr_i32 s3, s9, 31
	s_mov_b32 s2, s9
	v_lshl_add_u64 v[4:5], s[2:3], 3, v[2:3]
	global_load_dwordx2 v[6:7], v16, s[0:1]
	global_load_dwordx2 v[8:9], v[4:5], off
	s_add_i32 s2, s9, s9
	s_cmpk_lg_i32 s5, 0x84
	s_cselect_b64 s[6:7], -1, 0
	s_cmpk_eq_i32 s5, 0x84
	s_waitcnt vmcnt(0)
	scratch_store_dwordx4 off, v[6:9], off
	s_nop 1
	v_add_u32_e32 v8, s2, v0
	v_add_u32_e32 v10, s9, v8
	v_ashrrev_i32_e32 v9, 31, v8
	v_ashrrev_i32_e32 v11, 31, v10
	v_lshl_add_u64 v[6:7], v[8:9], 3, s[0:1]
	v_lshl_add_u64 v[8:9], v[10:11], 3, s[0:1]
	global_load_dwordx2 v[12:13], v[6:7], off
	global_load_dwordx2 v[14:15], v[8:9], off
	s_waitcnt vmcnt(0)
	scratch_store_dwordx4 off, v[12:15], off offset:16
	s_nop 1
	v_add_u32_e32 v12, s9, v10
	v_add_u32_e32 v14, s9, v12
	v_ashrrev_i32_e32 v13, 31, v12
	v_ashrrev_i32_e32 v15, 31, v14
	v_lshl_add_u64 v[10:11], v[12:13], 3, s[0:1]
	v_lshl_add_u64 v[12:13], v[14:15], 3, s[0:1]
	global_load_dwordx2 v[18:19], v[10:11], off
	global_load_dwordx2 v[20:21], v[12:13], off
	s_waitcnt vmcnt(0)
	scratch_store_dwordx4 off, v[18:21], off offset:32
	;; [unrolled: 11-line block ×20, first 2 shown]
	s_nop 1
	v_add_u32_e32 v90, s9, v88
	v_ashrrev_i32_e32 v91, 31, v90
	v_lshl_add_u64 v[88:89], v[90:91], 3, s[0:1]
	v_add_u32_e32 v90, s9, v90
	v_ashrrev_i32_e32 v91, 31, v90
	v_lshl_add_u64 v[92:93], v[90:91], 3, s[0:1]
	global_load_dwordx2 v[94:95], v[88:89], off
	global_load_dwordx2 v[96:97], v[92:93], off
	v_add_u32_e32 v90, s9, v90
	v_ashrrev_i32_e32 v91, 31, v90
	s_waitcnt vmcnt(0)
	scratch_store_dwordx4 off, v[94:97], off offset:336
	s_nop 1
	v_lshl_add_u64 v[96:97], v[90:91], 3, s[0:1]
	v_add_u32_e32 v90, s9, v90
	v_ashrrev_i32_e32 v91, 31, v90
	v_lshl_add_u64 v[98:99], v[90:91], 3, s[0:1]
	global_load_dwordx2 v[100:101], v[96:97], off
	global_load_dwordx2 v[102:103], v[98:99], off
	v_add_u32_e32 v90, s9, v90
	v_ashrrev_i32_e32 v91, 31, v90
	s_waitcnt vmcnt(0)
	scratch_store_dwordx4 off, v[100:103], off offset:352
	s_nop 1
	;; [unrolled: 11-line block ×3, first 2 shown]
	v_lshl_add_u64 v[104:105], v[90:91], 3, s[0:1]
	v_add_u32_e32 v90, s9, v90
	v_ashrrev_i32_e32 v91, 31, v90
	v_lshl_add_u64 v[106:107], v[90:91], 3, s[0:1]
	global_load_dwordx2 v[108:109], v[104:105], off
	global_load_dwordx2 v[110:111], v[106:107], off
	v_add_u32_e32 v94, s9, v90
	v_ashrrev_i32_e32 v95, 31, v94
	v_lshl_add_u64 v[90:91], v[94:95], 3, s[0:1]
	v_add_u32_e32 v94, s9, v94
	v_ashrrev_i32_e32 v95, 31, v94
	v_lshl_add_u64 v[94:95], v[94:95], 3, s[0:1]
	s_waitcnt vmcnt(0)
	scratch_store_dwordx4 off, v[108:111], off offset:384
	global_load_dwordx2 v[108:109], v[90:91], off
	s_nop 0
	global_load_dwordx2 v[110:111], v[94:95], off
	s_waitcnt vmcnt(0)
	scratch_store_dwordx4 off, v[108:111], off offset:400
	s_nop 1
	v_mov_b64_e32 v[108:109], -1.0
	s_cbranch_scc1 .LBB51_3
; %bb.2:
	scratch_load_dwordx2 v[108:109], v16, off
	s_waitcnt vmcnt(0)
	v_div_scale_f64 v[110:111], s[0:1], v[108:109], v[108:109], 1.0
	v_rcp_f64_e32 v[112:113], v[110:111]
	v_div_scale_f64 v[114:115], vcc, 1.0, v[108:109], 1.0
	v_fma_f64 v[116:117], -v[110:111], v[112:113], 1.0
	v_fmac_f64_e32 v[112:113], v[112:113], v[116:117]
	v_fma_f64 v[116:117], -v[110:111], v[112:113], 1.0
	v_fmac_f64_e32 v[112:113], v[112:113], v[116:117]
	v_mul_f64 v[116:117], v[114:115], v[112:113]
	v_fma_f64 v[110:111], -v[110:111], v[116:117], v[114:115]
	v_div_fmas_f64 v[110:111], v[110:111], v[112:113], v[116:117]
	v_div_fixup_f64 v[108:109], v[110:111], v[108:109], 1.0
	scratch_store_dwordx2 v16, v[108:109], off
	v_xor_b32_e32 v109, 0x80000000, v109
.LBB51_3:
	s_cmpk_eq_i32 s4, 0x79
	v_add_u32_e32 v1, 0x1a0, v16
	v_mov_b32_e32 v17, v16
	s_mov_b64 s[0:1], -1
	ds_write_b64 v16, v[108:109]
	s_cbranch_scc1 .LBB51_507
; %bb.4:
	scratch_load_dwordx2 v[108:109], off, off offset:400
	s_movk_i32 s8, 0x50
	s_movk_i32 s9, 0x60
	;; [unrolled: 1-line block ×20, first 2 shown]
	v_cmp_eq_u32_e64 s[0:1], 51, v0
	s_waitcnt vmcnt(0)
	ds_write_b64 v1, v[108:109]
	s_waitcnt lgkmcnt(0)
	; wave barrier
	s_and_saveexec_b64 s[2:3], s[0:1]
	s_cbranch_execz .LBB51_10
; %bb.5:
	s_and_b64 vcc, exec, s[6:7]
	s_cbranch_vccz .LBB51_7
; %bb.6:
	scratch_load_dwordx2 v[108:109], v17, off
	ds_read_b64 v[110:111], v1
	s_waitcnt vmcnt(0) lgkmcnt(0)
	v_mul_f64 v[108:109], v[108:109], v[110:111]
	s_cbranch_execz .LBB51_8
	s_branch .LBB51_9
.LBB51_7:
                                        ; implicit-def: $vgpr108_vgpr109
.LBB51_8:
	ds_read_b64 v[108:109], v1
.LBB51_9:
	v_mov_b32_e32 v110, 0
	ds_read_b64 v[110:111], v110 offset:400
	s_waitcnt lgkmcnt(0)
	v_mul_f64 v[108:109], v[108:109], v[110:111]
	scratch_store_dwordx2 off, v[108:109], off offset:400
.LBB51_10:
	s_or_b64 exec, exec, s[2:3]
	scratch_load_dwordx2 v[108:109], off, off offset:392
	s_mov_b32 s10, 16
	s_mov_b32 s11, 32
	;; [unrolled: 1-line block ×6, first 2 shown]
	v_cmp_lt_u32_e64 s[2:3], 49, v0
	s_waitcnt vmcnt(0)
	ds_write_b64 v1, v[108:109]
	s_waitcnt lgkmcnt(0)
	; wave barrier
	s_and_saveexec_b64 s[4:5], s[2:3]
	s_cbranch_execz .LBB51_16
; %bb.11:
	s_andn2_b64 vcc, exec, s[6:7]
	s_cbranch_vccnz .LBB51_13
; %bb.12:
	scratch_load_dwordx2 v[108:109], v17, off
	ds_read_b64 v[110:111], v1
	s_waitcnt vmcnt(0) lgkmcnt(0)
	v_mul_f64 v[108:109], v[108:109], v[110:111]
	s_cbranch_execz .LBB51_14
	s_branch .LBB51_15
.LBB51_13:
                                        ; implicit-def: $vgpr108_vgpr109
.LBB51_14:
	ds_read_b64 v[108:109], v1
.LBB51_15:
	scratch_load_dwordx2 v[114:115], off, off offset:400
	v_mov_b32_e32 v110, 0
	ds_read2_b64 v[110:113], v110 offset0:49 offset1:102
	s_waitcnt vmcnt(0) lgkmcnt(0)
	v_fma_f64 v[112:113], v[114:115], v[112:113], v[108:109]
	v_cndmask_b32_e64 v109, v109, v113, s[0:1]
	v_cndmask_b32_e64 v108, v108, v112, s[0:1]
	v_mul_f64 v[108:109], v[108:109], v[110:111]
	scratch_store_dwordx2 off, v[108:109], off offset:392
.LBB51_16:
	s_or_b64 exec, exec, s[4:5]
	scratch_load_dwordx2 v[108:109], off, off offset:384
	v_cmp_lt_u32_e64 s[0:1], 48, v0
	s_waitcnt vmcnt(0)
	ds_write_b64 v1, v[108:109]
	s_waitcnt lgkmcnt(0)
	; wave barrier
	s_and_saveexec_b64 s[4:5], s[0:1]
	s_cbranch_execz .LBB51_26
; %bb.17:
	s_andn2_b64 vcc, exec, s[6:7]
	s_cbranch_vccnz .LBB51_19
; %bb.18:
	scratch_load_dwordx2 v[108:109], v17, off
	ds_read_b64 v[110:111], v1
	s_waitcnt vmcnt(0) lgkmcnt(0)
	v_mul_f64 v[108:109], v[108:109], v[110:111]
	s_cbranch_execz .LBB51_20
	s_branch .LBB51_21
.LBB51_19:
                                        ; implicit-def: $vgpr108_vgpr109
.LBB51_20:
	ds_read_b64 v[108:109], v1
.LBB51_21:
	s_and_saveexec_b64 s[8:9], s[2:3]
	s_cbranch_execz .LBB51_25
; %bb.22:
	s_movk_i32 s35, 0x188
	v_subrev_u32_e32 v110, 49, v0
	s_movk_i32 s36, 0x328
	s_mov_b64 s[2:3], 0
.LBB51_23:                              ; =>This Inner Loop Header: Depth=1
	scratch_load_dwordx2 v[112:113], off, s35
	v_mov_b32_e32 v111, s36
	ds_read_b64 v[114:115], v111
	v_add_u32_e32 v110, -1, v110
	s_add_i32 s36, s36, 8
	s_add_i32 s35, s35, 8
	v_cmp_eq_u32_e32 vcc, 0, v110
	s_or_b64 s[2:3], vcc, s[2:3]
	s_waitcnt vmcnt(0) lgkmcnt(0)
	v_fmac_f64_e32 v[108:109], v[112:113], v[114:115]
	s_andn2_b64 exec, exec, s[2:3]
	s_cbranch_execnz .LBB51_23
; %bb.24:
	s_or_b64 exec, exec, s[2:3]
.LBB51_25:
	s_or_b64 exec, exec, s[8:9]
	v_mov_b32_e32 v110, 0
	ds_read_b64 v[110:111], v110 offset:384
	s_waitcnt lgkmcnt(0)
	v_mul_f64 v[108:109], v[108:109], v[110:111]
	scratch_store_dwordx2 off, v[108:109], off offset:384
.LBB51_26:
	s_or_b64 exec, exec, s[4:5]
	scratch_load_dwordx2 v[108:109], off, off offset:376
	v_cmp_lt_u32_e64 s[2:3], 47, v0
	s_waitcnt vmcnt(0)
	ds_write_b64 v1, v[108:109]
	s_waitcnt lgkmcnt(0)
	; wave barrier
	s_and_saveexec_b64 s[4:5], s[2:3]
	s_cbranch_execz .LBB51_36
; %bb.27:
	s_andn2_b64 vcc, exec, s[6:7]
	s_cbranch_vccnz .LBB51_29
; %bb.28:
	scratch_load_dwordx2 v[108:109], v17, off
	ds_read_b64 v[110:111], v1
	s_waitcnt vmcnt(0) lgkmcnt(0)
	v_mul_f64 v[108:109], v[108:109], v[110:111]
	s_cbranch_execz .LBB51_30
	s_branch .LBB51_31
.LBB51_29:
                                        ; implicit-def: $vgpr108_vgpr109
.LBB51_30:
	ds_read_b64 v[108:109], v1
.LBB51_31:
	s_and_saveexec_b64 s[8:9], s[0:1]
	s_cbranch_execz .LBB51_35
; %bb.32:
	v_subrev_u32_e32 v110, 48, v0
	s_movk_i32 s35, 0x320
	s_mov_b64 s[0:1], 0
.LBB51_33:                              ; =>This Inner Loop Header: Depth=1
	scratch_load_dwordx2 v[112:113], off, s34
	v_mov_b32_e32 v111, s35
	ds_read_b64 v[114:115], v111
	v_add_u32_e32 v110, -1, v110
	s_add_i32 s35, s35, 8
	s_add_i32 s34, s34, 8
	v_cmp_eq_u32_e32 vcc, 0, v110
	s_or_b64 s[0:1], vcc, s[0:1]
	s_waitcnt vmcnt(0) lgkmcnt(0)
	v_fmac_f64_e32 v[108:109], v[112:113], v[114:115]
	s_andn2_b64 exec, exec, s[0:1]
	s_cbranch_execnz .LBB51_33
; %bb.34:
	s_or_b64 exec, exec, s[0:1]
.LBB51_35:
	s_or_b64 exec, exec, s[8:9]
	v_mov_b32_e32 v110, 0
	ds_read_b64 v[110:111], v110 offset:376
	s_waitcnt lgkmcnt(0)
	v_mul_f64 v[108:109], v[108:109], v[110:111]
	scratch_store_dwordx2 off, v[108:109], off offset:376
.LBB51_36:
	s_or_b64 exec, exec, s[4:5]
	scratch_load_dwordx2 v[108:109], off, off offset:368
	v_cmp_lt_u32_e64 s[0:1], 46, v0
	s_waitcnt vmcnt(0)
	ds_write_b64 v1, v[108:109]
	s_waitcnt lgkmcnt(0)
	; wave barrier
	s_and_saveexec_b64 s[4:5], s[0:1]
	s_cbranch_execz .LBB51_46
; %bb.37:
	s_andn2_b64 vcc, exec, s[6:7]
	s_cbranch_vccnz .LBB51_39
; %bb.38:
	scratch_load_dwordx2 v[108:109], v17, off
	ds_read_b64 v[110:111], v1
	s_waitcnt vmcnt(0) lgkmcnt(0)
	v_mul_f64 v[108:109], v[108:109], v[110:111]
	s_cbranch_execz .LBB51_40
	s_branch .LBB51_41
.LBB51_39:
                                        ; implicit-def: $vgpr108_vgpr109
.LBB51_40:
	ds_read_b64 v[108:109], v1
.LBB51_41:
	s_and_saveexec_b64 s[8:9], s[2:3]
	s_cbranch_execz .LBB51_45
; %bb.42:
	s_movk_i32 s34, 0x178
	v_subrev_u32_e32 v110, 47, v0
	s_movk_i32 s35, 0x318
	s_mov_b64 s[2:3], 0
.LBB51_43:                              ; =>This Inner Loop Header: Depth=1
	scratch_load_dwordx2 v[112:113], off, s34
	v_mov_b32_e32 v111, s35
	ds_read_b64 v[114:115], v111
	v_add_u32_e32 v110, -1, v110
	s_add_i32 s35, s35, 8
	s_add_i32 s34, s34, 8
	v_cmp_eq_u32_e32 vcc, 0, v110
	s_or_b64 s[2:3], vcc, s[2:3]
	s_waitcnt vmcnt(0) lgkmcnt(0)
	v_fmac_f64_e32 v[108:109], v[112:113], v[114:115]
	s_andn2_b64 exec, exec, s[2:3]
	s_cbranch_execnz .LBB51_43
; %bb.44:
	s_or_b64 exec, exec, s[2:3]
.LBB51_45:
	s_or_b64 exec, exec, s[8:9]
	v_mov_b32_e32 v110, 0
	ds_read_b64 v[110:111], v110 offset:368
	s_waitcnt lgkmcnt(0)
	v_mul_f64 v[108:109], v[108:109], v[110:111]
	scratch_store_dwordx2 off, v[108:109], off offset:368
.LBB51_46:
	s_or_b64 exec, exec, s[4:5]
	scratch_load_dwordx2 v[108:109], off, off offset:360
	v_cmp_lt_u32_e64 s[2:3], 45, v0
	s_waitcnt vmcnt(0)
	ds_write_b64 v1, v[108:109]
	s_waitcnt lgkmcnt(0)
	; wave barrier
	s_and_saveexec_b64 s[4:5], s[2:3]
	s_cbranch_execz .LBB51_56
; %bb.47:
	s_andn2_b64 vcc, exec, s[6:7]
	s_cbranch_vccnz .LBB51_49
; %bb.48:
	scratch_load_dwordx2 v[108:109], v17, off
	ds_read_b64 v[110:111], v1
	s_waitcnt vmcnt(0) lgkmcnt(0)
	v_mul_f64 v[108:109], v[108:109], v[110:111]
	s_cbranch_execz .LBB51_50
	s_branch .LBB51_51
.LBB51_49:
                                        ; implicit-def: $vgpr108_vgpr109
.LBB51_50:
	ds_read_b64 v[108:109], v1
.LBB51_51:
	s_and_saveexec_b64 s[8:9], s[0:1]
	s_cbranch_execz .LBB51_55
; %bb.52:
	v_subrev_u32_e32 v110, 46, v0
	s_movk_i32 s34, 0x310
	s_mov_b64 s[0:1], 0
.LBB51_53:                              ; =>This Inner Loop Header: Depth=1
	scratch_load_dwordx2 v[112:113], off, s33
	v_mov_b32_e32 v111, s34
	ds_read_b64 v[114:115], v111
	v_add_u32_e32 v110, -1, v110
	s_add_i32 s34, s34, 8
	s_add_i32 s33, s33, 8
	v_cmp_eq_u32_e32 vcc, 0, v110
	s_or_b64 s[0:1], vcc, s[0:1]
	s_waitcnt vmcnt(0) lgkmcnt(0)
	v_fmac_f64_e32 v[108:109], v[112:113], v[114:115]
	s_andn2_b64 exec, exec, s[0:1]
	s_cbranch_execnz .LBB51_53
; %bb.54:
	s_or_b64 exec, exec, s[0:1]
.LBB51_55:
	s_or_b64 exec, exec, s[8:9]
	v_mov_b32_e32 v110, 0
	ds_read_b64 v[110:111], v110 offset:360
	s_waitcnt lgkmcnt(0)
	v_mul_f64 v[108:109], v[108:109], v[110:111]
	scratch_store_dwordx2 off, v[108:109], off offset:360
.LBB51_56:
	s_or_b64 exec, exec, s[4:5]
	scratch_load_dwordx2 v[108:109], off, off offset:352
	v_cmp_lt_u32_e64 s[0:1], 44, v0
	s_waitcnt vmcnt(0)
	ds_write_b64 v1, v[108:109]
	s_waitcnt lgkmcnt(0)
	; wave barrier
	s_and_saveexec_b64 s[4:5], s[0:1]
	s_cbranch_execz .LBB51_66
; %bb.57:
	s_andn2_b64 vcc, exec, s[6:7]
	s_cbranch_vccnz .LBB51_59
; %bb.58:
	scratch_load_dwordx2 v[108:109], v17, off
	ds_read_b64 v[110:111], v1
	s_waitcnt vmcnt(0) lgkmcnt(0)
	v_mul_f64 v[108:109], v[108:109], v[110:111]
	s_cbranch_execz .LBB51_60
	s_branch .LBB51_61
.LBB51_59:
                                        ; implicit-def: $vgpr108_vgpr109
.LBB51_60:
	ds_read_b64 v[108:109], v1
.LBB51_61:
	s_and_saveexec_b64 s[8:9], s[2:3]
	s_cbranch_execz .LBB51_65
; %bb.62:
	s_movk_i32 s33, 0x168
	v_subrev_u32_e32 v110, 45, v0
	s_movk_i32 s34, 0x308
	s_mov_b64 s[2:3], 0
.LBB51_63:                              ; =>This Inner Loop Header: Depth=1
	scratch_load_dwordx2 v[112:113], off, s33
	v_mov_b32_e32 v111, s34
	ds_read_b64 v[114:115], v111
	v_add_u32_e32 v110, -1, v110
	s_add_i32 s34, s34, 8
	s_add_i32 s33, s33, 8
	v_cmp_eq_u32_e32 vcc, 0, v110
	s_or_b64 s[2:3], vcc, s[2:3]
	s_waitcnt vmcnt(0) lgkmcnt(0)
	v_fmac_f64_e32 v[108:109], v[112:113], v[114:115]
	s_andn2_b64 exec, exec, s[2:3]
	s_cbranch_execnz .LBB51_63
; %bb.64:
	s_or_b64 exec, exec, s[2:3]
.LBB51_65:
	s_or_b64 exec, exec, s[8:9]
	v_mov_b32_e32 v110, 0
	ds_read_b64 v[110:111], v110 offset:352
	s_waitcnt lgkmcnt(0)
	v_mul_f64 v[108:109], v[108:109], v[110:111]
	scratch_store_dwordx2 off, v[108:109], off offset:352
.LBB51_66:
	s_or_b64 exec, exec, s[4:5]
	scratch_load_dwordx2 v[108:109], off, off offset:344
	v_cmp_lt_u32_e64 s[2:3], 43, v0
	s_waitcnt vmcnt(0)
	ds_write_b64 v1, v[108:109]
	s_waitcnt lgkmcnt(0)
	; wave barrier
	s_and_saveexec_b64 s[4:5], s[2:3]
	s_cbranch_execz .LBB51_76
; %bb.67:
	s_andn2_b64 vcc, exec, s[6:7]
	s_cbranch_vccnz .LBB51_69
; %bb.68:
	scratch_load_dwordx2 v[108:109], v17, off
	ds_read_b64 v[110:111], v1
	s_waitcnt vmcnt(0) lgkmcnt(0)
	v_mul_f64 v[108:109], v[108:109], v[110:111]
	s_cbranch_execz .LBB51_70
	s_branch .LBB51_71
.LBB51_69:
                                        ; implicit-def: $vgpr108_vgpr109
.LBB51_70:
	ds_read_b64 v[108:109], v1
.LBB51_71:
	s_and_saveexec_b64 s[8:9], s[0:1]
	s_cbranch_execz .LBB51_75
; %bb.72:
	v_subrev_u32_e32 v110, 44, v0
	s_movk_i32 s33, 0x300
	s_mov_b64 s[0:1], 0
.LBB51_73:                              ; =>This Inner Loop Header: Depth=1
	scratch_load_dwordx2 v[112:113], off, s31
	v_mov_b32_e32 v111, s33
	ds_read_b64 v[114:115], v111
	v_add_u32_e32 v110, -1, v110
	s_add_i32 s33, s33, 8
	s_add_i32 s31, s31, 8
	v_cmp_eq_u32_e32 vcc, 0, v110
	s_or_b64 s[0:1], vcc, s[0:1]
	s_waitcnt vmcnt(0) lgkmcnt(0)
	v_fmac_f64_e32 v[108:109], v[112:113], v[114:115]
	s_andn2_b64 exec, exec, s[0:1]
	s_cbranch_execnz .LBB51_73
; %bb.74:
	s_or_b64 exec, exec, s[0:1]
.LBB51_75:
	s_or_b64 exec, exec, s[8:9]
	v_mov_b32_e32 v110, 0
	ds_read_b64 v[110:111], v110 offset:344
	s_waitcnt lgkmcnt(0)
	v_mul_f64 v[108:109], v[108:109], v[110:111]
	scratch_store_dwordx2 off, v[108:109], off offset:344
.LBB51_76:
	s_or_b64 exec, exec, s[4:5]
	scratch_load_dwordx2 v[108:109], off, off offset:336
	v_cmp_lt_u32_e64 s[0:1], 42, v0
	s_waitcnt vmcnt(0)
	ds_write_b64 v1, v[108:109]
	s_waitcnt lgkmcnt(0)
	; wave barrier
	s_and_saveexec_b64 s[4:5], s[0:1]
	s_cbranch_execz .LBB51_86
; %bb.77:
	s_andn2_b64 vcc, exec, s[6:7]
	s_cbranch_vccnz .LBB51_79
; %bb.78:
	scratch_load_dwordx2 v[108:109], v17, off
	ds_read_b64 v[110:111], v1
	s_waitcnt vmcnt(0) lgkmcnt(0)
	v_mul_f64 v[108:109], v[108:109], v[110:111]
	s_cbranch_execz .LBB51_80
	s_branch .LBB51_81
.LBB51_79:
                                        ; implicit-def: $vgpr108_vgpr109
.LBB51_80:
	ds_read_b64 v[108:109], v1
.LBB51_81:
	s_and_saveexec_b64 s[8:9], s[2:3]
	s_cbranch_execz .LBB51_85
; %bb.82:
	s_movk_i32 s31, 0x158
	v_subrev_u32_e32 v110, 43, v0
	s_movk_i32 s33, 0x2f8
	s_mov_b64 s[2:3], 0
.LBB51_83:                              ; =>This Inner Loop Header: Depth=1
	scratch_load_dwordx2 v[112:113], off, s31
	v_mov_b32_e32 v111, s33
	ds_read_b64 v[114:115], v111
	v_add_u32_e32 v110, -1, v110
	s_add_i32 s33, s33, 8
	s_add_i32 s31, s31, 8
	v_cmp_eq_u32_e32 vcc, 0, v110
	s_or_b64 s[2:3], vcc, s[2:3]
	s_waitcnt vmcnt(0) lgkmcnt(0)
	v_fmac_f64_e32 v[108:109], v[112:113], v[114:115]
	s_andn2_b64 exec, exec, s[2:3]
	s_cbranch_execnz .LBB51_83
; %bb.84:
	s_or_b64 exec, exec, s[2:3]
.LBB51_85:
	s_or_b64 exec, exec, s[8:9]
	v_mov_b32_e32 v110, 0
	ds_read_b64 v[110:111], v110 offset:336
	s_waitcnt lgkmcnt(0)
	v_mul_f64 v[108:109], v[108:109], v[110:111]
	scratch_store_dwordx2 off, v[108:109], off offset:336
.LBB51_86:
	s_or_b64 exec, exec, s[4:5]
	scratch_load_dwordx2 v[108:109], off, off offset:328
	v_cmp_lt_u32_e64 s[2:3], 41, v0
	s_waitcnt vmcnt(0)
	ds_write_b64 v1, v[108:109]
	s_waitcnt lgkmcnt(0)
	; wave barrier
	s_and_saveexec_b64 s[4:5], s[2:3]
	s_cbranch_execz .LBB51_96
; %bb.87:
	s_andn2_b64 vcc, exec, s[6:7]
	s_cbranch_vccnz .LBB51_89
; %bb.88:
	scratch_load_dwordx2 v[108:109], v17, off
	ds_read_b64 v[110:111], v1
	s_waitcnt vmcnt(0) lgkmcnt(0)
	v_mul_f64 v[108:109], v[108:109], v[110:111]
	s_cbranch_execz .LBB51_90
	s_branch .LBB51_91
.LBB51_89:
                                        ; implicit-def: $vgpr108_vgpr109
.LBB51_90:
	ds_read_b64 v[108:109], v1
.LBB51_91:
	s_and_saveexec_b64 s[8:9], s[0:1]
	s_cbranch_execz .LBB51_95
; %bb.92:
	v_subrev_u32_e32 v110, 42, v0
	s_movk_i32 s31, 0x2f0
	s_mov_b64 s[0:1], 0
.LBB51_93:                              ; =>This Inner Loop Header: Depth=1
	scratch_load_dwordx2 v[112:113], off, s30
	v_mov_b32_e32 v111, s31
	ds_read_b64 v[114:115], v111
	v_add_u32_e32 v110, -1, v110
	s_add_i32 s31, s31, 8
	s_add_i32 s30, s30, 8
	v_cmp_eq_u32_e32 vcc, 0, v110
	s_or_b64 s[0:1], vcc, s[0:1]
	s_waitcnt vmcnt(0) lgkmcnt(0)
	v_fmac_f64_e32 v[108:109], v[112:113], v[114:115]
	s_andn2_b64 exec, exec, s[0:1]
	s_cbranch_execnz .LBB51_93
; %bb.94:
	s_or_b64 exec, exec, s[0:1]
.LBB51_95:
	s_or_b64 exec, exec, s[8:9]
	v_mov_b32_e32 v110, 0
	ds_read_b64 v[110:111], v110 offset:328
	s_waitcnt lgkmcnt(0)
	v_mul_f64 v[108:109], v[108:109], v[110:111]
	scratch_store_dwordx2 off, v[108:109], off offset:328
.LBB51_96:
	s_or_b64 exec, exec, s[4:5]
	scratch_load_dwordx2 v[108:109], off, off offset:320
	v_cmp_lt_u32_e64 s[0:1], 40, v0
	s_waitcnt vmcnt(0)
	ds_write_b64 v1, v[108:109]
	s_waitcnt lgkmcnt(0)
	; wave barrier
	s_and_saveexec_b64 s[4:5], s[0:1]
	s_cbranch_execz .LBB51_106
; %bb.97:
	s_andn2_b64 vcc, exec, s[6:7]
	s_cbranch_vccnz .LBB51_99
; %bb.98:
	scratch_load_dwordx2 v[108:109], v17, off
	ds_read_b64 v[110:111], v1
	s_waitcnt vmcnt(0) lgkmcnt(0)
	v_mul_f64 v[108:109], v[108:109], v[110:111]
	s_cbranch_execz .LBB51_100
	s_branch .LBB51_101
.LBB51_99:
                                        ; implicit-def: $vgpr108_vgpr109
.LBB51_100:
	ds_read_b64 v[108:109], v1
.LBB51_101:
	s_and_saveexec_b64 s[8:9], s[2:3]
	s_cbranch_execz .LBB51_105
; %bb.102:
	s_movk_i32 s30, 0x148
	v_subrev_u32_e32 v110, 41, v0
	s_movk_i32 s31, 0x2e8
	s_mov_b64 s[2:3], 0
.LBB51_103:                             ; =>This Inner Loop Header: Depth=1
	scratch_load_dwordx2 v[112:113], off, s30
	v_mov_b32_e32 v111, s31
	ds_read_b64 v[114:115], v111
	v_add_u32_e32 v110, -1, v110
	s_add_i32 s31, s31, 8
	s_add_i32 s30, s30, 8
	v_cmp_eq_u32_e32 vcc, 0, v110
	s_or_b64 s[2:3], vcc, s[2:3]
	s_waitcnt vmcnt(0) lgkmcnt(0)
	v_fmac_f64_e32 v[108:109], v[112:113], v[114:115]
	s_andn2_b64 exec, exec, s[2:3]
	s_cbranch_execnz .LBB51_103
; %bb.104:
	s_or_b64 exec, exec, s[2:3]
.LBB51_105:
	s_or_b64 exec, exec, s[8:9]
	v_mov_b32_e32 v110, 0
	ds_read_b64 v[110:111], v110 offset:320
	s_waitcnt lgkmcnt(0)
	v_mul_f64 v[108:109], v[108:109], v[110:111]
	scratch_store_dwordx2 off, v[108:109], off offset:320
.LBB51_106:
	s_or_b64 exec, exec, s[4:5]
	scratch_load_dwordx2 v[108:109], off, off offset:312
	v_cmp_lt_u32_e64 s[2:3], 39, v0
	s_waitcnt vmcnt(0)
	ds_write_b64 v1, v[108:109]
	s_waitcnt lgkmcnt(0)
	; wave barrier
	s_and_saveexec_b64 s[4:5], s[2:3]
	s_cbranch_execz .LBB51_116
; %bb.107:
	s_andn2_b64 vcc, exec, s[6:7]
	s_cbranch_vccnz .LBB51_109
; %bb.108:
	scratch_load_dwordx2 v[108:109], v17, off
	ds_read_b64 v[110:111], v1
	s_waitcnt vmcnt(0) lgkmcnt(0)
	v_mul_f64 v[108:109], v[108:109], v[110:111]
	s_cbranch_execz .LBB51_110
	s_branch .LBB51_111
.LBB51_109:
                                        ; implicit-def: $vgpr108_vgpr109
.LBB51_110:
	ds_read_b64 v[108:109], v1
.LBB51_111:
	s_and_saveexec_b64 s[8:9], s[0:1]
	s_cbranch_execz .LBB51_115
; %bb.112:
	v_subrev_u32_e32 v110, 40, v0
	s_movk_i32 s30, 0x2e0
	s_mov_b64 s[0:1], 0
.LBB51_113:                             ; =>This Inner Loop Header: Depth=1
	scratch_load_dwordx2 v[112:113], off, s29
	v_mov_b32_e32 v111, s30
	ds_read_b64 v[114:115], v111
	v_add_u32_e32 v110, -1, v110
	s_add_i32 s30, s30, 8
	s_add_i32 s29, s29, 8
	v_cmp_eq_u32_e32 vcc, 0, v110
	s_or_b64 s[0:1], vcc, s[0:1]
	s_waitcnt vmcnt(0) lgkmcnt(0)
	v_fmac_f64_e32 v[108:109], v[112:113], v[114:115]
	s_andn2_b64 exec, exec, s[0:1]
	s_cbranch_execnz .LBB51_113
; %bb.114:
	s_or_b64 exec, exec, s[0:1]
.LBB51_115:
	s_or_b64 exec, exec, s[8:9]
	v_mov_b32_e32 v110, 0
	ds_read_b64 v[110:111], v110 offset:312
	s_waitcnt lgkmcnt(0)
	v_mul_f64 v[108:109], v[108:109], v[110:111]
	scratch_store_dwordx2 off, v[108:109], off offset:312
.LBB51_116:
	s_or_b64 exec, exec, s[4:5]
	scratch_load_dwordx2 v[108:109], off, off offset:304
	v_cmp_lt_u32_e64 s[0:1], 38, v0
	s_waitcnt vmcnt(0)
	ds_write_b64 v1, v[108:109]
	s_waitcnt lgkmcnt(0)
	; wave barrier
	s_and_saveexec_b64 s[4:5], s[0:1]
	s_cbranch_execz .LBB51_126
; %bb.117:
	s_andn2_b64 vcc, exec, s[6:7]
	s_cbranch_vccnz .LBB51_119
; %bb.118:
	scratch_load_dwordx2 v[108:109], v17, off
	ds_read_b64 v[110:111], v1
	s_waitcnt vmcnt(0) lgkmcnt(0)
	v_mul_f64 v[108:109], v[108:109], v[110:111]
	s_cbranch_execz .LBB51_120
	s_branch .LBB51_121
.LBB51_119:
                                        ; implicit-def: $vgpr108_vgpr109
.LBB51_120:
	ds_read_b64 v[108:109], v1
.LBB51_121:
	s_and_saveexec_b64 s[8:9], s[2:3]
	s_cbranch_execz .LBB51_125
; %bb.122:
	s_movk_i32 s29, 0x138
	v_subrev_u32_e32 v110, 39, v0
	s_movk_i32 s30, 0x2d8
	s_mov_b64 s[2:3], 0
.LBB51_123:                             ; =>This Inner Loop Header: Depth=1
	scratch_load_dwordx2 v[112:113], off, s29
	v_mov_b32_e32 v111, s30
	ds_read_b64 v[114:115], v111
	v_add_u32_e32 v110, -1, v110
	s_add_i32 s30, s30, 8
	s_add_i32 s29, s29, 8
	v_cmp_eq_u32_e32 vcc, 0, v110
	s_or_b64 s[2:3], vcc, s[2:3]
	s_waitcnt vmcnt(0) lgkmcnt(0)
	v_fmac_f64_e32 v[108:109], v[112:113], v[114:115]
	s_andn2_b64 exec, exec, s[2:3]
	s_cbranch_execnz .LBB51_123
; %bb.124:
	s_or_b64 exec, exec, s[2:3]
.LBB51_125:
	s_or_b64 exec, exec, s[8:9]
	v_mov_b32_e32 v110, 0
	ds_read_b64 v[110:111], v110 offset:304
	s_waitcnt lgkmcnt(0)
	v_mul_f64 v[108:109], v[108:109], v[110:111]
	scratch_store_dwordx2 off, v[108:109], off offset:304
.LBB51_126:
	s_or_b64 exec, exec, s[4:5]
	scratch_load_dwordx2 v[108:109], off, off offset:296
	v_cmp_lt_u32_e64 s[2:3], 37, v0
	s_waitcnt vmcnt(0)
	ds_write_b64 v1, v[108:109]
	s_waitcnt lgkmcnt(0)
	; wave barrier
	s_and_saveexec_b64 s[4:5], s[2:3]
	s_cbranch_execz .LBB51_136
; %bb.127:
	s_andn2_b64 vcc, exec, s[6:7]
	s_cbranch_vccnz .LBB51_129
; %bb.128:
	scratch_load_dwordx2 v[108:109], v17, off
	ds_read_b64 v[110:111], v1
	s_waitcnt vmcnt(0) lgkmcnt(0)
	v_mul_f64 v[108:109], v[108:109], v[110:111]
	s_cbranch_execz .LBB51_130
	s_branch .LBB51_131
.LBB51_129:
                                        ; implicit-def: $vgpr108_vgpr109
.LBB51_130:
	ds_read_b64 v[108:109], v1
.LBB51_131:
	s_and_saveexec_b64 s[8:9], s[0:1]
	s_cbranch_execz .LBB51_135
; %bb.132:
	v_subrev_u32_e32 v110, 38, v0
	s_movk_i32 s29, 0x2d0
	s_mov_b64 s[0:1], 0
.LBB51_133:                             ; =>This Inner Loop Header: Depth=1
	scratch_load_dwordx2 v[112:113], off, s28
	v_mov_b32_e32 v111, s29
	ds_read_b64 v[114:115], v111
	v_add_u32_e32 v110, -1, v110
	s_add_i32 s29, s29, 8
	s_add_i32 s28, s28, 8
	v_cmp_eq_u32_e32 vcc, 0, v110
	s_or_b64 s[0:1], vcc, s[0:1]
	s_waitcnt vmcnt(0) lgkmcnt(0)
	v_fmac_f64_e32 v[108:109], v[112:113], v[114:115]
	s_andn2_b64 exec, exec, s[0:1]
	s_cbranch_execnz .LBB51_133
; %bb.134:
	s_or_b64 exec, exec, s[0:1]
.LBB51_135:
	s_or_b64 exec, exec, s[8:9]
	v_mov_b32_e32 v110, 0
	ds_read_b64 v[110:111], v110 offset:296
	s_waitcnt lgkmcnt(0)
	v_mul_f64 v[108:109], v[108:109], v[110:111]
	scratch_store_dwordx2 off, v[108:109], off offset:296
.LBB51_136:
	s_or_b64 exec, exec, s[4:5]
	scratch_load_dwordx2 v[108:109], off, off offset:288
	v_cmp_lt_u32_e64 s[0:1], 36, v0
	s_waitcnt vmcnt(0)
	ds_write_b64 v1, v[108:109]
	s_waitcnt lgkmcnt(0)
	; wave barrier
	s_and_saveexec_b64 s[4:5], s[0:1]
	s_cbranch_execz .LBB51_146
; %bb.137:
	s_andn2_b64 vcc, exec, s[6:7]
	s_cbranch_vccnz .LBB51_139
; %bb.138:
	scratch_load_dwordx2 v[108:109], v17, off
	ds_read_b64 v[110:111], v1
	s_waitcnt vmcnt(0) lgkmcnt(0)
	v_mul_f64 v[108:109], v[108:109], v[110:111]
	s_cbranch_execz .LBB51_140
	s_branch .LBB51_141
.LBB51_139:
                                        ; implicit-def: $vgpr108_vgpr109
.LBB51_140:
	ds_read_b64 v[108:109], v1
.LBB51_141:
	s_and_saveexec_b64 s[8:9], s[2:3]
	s_cbranch_execz .LBB51_145
; %bb.142:
	s_movk_i32 s28, 0x128
	v_subrev_u32_e32 v110, 37, v0
	s_movk_i32 s29, 0x2c8
	s_mov_b64 s[2:3], 0
.LBB51_143:                             ; =>This Inner Loop Header: Depth=1
	scratch_load_dwordx2 v[112:113], off, s28
	v_mov_b32_e32 v111, s29
	ds_read_b64 v[114:115], v111
	v_add_u32_e32 v110, -1, v110
	s_add_i32 s29, s29, 8
	s_add_i32 s28, s28, 8
	v_cmp_eq_u32_e32 vcc, 0, v110
	s_or_b64 s[2:3], vcc, s[2:3]
	s_waitcnt vmcnt(0) lgkmcnt(0)
	v_fmac_f64_e32 v[108:109], v[112:113], v[114:115]
	s_andn2_b64 exec, exec, s[2:3]
	s_cbranch_execnz .LBB51_143
; %bb.144:
	s_or_b64 exec, exec, s[2:3]
.LBB51_145:
	s_or_b64 exec, exec, s[8:9]
	v_mov_b32_e32 v110, 0
	ds_read_b64 v[110:111], v110 offset:288
	s_waitcnt lgkmcnt(0)
	v_mul_f64 v[108:109], v[108:109], v[110:111]
	scratch_store_dwordx2 off, v[108:109], off offset:288
.LBB51_146:
	s_or_b64 exec, exec, s[4:5]
	scratch_load_dwordx2 v[108:109], off, off offset:280
	v_cmp_lt_u32_e64 s[2:3], 35, v0
	s_waitcnt vmcnt(0)
	ds_write_b64 v1, v[108:109]
	s_waitcnt lgkmcnt(0)
	; wave barrier
	s_and_saveexec_b64 s[4:5], s[2:3]
	s_cbranch_execz .LBB51_156
; %bb.147:
	s_andn2_b64 vcc, exec, s[6:7]
	s_cbranch_vccnz .LBB51_149
; %bb.148:
	scratch_load_dwordx2 v[108:109], v17, off
	ds_read_b64 v[110:111], v1
	s_waitcnt vmcnt(0) lgkmcnt(0)
	v_mul_f64 v[108:109], v[108:109], v[110:111]
	s_cbranch_execz .LBB51_150
	s_branch .LBB51_151
.LBB51_149:
                                        ; implicit-def: $vgpr108_vgpr109
.LBB51_150:
	ds_read_b64 v[108:109], v1
.LBB51_151:
	s_and_saveexec_b64 s[8:9], s[0:1]
	s_cbranch_execz .LBB51_155
; %bb.152:
	v_subrev_u32_e32 v110, 36, v0
	s_movk_i32 s28, 0x2c0
	s_mov_b64 s[0:1], 0
.LBB51_153:                             ; =>This Inner Loop Header: Depth=1
	scratch_load_dwordx2 v[112:113], off, s27
	v_mov_b32_e32 v111, s28
	ds_read_b64 v[114:115], v111
	v_add_u32_e32 v110, -1, v110
	s_add_i32 s28, s28, 8
	s_add_i32 s27, s27, 8
	v_cmp_eq_u32_e32 vcc, 0, v110
	s_or_b64 s[0:1], vcc, s[0:1]
	s_waitcnt vmcnt(0) lgkmcnt(0)
	v_fmac_f64_e32 v[108:109], v[112:113], v[114:115]
	s_andn2_b64 exec, exec, s[0:1]
	s_cbranch_execnz .LBB51_153
; %bb.154:
	s_or_b64 exec, exec, s[0:1]
.LBB51_155:
	s_or_b64 exec, exec, s[8:9]
	v_mov_b32_e32 v110, 0
	ds_read_b64 v[110:111], v110 offset:280
	s_waitcnt lgkmcnt(0)
	v_mul_f64 v[108:109], v[108:109], v[110:111]
	scratch_store_dwordx2 off, v[108:109], off offset:280
.LBB51_156:
	s_or_b64 exec, exec, s[4:5]
	scratch_load_dwordx2 v[108:109], off, off offset:272
	v_cmp_lt_u32_e64 s[0:1], 34, v0
	s_waitcnt vmcnt(0)
	ds_write_b64 v1, v[108:109]
	s_waitcnt lgkmcnt(0)
	; wave barrier
	s_and_saveexec_b64 s[4:5], s[0:1]
	s_cbranch_execz .LBB51_166
; %bb.157:
	s_andn2_b64 vcc, exec, s[6:7]
	s_cbranch_vccnz .LBB51_159
; %bb.158:
	scratch_load_dwordx2 v[108:109], v17, off
	ds_read_b64 v[110:111], v1
	s_waitcnt vmcnt(0) lgkmcnt(0)
	v_mul_f64 v[108:109], v[108:109], v[110:111]
	s_cbranch_execz .LBB51_160
	s_branch .LBB51_161
.LBB51_159:
                                        ; implicit-def: $vgpr108_vgpr109
.LBB51_160:
	ds_read_b64 v[108:109], v1
.LBB51_161:
	s_and_saveexec_b64 s[8:9], s[2:3]
	s_cbranch_execz .LBB51_165
; %bb.162:
	s_movk_i32 s27, 0x118
	v_subrev_u32_e32 v110, 35, v0
	s_movk_i32 s28, 0x2b8
	s_mov_b64 s[2:3], 0
.LBB51_163:                             ; =>This Inner Loop Header: Depth=1
	scratch_load_dwordx2 v[112:113], off, s27
	v_mov_b32_e32 v111, s28
	ds_read_b64 v[114:115], v111
	v_add_u32_e32 v110, -1, v110
	s_add_i32 s28, s28, 8
	s_add_i32 s27, s27, 8
	v_cmp_eq_u32_e32 vcc, 0, v110
	s_or_b64 s[2:3], vcc, s[2:3]
	s_waitcnt vmcnt(0) lgkmcnt(0)
	v_fmac_f64_e32 v[108:109], v[112:113], v[114:115]
	s_andn2_b64 exec, exec, s[2:3]
	s_cbranch_execnz .LBB51_163
; %bb.164:
	s_or_b64 exec, exec, s[2:3]
.LBB51_165:
	s_or_b64 exec, exec, s[8:9]
	v_mov_b32_e32 v110, 0
	ds_read_b64 v[110:111], v110 offset:272
	s_waitcnt lgkmcnt(0)
	v_mul_f64 v[108:109], v[108:109], v[110:111]
	scratch_store_dwordx2 off, v[108:109], off offset:272
.LBB51_166:
	s_or_b64 exec, exec, s[4:5]
	scratch_load_dwordx2 v[108:109], off, off offset:264
	v_cmp_lt_u32_e64 s[2:3], 33, v0
	s_waitcnt vmcnt(0)
	ds_write_b64 v1, v[108:109]
	s_waitcnt lgkmcnt(0)
	; wave barrier
	s_and_saveexec_b64 s[4:5], s[2:3]
	s_cbranch_execz .LBB51_176
; %bb.167:
	s_andn2_b64 vcc, exec, s[6:7]
	s_cbranch_vccnz .LBB51_169
; %bb.168:
	scratch_load_dwordx2 v[108:109], v17, off
	ds_read_b64 v[110:111], v1
	s_waitcnt vmcnt(0) lgkmcnt(0)
	v_mul_f64 v[108:109], v[108:109], v[110:111]
	s_cbranch_execz .LBB51_170
	s_branch .LBB51_171
.LBB51_169:
                                        ; implicit-def: $vgpr108_vgpr109
.LBB51_170:
	ds_read_b64 v[108:109], v1
.LBB51_171:
	s_and_saveexec_b64 s[8:9], s[0:1]
	s_cbranch_execz .LBB51_175
; %bb.172:
	v_subrev_u32_e32 v110, 34, v0
	s_movk_i32 s27, 0x2b0
	s_mov_b64 s[0:1], 0
.LBB51_173:                             ; =>This Inner Loop Header: Depth=1
	scratch_load_dwordx2 v[112:113], off, s26
	v_mov_b32_e32 v111, s27
	ds_read_b64 v[114:115], v111
	v_add_u32_e32 v110, -1, v110
	s_add_i32 s27, s27, 8
	s_add_i32 s26, s26, 8
	v_cmp_eq_u32_e32 vcc, 0, v110
	s_or_b64 s[0:1], vcc, s[0:1]
	s_waitcnt vmcnt(0) lgkmcnt(0)
	v_fmac_f64_e32 v[108:109], v[112:113], v[114:115]
	s_andn2_b64 exec, exec, s[0:1]
	s_cbranch_execnz .LBB51_173
; %bb.174:
	s_or_b64 exec, exec, s[0:1]
.LBB51_175:
	s_or_b64 exec, exec, s[8:9]
	v_mov_b32_e32 v110, 0
	ds_read_b64 v[110:111], v110 offset:264
	s_waitcnt lgkmcnt(0)
	v_mul_f64 v[108:109], v[108:109], v[110:111]
	scratch_store_dwordx2 off, v[108:109], off offset:264
.LBB51_176:
	s_or_b64 exec, exec, s[4:5]
	scratch_load_dwordx2 v[108:109], off, off offset:256
	v_cmp_lt_u32_e64 s[0:1], 32, v0
	s_waitcnt vmcnt(0)
	ds_write_b64 v1, v[108:109]
	s_waitcnt lgkmcnt(0)
	; wave barrier
	s_and_saveexec_b64 s[4:5], s[0:1]
	s_cbranch_execz .LBB51_186
; %bb.177:
	s_andn2_b64 vcc, exec, s[6:7]
	s_cbranch_vccnz .LBB51_179
; %bb.178:
	scratch_load_dwordx2 v[108:109], v17, off
	ds_read_b64 v[110:111], v1
	s_waitcnt vmcnt(0) lgkmcnt(0)
	v_mul_f64 v[108:109], v[108:109], v[110:111]
	s_cbranch_execz .LBB51_180
	s_branch .LBB51_181
.LBB51_179:
                                        ; implicit-def: $vgpr108_vgpr109
.LBB51_180:
	ds_read_b64 v[108:109], v1
.LBB51_181:
	s_and_saveexec_b64 s[8:9], s[2:3]
	s_cbranch_execz .LBB51_185
; %bb.182:
	s_movk_i32 s26, 0x108
	v_subrev_u32_e32 v110, 33, v0
	s_movk_i32 s27, 0x2a8
	s_mov_b64 s[2:3], 0
.LBB51_183:                             ; =>This Inner Loop Header: Depth=1
	scratch_load_dwordx2 v[112:113], off, s26
	v_mov_b32_e32 v111, s27
	ds_read_b64 v[114:115], v111
	v_add_u32_e32 v110, -1, v110
	s_add_i32 s27, s27, 8
	s_add_i32 s26, s26, 8
	v_cmp_eq_u32_e32 vcc, 0, v110
	s_or_b64 s[2:3], vcc, s[2:3]
	s_waitcnt vmcnt(0) lgkmcnt(0)
	v_fmac_f64_e32 v[108:109], v[112:113], v[114:115]
	s_andn2_b64 exec, exec, s[2:3]
	s_cbranch_execnz .LBB51_183
; %bb.184:
	s_or_b64 exec, exec, s[2:3]
.LBB51_185:
	s_or_b64 exec, exec, s[8:9]
	v_mov_b32_e32 v110, 0
	ds_read_b64 v[110:111], v110 offset:256
	s_waitcnt lgkmcnt(0)
	v_mul_f64 v[108:109], v[108:109], v[110:111]
	scratch_store_dwordx2 off, v[108:109], off offset:256
.LBB51_186:
	s_or_b64 exec, exec, s[4:5]
	scratch_load_dwordx2 v[108:109], off, off offset:248
	v_cmp_lt_u32_e64 s[2:3], 31, v0
	s_waitcnt vmcnt(0)
	ds_write_b64 v1, v[108:109]
	s_waitcnt lgkmcnt(0)
	; wave barrier
	s_and_saveexec_b64 s[4:5], s[2:3]
	s_cbranch_execz .LBB51_196
; %bb.187:
	s_andn2_b64 vcc, exec, s[6:7]
	s_cbranch_vccnz .LBB51_189
; %bb.188:
	scratch_load_dwordx2 v[108:109], v17, off
	ds_read_b64 v[110:111], v1
	s_waitcnt vmcnt(0) lgkmcnt(0)
	v_mul_f64 v[108:109], v[108:109], v[110:111]
	s_cbranch_execz .LBB51_190
	s_branch .LBB51_191
.LBB51_189:
                                        ; implicit-def: $vgpr108_vgpr109
.LBB51_190:
	ds_read_b64 v[108:109], v1
.LBB51_191:
	s_and_saveexec_b64 s[8:9], s[0:1]
	s_cbranch_execz .LBB51_195
; %bb.192:
	v_subrev_u32_e32 v110, 32, v0
	s_movk_i32 s26, 0x2a0
	s_mov_b64 s[0:1], 0
.LBB51_193:                             ; =>This Inner Loop Header: Depth=1
	scratch_load_dwordx2 v[112:113], off, s25
	v_mov_b32_e32 v111, s26
	ds_read_b64 v[114:115], v111
	v_add_u32_e32 v110, -1, v110
	s_add_i32 s26, s26, 8
	s_add_i32 s25, s25, 8
	v_cmp_eq_u32_e32 vcc, 0, v110
	s_or_b64 s[0:1], vcc, s[0:1]
	s_waitcnt vmcnt(0) lgkmcnt(0)
	v_fmac_f64_e32 v[108:109], v[112:113], v[114:115]
	s_andn2_b64 exec, exec, s[0:1]
	s_cbranch_execnz .LBB51_193
; %bb.194:
	s_or_b64 exec, exec, s[0:1]
.LBB51_195:
	s_or_b64 exec, exec, s[8:9]
	v_mov_b32_e32 v110, 0
	ds_read_b64 v[110:111], v110 offset:248
	s_waitcnt lgkmcnt(0)
	v_mul_f64 v[108:109], v[108:109], v[110:111]
	scratch_store_dwordx2 off, v[108:109], off offset:248
.LBB51_196:
	s_or_b64 exec, exec, s[4:5]
	scratch_load_dwordx2 v[108:109], off, off offset:240
	v_cmp_lt_u32_e64 s[0:1], 30, v0
	s_waitcnt vmcnt(0)
	ds_write_b64 v1, v[108:109]
	s_waitcnt lgkmcnt(0)
	; wave barrier
	s_and_saveexec_b64 s[4:5], s[0:1]
	s_cbranch_execz .LBB51_206
; %bb.197:
	s_andn2_b64 vcc, exec, s[6:7]
	s_cbranch_vccnz .LBB51_199
; %bb.198:
	scratch_load_dwordx2 v[108:109], v17, off
	ds_read_b64 v[110:111], v1
	s_waitcnt vmcnt(0) lgkmcnt(0)
	v_mul_f64 v[108:109], v[108:109], v[110:111]
	s_cbranch_execz .LBB51_200
	s_branch .LBB51_201
.LBB51_199:
                                        ; implicit-def: $vgpr108_vgpr109
.LBB51_200:
	ds_read_b64 v[108:109], v1
.LBB51_201:
	s_and_saveexec_b64 s[8:9], s[2:3]
	s_cbranch_execz .LBB51_205
; %bb.202:
	s_movk_i32 s25, 0xf8
	v_subrev_u32_e32 v110, 31, v0
	s_movk_i32 s26, 0x298
	s_mov_b64 s[2:3], 0
.LBB51_203:                             ; =>This Inner Loop Header: Depth=1
	scratch_load_dwordx2 v[112:113], off, s25
	v_mov_b32_e32 v111, s26
	ds_read_b64 v[114:115], v111
	v_add_u32_e32 v110, -1, v110
	s_add_i32 s26, s26, 8
	s_add_i32 s25, s25, 8
	v_cmp_eq_u32_e32 vcc, 0, v110
	s_or_b64 s[2:3], vcc, s[2:3]
	s_waitcnt vmcnt(0) lgkmcnt(0)
	v_fmac_f64_e32 v[108:109], v[112:113], v[114:115]
	s_andn2_b64 exec, exec, s[2:3]
	s_cbranch_execnz .LBB51_203
; %bb.204:
	s_or_b64 exec, exec, s[2:3]
.LBB51_205:
	s_or_b64 exec, exec, s[8:9]
	v_mov_b32_e32 v110, 0
	ds_read_b64 v[110:111], v110 offset:240
	s_waitcnt lgkmcnt(0)
	v_mul_f64 v[108:109], v[108:109], v[110:111]
	scratch_store_dwordx2 off, v[108:109], off offset:240
.LBB51_206:
	s_or_b64 exec, exec, s[4:5]
	scratch_load_dwordx2 v[108:109], off, off offset:232
	v_cmp_lt_u32_e64 s[2:3], 29, v0
	s_waitcnt vmcnt(0)
	ds_write_b64 v1, v[108:109]
	s_waitcnt lgkmcnt(0)
	; wave barrier
	s_and_saveexec_b64 s[4:5], s[2:3]
	s_cbranch_execz .LBB51_216
; %bb.207:
	s_andn2_b64 vcc, exec, s[6:7]
	s_cbranch_vccnz .LBB51_209
; %bb.208:
	scratch_load_dwordx2 v[108:109], v17, off
	ds_read_b64 v[110:111], v1
	s_waitcnt vmcnt(0) lgkmcnt(0)
	v_mul_f64 v[108:109], v[108:109], v[110:111]
	s_cbranch_execz .LBB51_210
	s_branch .LBB51_211
.LBB51_209:
                                        ; implicit-def: $vgpr108_vgpr109
.LBB51_210:
	ds_read_b64 v[108:109], v1
.LBB51_211:
	s_and_saveexec_b64 s[8:9], s[0:1]
	s_cbranch_execz .LBB51_215
; %bb.212:
	v_subrev_u32_e32 v110, 30, v0
	s_movk_i32 s25, 0x290
	s_mov_b64 s[0:1], 0
.LBB51_213:                             ; =>This Inner Loop Header: Depth=1
	scratch_load_dwordx2 v[112:113], off, s24
	v_mov_b32_e32 v111, s25
	ds_read_b64 v[114:115], v111
	v_add_u32_e32 v110, -1, v110
	s_add_i32 s25, s25, 8
	s_add_i32 s24, s24, 8
	v_cmp_eq_u32_e32 vcc, 0, v110
	s_or_b64 s[0:1], vcc, s[0:1]
	s_waitcnt vmcnt(0) lgkmcnt(0)
	v_fmac_f64_e32 v[108:109], v[112:113], v[114:115]
	s_andn2_b64 exec, exec, s[0:1]
	s_cbranch_execnz .LBB51_213
; %bb.214:
	s_or_b64 exec, exec, s[0:1]
.LBB51_215:
	s_or_b64 exec, exec, s[8:9]
	v_mov_b32_e32 v110, 0
	ds_read_b64 v[110:111], v110 offset:232
	s_waitcnt lgkmcnt(0)
	v_mul_f64 v[108:109], v[108:109], v[110:111]
	scratch_store_dwordx2 off, v[108:109], off offset:232
.LBB51_216:
	s_or_b64 exec, exec, s[4:5]
	scratch_load_dwordx2 v[108:109], off, off offset:224
	v_cmp_lt_u32_e64 s[0:1], 28, v0
	s_waitcnt vmcnt(0)
	ds_write_b64 v1, v[108:109]
	s_waitcnt lgkmcnt(0)
	; wave barrier
	s_and_saveexec_b64 s[4:5], s[0:1]
	s_cbranch_execz .LBB51_226
; %bb.217:
	s_andn2_b64 vcc, exec, s[6:7]
	s_cbranch_vccnz .LBB51_219
; %bb.218:
	scratch_load_dwordx2 v[108:109], v17, off
	ds_read_b64 v[110:111], v1
	s_waitcnt vmcnt(0) lgkmcnt(0)
	v_mul_f64 v[108:109], v[108:109], v[110:111]
	s_cbranch_execz .LBB51_220
	s_branch .LBB51_221
.LBB51_219:
                                        ; implicit-def: $vgpr108_vgpr109
.LBB51_220:
	ds_read_b64 v[108:109], v1
.LBB51_221:
	s_and_saveexec_b64 s[8:9], s[2:3]
	s_cbranch_execz .LBB51_225
; %bb.222:
	s_movk_i32 s24, 0xe8
	v_subrev_u32_e32 v110, 29, v0
	s_movk_i32 s25, 0x288
	s_mov_b64 s[2:3], 0
.LBB51_223:                             ; =>This Inner Loop Header: Depth=1
	scratch_load_dwordx2 v[112:113], off, s24
	v_mov_b32_e32 v111, s25
	ds_read_b64 v[114:115], v111
	v_add_u32_e32 v110, -1, v110
	s_add_i32 s25, s25, 8
	s_add_i32 s24, s24, 8
	v_cmp_eq_u32_e32 vcc, 0, v110
	s_or_b64 s[2:3], vcc, s[2:3]
	s_waitcnt vmcnt(0) lgkmcnt(0)
	v_fmac_f64_e32 v[108:109], v[112:113], v[114:115]
	s_andn2_b64 exec, exec, s[2:3]
	s_cbranch_execnz .LBB51_223
; %bb.224:
	s_or_b64 exec, exec, s[2:3]
.LBB51_225:
	s_or_b64 exec, exec, s[8:9]
	v_mov_b32_e32 v110, 0
	ds_read_b64 v[110:111], v110 offset:224
	s_waitcnt lgkmcnt(0)
	v_mul_f64 v[108:109], v[108:109], v[110:111]
	scratch_store_dwordx2 off, v[108:109], off offset:224
.LBB51_226:
	s_or_b64 exec, exec, s[4:5]
	scratch_load_dwordx2 v[108:109], off, off offset:216
	v_cmp_lt_u32_e64 s[2:3], 27, v0
	s_waitcnt vmcnt(0)
	ds_write_b64 v1, v[108:109]
	s_waitcnt lgkmcnt(0)
	; wave barrier
	s_and_saveexec_b64 s[4:5], s[2:3]
	s_cbranch_execz .LBB51_236
; %bb.227:
	s_andn2_b64 vcc, exec, s[6:7]
	s_cbranch_vccnz .LBB51_229
; %bb.228:
	scratch_load_dwordx2 v[108:109], v17, off
	ds_read_b64 v[110:111], v1
	s_waitcnt vmcnt(0) lgkmcnt(0)
	v_mul_f64 v[108:109], v[108:109], v[110:111]
	s_cbranch_execz .LBB51_230
	s_branch .LBB51_231
.LBB51_229:
                                        ; implicit-def: $vgpr108_vgpr109
.LBB51_230:
	ds_read_b64 v[108:109], v1
.LBB51_231:
	s_and_saveexec_b64 s[8:9], s[0:1]
	s_cbranch_execz .LBB51_235
; %bb.232:
	v_subrev_u32_e32 v110, 28, v0
	s_movk_i32 s24, 0x280
	s_mov_b64 s[0:1], 0
.LBB51_233:                             ; =>This Inner Loop Header: Depth=1
	scratch_load_dwordx2 v[112:113], off, s23
	v_mov_b32_e32 v111, s24
	ds_read_b64 v[114:115], v111
	v_add_u32_e32 v110, -1, v110
	s_add_i32 s24, s24, 8
	s_add_i32 s23, s23, 8
	v_cmp_eq_u32_e32 vcc, 0, v110
	s_or_b64 s[0:1], vcc, s[0:1]
	s_waitcnt vmcnt(0) lgkmcnt(0)
	v_fmac_f64_e32 v[108:109], v[112:113], v[114:115]
	s_andn2_b64 exec, exec, s[0:1]
	s_cbranch_execnz .LBB51_233
; %bb.234:
	s_or_b64 exec, exec, s[0:1]
.LBB51_235:
	s_or_b64 exec, exec, s[8:9]
	v_mov_b32_e32 v110, 0
	ds_read_b64 v[110:111], v110 offset:216
	s_waitcnt lgkmcnt(0)
	v_mul_f64 v[108:109], v[108:109], v[110:111]
	scratch_store_dwordx2 off, v[108:109], off offset:216
.LBB51_236:
	s_or_b64 exec, exec, s[4:5]
	scratch_load_dwordx2 v[108:109], off, off offset:208
	v_cmp_lt_u32_e64 s[0:1], 26, v0
	s_waitcnt vmcnt(0)
	ds_write_b64 v1, v[108:109]
	s_waitcnt lgkmcnt(0)
	; wave barrier
	s_and_saveexec_b64 s[4:5], s[0:1]
	s_cbranch_execz .LBB51_246
; %bb.237:
	s_andn2_b64 vcc, exec, s[6:7]
	s_cbranch_vccnz .LBB51_239
; %bb.238:
	scratch_load_dwordx2 v[108:109], v17, off
	ds_read_b64 v[110:111], v1
	s_waitcnt vmcnt(0) lgkmcnt(0)
	v_mul_f64 v[108:109], v[108:109], v[110:111]
	s_cbranch_execz .LBB51_240
	s_branch .LBB51_241
.LBB51_239:
                                        ; implicit-def: $vgpr108_vgpr109
.LBB51_240:
	ds_read_b64 v[108:109], v1
.LBB51_241:
	s_and_saveexec_b64 s[8:9], s[2:3]
	s_cbranch_execz .LBB51_245
; %bb.242:
	s_movk_i32 s23, 0xd8
	v_subrev_u32_e32 v110, 27, v0
	s_movk_i32 s24, 0x278
	s_mov_b64 s[2:3], 0
.LBB51_243:                             ; =>This Inner Loop Header: Depth=1
	scratch_load_dwordx2 v[112:113], off, s23
	v_mov_b32_e32 v111, s24
	ds_read_b64 v[114:115], v111
	v_add_u32_e32 v110, -1, v110
	s_add_i32 s24, s24, 8
	s_add_i32 s23, s23, 8
	v_cmp_eq_u32_e32 vcc, 0, v110
	s_or_b64 s[2:3], vcc, s[2:3]
	s_waitcnt vmcnt(0) lgkmcnt(0)
	v_fmac_f64_e32 v[108:109], v[112:113], v[114:115]
	s_andn2_b64 exec, exec, s[2:3]
	s_cbranch_execnz .LBB51_243
; %bb.244:
	s_or_b64 exec, exec, s[2:3]
.LBB51_245:
	s_or_b64 exec, exec, s[8:9]
	v_mov_b32_e32 v110, 0
	ds_read_b64 v[110:111], v110 offset:208
	s_waitcnt lgkmcnt(0)
	v_mul_f64 v[108:109], v[108:109], v[110:111]
	scratch_store_dwordx2 off, v[108:109], off offset:208
.LBB51_246:
	s_or_b64 exec, exec, s[4:5]
	scratch_load_dwordx2 v[108:109], off, off offset:200
	v_cmp_lt_u32_e64 s[2:3], 25, v0
	s_waitcnt vmcnt(0)
	ds_write_b64 v1, v[108:109]
	s_waitcnt lgkmcnt(0)
	; wave barrier
	s_and_saveexec_b64 s[4:5], s[2:3]
	s_cbranch_execz .LBB51_256
; %bb.247:
	s_andn2_b64 vcc, exec, s[6:7]
	s_cbranch_vccnz .LBB51_249
; %bb.248:
	scratch_load_dwordx2 v[108:109], v17, off
	ds_read_b64 v[110:111], v1
	s_waitcnt vmcnt(0) lgkmcnt(0)
	v_mul_f64 v[108:109], v[108:109], v[110:111]
	s_cbranch_execz .LBB51_250
	s_branch .LBB51_251
.LBB51_249:
                                        ; implicit-def: $vgpr108_vgpr109
.LBB51_250:
	ds_read_b64 v[108:109], v1
.LBB51_251:
	s_and_saveexec_b64 s[8:9], s[0:1]
	s_cbranch_execz .LBB51_255
; %bb.252:
	v_subrev_u32_e32 v110, 26, v0
	s_movk_i32 s23, 0x270
	s_mov_b64 s[0:1], 0
.LBB51_253:                             ; =>This Inner Loop Header: Depth=1
	scratch_load_dwordx2 v[112:113], off, s22
	v_mov_b32_e32 v111, s23
	ds_read_b64 v[114:115], v111
	v_add_u32_e32 v110, -1, v110
	s_add_i32 s23, s23, 8
	s_add_i32 s22, s22, 8
	v_cmp_eq_u32_e32 vcc, 0, v110
	s_or_b64 s[0:1], vcc, s[0:1]
	s_waitcnt vmcnt(0) lgkmcnt(0)
	v_fmac_f64_e32 v[108:109], v[112:113], v[114:115]
	s_andn2_b64 exec, exec, s[0:1]
	s_cbranch_execnz .LBB51_253
; %bb.254:
	s_or_b64 exec, exec, s[0:1]
.LBB51_255:
	s_or_b64 exec, exec, s[8:9]
	v_mov_b32_e32 v110, 0
	ds_read_b64 v[110:111], v110 offset:200
	s_waitcnt lgkmcnt(0)
	v_mul_f64 v[108:109], v[108:109], v[110:111]
	scratch_store_dwordx2 off, v[108:109], off offset:200
.LBB51_256:
	s_or_b64 exec, exec, s[4:5]
	scratch_load_dwordx2 v[108:109], off, off offset:192
	v_cmp_lt_u32_e64 s[0:1], 24, v0
	s_waitcnt vmcnt(0)
	ds_write_b64 v1, v[108:109]
	s_waitcnt lgkmcnt(0)
	; wave barrier
	s_and_saveexec_b64 s[4:5], s[0:1]
	s_cbranch_execz .LBB51_266
; %bb.257:
	s_andn2_b64 vcc, exec, s[6:7]
	s_cbranch_vccnz .LBB51_259
; %bb.258:
	scratch_load_dwordx2 v[108:109], v17, off
	ds_read_b64 v[110:111], v1
	s_waitcnt vmcnt(0) lgkmcnt(0)
	v_mul_f64 v[108:109], v[108:109], v[110:111]
	s_cbranch_execz .LBB51_260
	s_branch .LBB51_261
.LBB51_259:
                                        ; implicit-def: $vgpr108_vgpr109
.LBB51_260:
	ds_read_b64 v[108:109], v1
.LBB51_261:
	s_and_saveexec_b64 s[8:9], s[2:3]
	s_cbranch_execz .LBB51_265
; %bb.262:
	s_movk_i32 s22, 0xc8
	v_subrev_u32_e32 v110, 25, v0
	s_movk_i32 s23, 0x268
	s_mov_b64 s[2:3], 0
.LBB51_263:                             ; =>This Inner Loop Header: Depth=1
	scratch_load_dwordx2 v[112:113], off, s22
	v_mov_b32_e32 v111, s23
	ds_read_b64 v[114:115], v111
	v_add_u32_e32 v110, -1, v110
	s_add_i32 s23, s23, 8
	s_add_i32 s22, s22, 8
	v_cmp_eq_u32_e32 vcc, 0, v110
	s_or_b64 s[2:3], vcc, s[2:3]
	s_waitcnt vmcnt(0) lgkmcnt(0)
	v_fmac_f64_e32 v[108:109], v[112:113], v[114:115]
	s_andn2_b64 exec, exec, s[2:3]
	s_cbranch_execnz .LBB51_263
; %bb.264:
	s_or_b64 exec, exec, s[2:3]
.LBB51_265:
	s_or_b64 exec, exec, s[8:9]
	v_mov_b32_e32 v110, 0
	ds_read_b64 v[110:111], v110 offset:192
	s_waitcnt lgkmcnt(0)
	v_mul_f64 v[108:109], v[108:109], v[110:111]
	scratch_store_dwordx2 off, v[108:109], off offset:192
.LBB51_266:
	s_or_b64 exec, exec, s[4:5]
	scratch_load_dwordx2 v[108:109], off, off offset:184
	v_cmp_lt_u32_e64 s[2:3], 23, v0
	s_waitcnt vmcnt(0)
	ds_write_b64 v1, v[108:109]
	s_waitcnt lgkmcnt(0)
	; wave barrier
	s_and_saveexec_b64 s[4:5], s[2:3]
	s_cbranch_execz .LBB51_276
; %bb.267:
	s_andn2_b64 vcc, exec, s[6:7]
	s_cbranch_vccnz .LBB51_269
; %bb.268:
	scratch_load_dwordx2 v[108:109], v17, off
	ds_read_b64 v[110:111], v1
	s_waitcnt vmcnt(0) lgkmcnt(0)
	v_mul_f64 v[108:109], v[108:109], v[110:111]
	s_cbranch_execz .LBB51_270
	s_branch .LBB51_271
.LBB51_269:
                                        ; implicit-def: $vgpr108_vgpr109
.LBB51_270:
	ds_read_b64 v[108:109], v1
.LBB51_271:
	s_and_saveexec_b64 s[8:9], s[0:1]
	s_cbranch_execz .LBB51_275
; %bb.272:
	v_subrev_u32_e32 v110, 24, v0
	s_movk_i32 s22, 0x260
	s_mov_b64 s[0:1], 0
.LBB51_273:                             ; =>This Inner Loop Header: Depth=1
	scratch_load_dwordx2 v[112:113], off, s21
	v_mov_b32_e32 v111, s22
	ds_read_b64 v[114:115], v111
	v_add_u32_e32 v110, -1, v110
	s_add_i32 s22, s22, 8
	s_add_i32 s21, s21, 8
	v_cmp_eq_u32_e32 vcc, 0, v110
	s_or_b64 s[0:1], vcc, s[0:1]
	s_waitcnt vmcnt(0) lgkmcnt(0)
	v_fmac_f64_e32 v[108:109], v[112:113], v[114:115]
	s_andn2_b64 exec, exec, s[0:1]
	s_cbranch_execnz .LBB51_273
; %bb.274:
	s_or_b64 exec, exec, s[0:1]
.LBB51_275:
	s_or_b64 exec, exec, s[8:9]
	v_mov_b32_e32 v110, 0
	ds_read_b64 v[110:111], v110 offset:184
	s_waitcnt lgkmcnt(0)
	v_mul_f64 v[108:109], v[108:109], v[110:111]
	scratch_store_dwordx2 off, v[108:109], off offset:184
.LBB51_276:
	s_or_b64 exec, exec, s[4:5]
	scratch_load_dwordx2 v[108:109], off, off offset:176
	v_cmp_lt_u32_e64 s[0:1], 22, v0
	s_waitcnt vmcnt(0)
	ds_write_b64 v1, v[108:109]
	s_waitcnt lgkmcnt(0)
	; wave barrier
	s_and_saveexec_b64 s[4:5], s[0:1]
	s_cbranch_execz .LBB51_286
; %bb.277:
	s_andn2_b64 vcc, exec, s[6:7]
	s_cbranch_vccnz .LBB51_279
; %bb.278:
	scratch_load_dwordx2 v[108:109], v17, off
	ds_read_b64 v[110:111], v1
	s_waitcnt vmcnt(0) lgkmcnt(0)
	v_mul_f64 v[108:109], v[108:109], v[110:111]
	s_cbranch_execz .LBB51_280
	s_branch .LBB51_281
.LBB51_279:
                                        ; implicit-def: $vgpr108_vgpr109
.LBB51_280:
	ds_read_b64 v[108:109], v1
.LBB51_281:
	s_and_saveexec_b64 s[8:9], s[2:3]
	s_cbranch_execz .LBB51_285
; %bb.282:
	s_movk_i32 s21, 0xb8
	v_subrev_u32_e32 v110, 23, v0
	s_movk_i32 s22, 0x258
	s_mov_b64 s[2:3], 0
.LBB51_283:                             ; =>This Inner Loop Header: Depth=1
	scratch_load_dwordx2 v[112:113], off, s21
	v_mov_b32_e32 v111, s22
	ds_read_b64 v[114:115], v111
	v_add_u32_e32 v110, -1, v110
	s_add_i32 s22, s22, 8
	s_add_i32 s21, s21, 8
	v_cmp_eq_u32_e32 vcc, 0, v110
	s_or_b64 s[2:3], vcc, s[2:3]
	s_waitcnt vmcnt(0) lgkmcnt(0)
	v_fmac_f64_e32 v[108:109], v[112:113], v[114:115]
	s_andn2_b64 exec, exec, s[2:3]
	s_cbranch_execnz .LBB51_283
; %bb.284:
	s_or_b64 exec, exec, s[2:3]
.LBB51_285:
	s_or_b64 exec, exec, s[8:9]
	v_mov_b32_e32 v110, 0
	ds_read_b64 v[110:111], v110 offset:176
	s_waitcnt lgkmcnt(0)
	v_mul_f64 v[108:109], v[108:109], v[110:111]
	scratch_store_dwordx2 off, v[108:109], off offset:176
.LBB51_286:
	s_or_b64 exec, exec, s[4:5]
	scratch_load_dwordx2 v[108:109], off, off offset:168
	v_cmp_lt_u32_e64 s[2:3], 21, v0
	s_waitcnt vmcnt(0)
	ds_write_b64 v1, v[108:109]
	s_waitcnt lgkmcnt(0)
	; wave barrier
	s_and_saveexec_b64 s[4:5], s[2:3]
	s_cbranch_execz .LBB51_296
; %bb.287:
	s_andn2_b64 vcc, exec, s[6:7]
	s_cbranch_vccnz .LBB51_289
; %bb.288:
	scratch_load_dwordx2 v[108:109], v17, off
	ds_read_b64 v[110:111], v1
	s_waitcnt vmcnt(0) lgkmcnt(0)
	v_mul_f64 v[108:109], v[108:109], v[110:111]
	s_cbranch_execz .LBB51_290
	s_branch .LBB51_291
.LBB51_289:
                                        ; implicit-def: $vgpr108_vgpr109
.LBB51_290:
	ds_read_b64 v[108:109], v1
.LBB51_291:
	s_and_saveexec_b64 s[8:9], s[0:1]
	s_cbranch_execz .LBB51_295
; %bb.292:
	v_subrev_u32_e32 v110, 22, v0
	s_movk_i32 s21, 0x250
	s_mov_b64 s[0:1], 0
.LBB51_293:                             ; =>This Inner Loop Header: Depth=1
	scratch_load_dwordx2 v[112:113], off, s20
	v_mov_b32_e32 v111, s21
	ds_read_b64 v[114:115], v111
	v_add_u32_e32 v110, -1, v110
	s_add_i32 s21, s21, 8
	s_add_i32 s20, s20, 8
	v_cmp_eq_u32_e32 vcc, 0, v110
	s_or_b64 s[0:1], vcc, s[0:1]
	s_waitcnt vmcnt(0) lgkmcnt(0)
	v_fmac_f64_e32 v[108:109], v[112:113], v[114:115]
	s_andn2_b64 exec, exec, s[0:1]
	s_cbranch_execnz .LBB51_293
; %bb.294:
	s_or_b64 exec, exec, s[0:1]
.LBB51_295:
	s_or_b64 exec, exec, s[8:9]
	v_mov_b32_e32 v110, 0
	ds_read_b64 v[110:111], v110 offset:168
	s_waitcnt lgkmcnt(0)
	v_mul_f64 v[108:109], v[108:109], v[110:111]
	scratch_store_dwordx2 off, v[108:109], off offset:168
.LBB51_296:
	s_or_b64 exec, exec, s[4:5]
	scratch_load_dwordx2 v[108:109], off, off offset:160
	v_cmp_lt_u32_e64 s[0:1], 20, v0
	s_waitcnt vmcnt(0)
	ds_write_b64 v1, v[108:109]
	s_waitcnt lgkmcnt(0)
	; wave barrier
	s_and_saveexec_b64 s[4:5], s[0:1]
	s_cbranch_execz .LBB51_306
; %bb.297:
	s_andn2_b64 vcc, exec, s[6:7]
	s_cbranch_vccnz .LBB51_299
; %bb.298:
	scratch_load_dwordx2 v[108:109], v17, off
	ds_read_b64 v[110:111], v1
	s_waitcnt vmcnt(0) lgkmcnt(0)
	v_mul_f64 v[108:109], v[108:109], v[110:111]
	s_cbranch_execz .LBB51_300
	s_branch .LBB51_301
.LBB51_299:
                                        ; implicit-def: $vgpr108_vgpr109
.LBB51_300:
	ds_read_b64 v[108:109], v1
.LBB51_301:
	s_and_saveexec_b64 s[8:9], s[2:3]
	s_cbranch_execz .LBB51_305
; %bb.302:
	s_movk_i32 s20, 0xa8
	v_subrev_u32_e32 v110, 21, v0
	s_movk_i32 s21, 0x248
	s_mov_b64 s[2:3], 0
.LBB51_303:                             ; =>This Inner Loop Header: Depth=1
	scratch_load_dwordx2 v[112:113], off, s20
	v_mov_b32_e32 v111, s21
	ds_read_b64 v[114:115], v111
	v_add_u32_e32 v110, -1, v110
	s_add_i32 s21, s21, 8
	s_add_i32 s20, s20, 8
	v_cmp_eq_u32_e32 vcc, 0, v110
	s_or_b64 s[2:3], vcc, s[2:3]
	s_waitcnt vmcnt(0) lgkmcnt(0)
	v_fmac_f64_e32 v[108:109], v[112:113], v[114:115]
	s_andn2_b64 exec, exec, s[2:3]
	s_cbranch_execnz .LBB51_303
; %bb.304:
	s_or_b64 exec, exec, s[2:3]
.LBB51_305:
	s_or_b64 exec, exec, s[8:9]
	v_mov_b32_e32 v110, 0
	ds_read_b64 v[110:111], v110 offset:160
	s_waitcnt lgkmcnt(0)
	v_mul_f64 v[108:109], v[108:109], v[110:111]
	scratch_store_dwordx2 off, v[108:109], off offset:160
.LBB51_306:
	s_or_b64 exec, exec, s[4:5]
	scratch_load_dwordx2 v[108:109], off, off offset:152
	v_cmp_lt_u32_e64 s[2:3], 19, v0
	s_waitcnt vmcnt(0)
	ds_write_b64 v1, v[108:109]
	s_waitcnt lgkmcnt(0)
	; wave barrier
	s_and_saveexec_b64 s[4:5], s[2:3]
	s_cbranch_execz .LBB51_316
; %bb.307:
	s_andn2_b64 vcc, exec, s[6:7]
	s_cbranch_vccnz .LBB51_309
; %bb.308:
	scratch_load_dwordx2 v[108:109], v17, off
	ds_read_b64 v[110:111], v1
	s_waitcnt vmcnt(0) lgkmcnt(0)
	v_mul_f64 v[108:109], v[108:109], v[110:111]
	s_cbranch_execz .LBB51_310
	s_branch .LBB51_311
.LBB51_309:
                                        ; implicit-def: $vgpr108_vgpr109
.LBB51_310:
	ds_read_b64 v[108:109], v1
.LBB51_311:
	s_and_saveexec_b64 s[8:9], s[0:1]
	s_cbranch_execz .LBB51_315
; %bb.312:
	v_subrev_u32_e32 v110, 20, v0
	s_movk_i32 s20, 0x240
	s_mov_b64 s[0:1], 0
.LBB51_313:                             ; =>This Inner Loop Header: Depth=1
	scratch_load_dwordx2 v[112:113], off, s19
	v_mov_b32_e32 v111, s20
	ds_read_b64 v[114:115], v111
	v_add_u32_e32 v110, -1, v110
	s_add_i32 s20, s20, 8
	s_add_i32 s19, s19, 8
	v_cmp_eq_u32_e32 vcc, 0, v110
	s_or_b64 s[0:1], vcc, s[0:1]
	s_waitcnt vmcnt(0) lgkmcnt(0)
	v_fmac_f64_e32 v[108:109], v[112:113], v[114:115]
	s_andn2_b64 exec, exec, s[0:1]
	s_cbranch_execnz .LBB51_313
; %bb.314:
	s_or_b64 exec, exec, s[0:1]
.LBB51_315:
	s_or_b64 exec, exec, s[8:9]
	v_mov_b32_e32 v110, 0
	ds_read_b64 v[110:111], v110 offset:152
	s_waitcnt lgkmcnt(0)
	v_mul_f64 v[108:109], v[108:109], v[110:111]
	scratch_store_dwordx2 off, v[108:109], off offset:152
.LBB51_316:
	s_or_b64 exec, exec, s[4:5]
	scratch_load_dwordx2 v[108:109], off, off offset:144
	v_cmp_lt_u32_e64 s[0:1], 18, v0
	s_waitcnt vmcnt(0)
	ds_write_b64 v1, v[108:109]
	s_waitcnt lgkmcnt(0)
	; wave barrier
	s_and_saveexec_b64 s[4:5], s[0:1]
	s_cbranch_execz .LBB51_326
; %bb.317:
	s_andn2_b64 vcc, exec, s[6:7]
	s_cbranch_vccnz .LBB51_319
; %bb.318:
	scratch_load_dwordx2 v[108:109], v17, off
	ds_read_b64 v[110:111], v1
	s_waitcnt vmcnt(0) lgkmcnt(0)
	v_mul_f64 v[108:109], v[108:109], v[110:111]
	s_cbranch_execz .LBB51_320
	s_branch .LBB51_321
.LBB51_319:
                                        ; implicit-def: $vgpr108_vgpr109
.LBB51_320:
	ds_read_b64 v[108:109], v1
.LBB51_321:
	s_and_saveexec_b64 s[8:9], s[2:3]
	s_cbranch_execz .LBB51_325
; %bb.322:
	s_movk_i32 s19, 0x98
	v_subrev_u32_e32 v110, 19, v0
	s_movk_i32 s20, 0x238
	s_mov_b64 s[2:3], 0
.LBB51_323:                             ; =>This Inner Loop Header: Depth=1
	scratch_load_dwordx2 v[112:113], off, s19
	v_mov_b32_e32 v111, s20
	ds_read_b64 v[114:115], v111
	v_add_u32_e32 v110, -1, v110
	s_add_i32 s20, s20, 8
	s_add_i32 s19, s19, 8
	v_cmp_eq_u32_e32 vcc, 0, v110
	s_or_b64 s[2:3], vcc, s[2:3]
	s_waitcnt vmcnt(0) lgkmcnt(0)
	v_fmac_f64_e32 v[108:109], v[112:113], v[114:115]
	s_andn2_b64 exec, exec, s[2:3]
	s_cbranch_execnz .LBB51_323
; %bb.324:
	s_or_b64 exec, exec, s[2:3]
.LBB51_325:
	s_or_b64 exec, exec, s[8:9]
	v_mov_b32_e32 v110, 0
	ds_read_b64 v[110:111], v110 offset:144
	s_waitcnt lgkmcnt(0)
	v_mul_f64 v[108:109], v[108:109], v[110:111]
	scratch_store_dwordx2 off, v[108:109], off offset:144
.LBB51_326:
	s_or_b64 exec, exec, s[4:5]
	scratch_load_dwordx2 v[108:109], off, off offset:136
	v_cmp_lt_u32_e64 s[2:3], 17, v0
	s_waitcnt vmcnt(0)
	ds_write_b64 v1, v[108:109]
	s_waitcnt lgkmcnt(0)
	; wave barrier
	s_and_saveexec_b64 s[4:5], s[2:3]
	s_cbranch_execz .LBB51_336
; %bb.327:
	s_andn2_b64 vcc, exec, s[6:7]
	s_cbranch_vccnz .LBB51_329
; %bb.328:
	scratch_load_dwordx2 v[108:109], v17, off
	ds_read_b64 v[110:111], v1
	s_waitcnt vmcnt(0) lgkmcnt(0)
	v_mul_f64 v[108:109], v[108:109], v[110:111]
	s_cbranch_execz .LBB51_330
	s_branch .LBB51_331
.LBB51_329:
                                        ; implicit-def: $vgpr108_vgpr109
.LBB51_330:
	ds_read_b64 v[108:109], v1
.LBB51_331:
	s_and_saveexec_b64 s[8:9], s[0:1]
	s_cbranch_execz .LBB51_335
; %bb.332:
	v_subrev_u32_e32 v110, 18, v0
	s_movk_i32 s19, 0x230
	s_mov_b64 s[0:1], 0
.LBB51_333:                             ; =>This Inner Loop Header: Depth=1
	scratch_load_dwordx2 v[112:113], off, s18
	v_mov_b32_e32 v111, s19
	ds_read_b64 v[114:115], v111
	v_add_u32_e32 v110, -1, v110
	s_add_i32 s19, s19, 8
	s_add_i32 s18, s18, 8
	v_cmp_eq_u32_e32 vcc, 0, v110
	s_or_b64 s[0:1], vcc, s[0:1]
	s_waitcnt vmcnt(0) lgkmcnt(0)
	v_fmac_f64_e32 v[108:109], v[112:113], v[114:115]
	s_andn2_b64 exec, exec, s[0:1]
	s_cbranch_execnz .LBB51_333
; %bb.334:
	s_or_b64 exec, exec, s[0:1]
.LBB51_335:
	s_or_b64 exec, exec, s[8:9]
	v_mov_b32_e32 v110, 0
	ds_read_b64 v[110:111], v110 offset:136
	s_waitcnt lgkmcnt(0)
	v_mul_f64 v[108:109], v[108:109], v[110:111]
	scratch_store_dwordx2 off, v[108:109], off offset:136
.LBB51_336:
	s_or_b64 exec, exec, s[4:5]
	scratch_load_dwordx2 v[108:109], off, off offset:128
	v_cmp_lt_u32_e64 s[0:1], 16, v0
	s_waitcnt vmcnt(0)
	ds_write_b64 v1, v[108:109]
	s_waitcnt lgkmcnt(0)
	; wave barrier
	s_and_saveexec_b64 s[4:5], s[0:1]
	s_cbranch_execz .LBB51_346
; %bb.337:
	s_andn2_b64 vcc, exec, s[6:7]
	s_cbranch_vccnz .LBB51_339
; %bb.338:
	scratch_load_dwordx2 v[108:109], v17, off
	ds_read_b64 v[110:111], v1
	s_waitcnt vmcnt(0) lgkmcnt(0)
	v_mul_f64 v[108:109], v[108:109], v[110:111]
	s_cbranch_execz .LBB51_340
	s_branch .LBB51_341
.LBB51_339:
                                        ; implicit-def: $vgpr108_vgpr109
.LBB51_340:
	ds_read_b64 v[108:109], v1
.LBB51_341:
	s_and_saveexec_b64 s[8:9], s[2:3]
	s_cbranch_execz .LBB51_345
; %bb.342:
	s_movk_i32 s18, 0x88
	v_subrev_u32_e32 v110, 17, v0
	s_movk_i32 s19, 0x228
	s_mov_b64 s[2:3], 0
.LBB51_343:                             ; =>This Inner Loop Header: Depth=1
	scratch_load_dwordx2 v[112:113], off, s18
	v_mov_b32_e32 v111, s19
	ds_read_b64 v[114:115], v111
	v_add_u32_e32 v110, -1, v110
	s_add_i32 s19, s19, 8
	s_add_i32 s18, s18, 8
	v_cmp_eq_u32_e32 vcc, 0, v110
	s_or_b64 s[2:3], vcc, s[2:3]
	s_waitcnt vmcnt(0) lgkmcnt(0)
	v_fmac_f64_e32 v[108:109], v[112:113], v[114:115]
	s_andn2_b64 exec, exec, s[2:3]
	s_cbranch_execnz .LBB51_343
; %bb.344:
	s_or_b64 exec, exec, s[2:3]
.LBB51_345:
	s_or_b64 exec, exec, s[8:9]
	v_mov_b32_e32 v110, 0
	ds_read_b64 v[110:111], v110 offset:128
	s_waitcnt lgkmcnt(0)
	v_mul_f64 v[108:109], v[108:109], v[110:111]
	scratch_store_dwordx2 off, v[108:109], off offset:128
.LBB51_346:
	s_or_b64 exec, exec, s[4:5]
	scratch_load_dwordx2 v[108:109], off, off offset:120
	v_cmp_lt_u32_e64 s[2:3], 15, v0
	s_waitcnt vmcnt(0)
	ds_write_b64 v1, v[108:109]
	s_waitcnt lgkmcnt(0)
	; wave barrier
	s_and_saveexec_b64 s[4:5], s[2:3]
	s_cbranch_execz .LBB51_356
; %bb.347:
	s_andn2_b64 vcc, exec, s[6:7]
	s_cbranch_vccnz .LBB51_349
; %bb.348:
	scratch_load_dwordx2 v[108:109], v17, off
	ds_read_b64 v[110:111], v1
	s_waitcnt vmcnt(0) lgkmcnt(0)
	v_mul_f64 v[108:109], v[108:109], v[110:111]
	s_cbranch_execz .LBB51_350
	s_branch .LBB51_351
.LBB51_349:
                                        ; implicit-def: $vgpr108_vgpr109
.LBB51_350:
	ds_read_b64 v[108:109], v1
.LBB51_351:
	s_and_saveexec_b64 s[8:9], s[0:1]
	s_cbranch_execz .LBB51_355
; %bb.352:
	v_add_u32_e32 v110, -16, v0
	s_movk_i32 s18, 0x220
	s_mov_b64 s[0:1], 0
.LBB51_353:                             ; =>This Inner Loop Header: Depth=1
	scratch_load_dwordx2 v[112:113], off, s17
	v_mov_b32_e32 v111, s18
	ds_read_b64 v[114:115], v111
	v_add_u32_e32 v110, -1, v110
	s_add_i32 s18, s18, 8
	s_add_i32 s17, s17, 8
	v_cmp_eq_u32_e32 vcc, 0, v110
	s_or_b64 s[0:1], vcc, s[0:1]
	s_waitcnt vmcnt(0) lgkmcnt(0)
	v_fmac_f64_e32 v[108:109], v[112:113], v[114:115]
	s_andn2_b64 exec, exec, s[0:1]
	s_cbranch_execnz .LBB51_353
; %bb.354:
	s_or_b64 exec, exec, s[0:1]
.LBB51_355:
	s_or_b64 exec, exec, s[8:9]
	v_mov_b32_e32 v110, 0
	ds_read_b64 v[110:111], v110 offset:120
	s_waitcnt lgkmcnt(0)
	v_mul_f64 v[108:109], v[108:109], v[110:111]
	scratch_store_dwordx2 off, v[108:109], off offset:120
.LBB51_356:
	s_or_b64 exec, exec, s[4:5]
	scratch_load_dwordx2 v[108:109], off, off offset:112
	v_cmp_lt_u32_e64 s[0:1], 14, v0
	s_waitcnt vmcnt(0)
	ds_write_b64 v1, v[108:109]
	s_waitcnt lgkmcnt(0)
	; wave barrier
	s_and_saveexec_b64 s[4:5], s[0:1]
	s_cbranch_execz .LBB51_366
; %bb.357:
	s_andn2_b64 vcc, exec, s[6:7]
	s_cbranch_vccnz .LBB51_359
; %bb.358:
	scratch_load_dwordx2 v[108:109], v17, off
	ds_read_b64 v[110:111], v1
	s_waitcnt vmcnt(0) lgkmcnt(0)
	v_mul_f64 v[108:109], v[108:109], v[110:111]
	s_cbranch_execz .LBB51_360
	s_branch .LBB51_361
.LBB51_359:
                                        ; implicit-def: $vgpr108_vgpr109
.LBB51_360:
	ds_read_b64 v[108:109], v1
.LBB51_361:
	s_and_saveexec_b64 s[8:9], s[2:3]
	s_cbranch_execz .LBB51_365
; %bb.362:
	s_movk_i32 s17, 0x78
	v_add_u32_e32 v110, -15, v0
	s_movk_i32 s18, 0x218
	s_mov_b64 s[2:3], 0
.LBB51_363:                             ; =>This Inner Loop Header: Depth=1
	scratch_load_dwordx2 v[112:113], off, s17
	v_mov_b32_e32 v111, s18
	ds_read_b64 v[114:115], v111
	v_add_u32_e32 v110, -1, v110
	s_add_i32 s18, s18, 8
	s_add_i32 s17, s17, 8
	v_cmp_eq_u32_e32 vcc, 0, v110
	s_or_b64 s[2:3], vcc, s[2:3]
	s_waitcnt vmcnt(0) lgkmcnt(0)
	v_fmac_f64_e32 v[108:109], v[112:113], v[114:115]
	s_andn2_b64 exec, exec, s[2:3]
	s_cbranch_execnz .LBB51_363
; %bb.364:
	s_or_b64 exec, exec, s[2:3]
.LBB51_365:
	s_or_b64 exec, exec, s[8:9]
	v_mov_b32_e32 v110, 0
	ds_read_b64 v[110:111], v110 offset:112
	s_waitcnt lgkmcnt(0)
	v_mul_f64 v[108:109], v[108:109], v[110:111]
	scratch_store_dwordx2 off, v[108:109], off offset:112
.LBB51_366:
	s_or_b64 exec, exec, s[4:5]
	scratch_load_dwordx2 v[108:109], off, off offset:104
	v_cmp_lt_u32_e64 s[2:3], 13, v0
	s_waitcnt vmcnt(0)
	ds_write_b64 v1, v[108:109]
	s_waitcnt lgkmcnt(0)
	; wave barrier
	s_and_saveexec_b64 s[4:5], s[2:3]
	s_cbranch_execz .LBB51_376
; %bb.367:
	s_andn2_b64 vcc, exec, s[6:7]
	s_cbranch_vccnz .LBB51_369
; %bb.368:
	scratch_load_dwordx2 v[108:109], v17, off
	ds_read_b64 v[110:111], v1
	s_waitcnt vmcnt(0) lgkmcnt(0)
	v_mul_f64 v[108:109], v[108:109], v[110:111]
	s_cbranch_execz .LBB51_370
	s_branch .LBB51_371
.LBB51_369:
                                        ; implicit-def: $vgpr108_vgpr109
.LBB51_370:
	ds_read_b64 v[108:109], v1
.LBB51_371:
	s_and_saveexec_b64 s[8:9], s[0:1]
	s_cbranch_execz .LBB51_375
; %bb.372:
	v_add_u32_e32 v110, -14, v0
	s_movk_i32 s17, 0x210
	s_mov_b64 s[0:1], 0
.LBB51_373:                             ; =>This Inner Loop Header: Depth=1
	scratch_load_dwordx2 v[112:113], off, s16
	v_mov_b32_e32 v111, s17
	ds_read_b64 v[114:115], v111
	v_add_u32_e32 v110, -1, v110
	s_add_i32 s17, s17, 8
	s_add_i32 s16, s16, 8
	v_cmp_eq_u32_e32 vcc, 0, v110
	s_or_b64 s[0:1], vcc, s[0:1]
	s_waitcnt vmcnt(0) lgkmcnt(0)
	v_fmac_f64_e32 v[108:109], v[112:113], v[114:115]
	s_andn2_b64 exec, exec, s[0:1]
	s_cbranch_execnz .LBB51_373
; %bb.374:
	s_or_b64 exec, exec, s[0:1]
.LBB51_375:
	s_or_b64 exec, exec, s[8:9]
	v_mov_b32_e32 v110, 0
	ds_read_b64 v[110:111], v110 offset:104
	s_waitcnt lgkmcnt(0)
	v_mul_f64 v[108:109], v[108:109], v[110:111]
	scratch_store_dwordx2 off, v[108:109], off offset:104
.LBB51_376:
	s_or_b64 exec, exec, s[4:5]
	scratch_load_dwordx2 v[108:109], off, off offset:96
	v_cmp_lt_u32_e64 s[0:1], 12, v0
	s_waitcnt vmcnt(0)
	ds_write_b64 v1, v[108:109]
	s_waitcnt lgkmcnt(0)
	; wave barrier
	s_and_saveexec_b64 s[4:5], s[0:1]
	s_cbranch_execz .LBB51_386
; %bb.377:
	s_andn2_b64 vcc, exec, s[6:7]
	s_cbranch_vccnz .LBB51_379
; %bb.378:
	scratch_load_dwordx2 v[108:109], v17, off
	ds_read_b64 v[110:111], v1
	s_waitcnt vmcnt(0) lgkmcnt(0)
	v_mul_f64 v[108:109], v[108:109], v[110:111]
	s_cbranch_execz .LBB51_380
	s_branch .LBB51_381
.LBB51_379:
                                        ; implicit-def: $vgpr108_vgpr109
.LBB51_380:
	ds_read_b64 v[108:109], v1
.LBB51_381:
	s_and_saveexec_b64 s[8:9], s[2:3]
	s_cbranch_execz .LBB51_385
; %bb.382:
	s_movk_i32 s16, 0x68
	v_add_u32_e32 v110, -13, v0
	s_movk_i32 s17, 0x208
	s_mov_b64 s[2:3], 0
.LBB51_383:                             ; =>This Inner Loop Header: Depth=1
	scratch_load_dwordx2 v[112:113], off, s16
	v_mov_b32_e32 v111, s17
	ds_read_b64 v[114:115], v111
	v_add_u32_e32 v110, -1, v110
	s_add_i32 s17, s17, 8
	s_add_i32 s16, s16, 8
	v_cmp_eq_u32_e32 vcc, 0, v110
	s_or_b64 s[2:3], vcc, s[2:3]
	s_waitcnt vmcnt(0) lgkmcnt(0)
	v_fmac_f64_e32 v[108:109], v[112:113], v[114:115]
	s_andn2_b64 exec, exec, s[2:3]
	s_cbranch_execnz .LBB51_383
; %bb.384:
	s_or_b64 exec, exec, s[2:3]
.LBB51_385:
	s_or_b64 exec, exec, s[8:9]
	v_mov_b32_e32 v110, 0
	ds_read_b64 v[110:111], v110 offset:96
	s_waitcnt lgkmcnt(0)
	v_mul_f64 v[108:109], v[108:109], v[110:111]
	scratch_store_dwordx2 off, v[108:109], off offset:96
.LBB51_386:
	s_or_b64 exec, exec, s[4:5]
	scratch_load_dwordx2 v[108:109], off, off offset:88
	v_cmp_lt_u32_e64 s[2:3], 11, v0
	s_waitcnt vmcnt(0)
	ds_write_b64 v1, v[108:109]
	s_waitcnt lgkmcnt(0)
	; wave barrier
	s_and_saveexec_b64 s[4:5], s[2:3]
	s_cbranch_execz .LBB51_396
; %bb.387:
	s_andn2_b64 vcc, exec, s[6:7]
	s_cbranch_vccnz .LBB51_389
; %bb.388:
	scratch_load_dwordx2 v[108:109], v17, off
	ds_read_b64 v[110:111], v1
	s_waitcnt vmcnt(0) lgkmcnt(0)
	v_mul_f64 v[108:109], v[108:109], v[110:111]
	s_cbranch_execz .LBB51_390
	s_branch .LBB51_391
.LBB51_389:
                                        ; implicit-def: $vgpr108_vgpr109
.LBB51_390:
	ds_read_b64 v[108:109], v1
.LBB51_391:
	s_and_saveexec_b64 s[8:9], s[0:1]
	s_cbranch_execz .LBB51_395
; %bb.392:
	v_add_u32_e32 v110, -12, v0
	s_movk_i32 s16, 0x200
	s_mov_b64 s[0:1], 0
.LBB51_393:                             ; =>This Inner Loop Header: Depth=1
	scratch_load_dwordx2 v[112:113], off, s15
	v_mov_b32_e32 v111, s16
	ds_read_b64 v[114:115], v111
	v_add_u32_e32 v110, -1, v110
	s_add_i32 s16, s16, 8
	s_add_i32 s15, s15, 8
	v_cmp_eq_u32_e32 vcc, 0, v110
	s_or_b64 s[0:1], vcc, s[0:1]
	s_waitcnt vmcnt(0) lgkmcnt(0)
	v_fmac_f64_e32 v[108:109], v[112:113], v[114:115]
	s_andn2_b64 exec, exec, s[0:1]
	s_cbranch_execnz .LBB51_393
; %bb.394:
	s_or_b64 exec, exec, s[0:1]
.LBB51_395:
	s_or_b64 exec, exec, s[8:9]
	v_mov_b32_e32 v110, 0
	ds_read_b64 v[110:111], v110 offset:88
	s_waitcnt lgkmcnt(0)
	v_mul_f64 v[108:109], v[108:109], v[110:111]
	scratch_store_dwordx2 off, v[108:109], off offset:88
.LBB51_396:
	s_or_b64 exec, exec, s[4:5]
	scratch_load_dwordx2 v[108:109], off, off offset:80
	v_cmp_lt_u32_e64 s[0:1], 10, v0
	s_waitcnt vmcnt(0)
	ds_write_b64 v1, v[108:109]
	s_waitcnt lgkmcnt(0)
	; wave barrier
	s_and_saveexec_b64 s[4:5], s[0:1]
	s_cbranch_execz .LBB51_406
; %bb.397:
	s_andn2_b64 vcc, exec, s[6:7]
	s_cbranch_vccnz .LBB51_399
; %bb.398:
	scratch_load_dwordx2 v[108:109], v17, off
	ds_read_b64 v[110:111], v1
	s_waitcnt vmcnt(0) lgkmcnt(0)
	v_mul_f64 v[108:109], v[108:109], v[110:111]
	s_cbranch_execz .LBB51_400
	s_branch .LBB51_401
.LBB51_399:
                                        ; implicit-def: $vgpr108_vgpr109
.LBB51_400:
	ds_read_b64 v[108:109], v1
.LBB51_401:
	s_and_saveexec_b64 s[8:9], s[2:3]
	s_cbranch_execz .LBB51_405
; %bb.402:
	s_movk_i32 s15, 0x58
	v_add_u32_e32 v110, -11, v0
	s_movk_i32 s16, 0x1f8
	s_mov_b64 s[2:3], 0
.LBB51_403:                             ; =>This Inner Loop Header: Depth=1
	scratch_load_dwordx2 v[112:113], off, s15
	v_mov_b32_e32 v111, s16
	ds_read_b64 v[114:115], v111
	v_add_u32_e32 v110, -1, v110
	s_add_i32 s16, s16, 8
	s_add_i32 s15, s15, 8
	v_cmp_eq_u32_e32 vcc, 0, v110
	s_or_b64 s[2:3], vcc, s[2:3]
	s_waitcnt vmcnt(0) lgkmcnt(0)
	v_fmac_f64_e32 v[108:109], v[112:113], v[114:115]
	s_andn2_b64 exec, exec, s[2:3]
	s_cbranch_execnz .LBB51_403
; %bb.404:
	s_or_b64 exec, exec, s[2:3]
.LBB51_405:
	s_or_b64 exec, exec, s[8:9]
	v_mov_b32_e32 v110, 0
	ds_read_b64 v[110:111], v110 offset:80
	s_waitcnt lgkmcnt(0)
	v_mul_f64 v[108:109], v[108:109], v[110:111]
	scratch_store_dwordx2 off, v[108:109], off offset:80
.LBB51_406:
	s_or_b64 exec, exec, s[4:5]
	scratch_load_dwordx2 v[108:109], off, off offset:72
	v_cmp_lt_u32_e64 s[2:3], 9, v0
	s_waitcnt vmcnt(0)
	ds_write_b64 v1, v[108:109]
	s_waitcnt lgkmcnt(0)
	; wave barrier
	s_and_saveexec_b64 s[4:5], s[2:3]
	s_cbranch_execz .LBB51_416
; %bb.407:
	s_andn2_b64 vcc, exec, s[6:7]
	s_cbranch_vccnz .LBB51_409
; %bb.408:
	scratch_load_dwordx2 v[108:109], v17, off
	ds_read_b64 v[110:111], v1
	s_waitcnt vmcnt(0) lgkmcnt(0)
	v_mul_f64 v[108:109], v[108:109], v[110:111]
	s_cbranch_execz .LBB51_410
	s_branch .LBB51_411
.LBB51_409:
                                        ; implicit-def: $vgpr108_vgpr109
.LBB51_410:
	ds_read_b64 v[108:109], v1
.LBB51_411:
	s_and_saveexec_b64 s[8:9], s[0:1]
	s_cbranch_execz .LBB51_415
; %bb.412:
	v_add_u32_e32 v110, -10, v0
	s_movk_i32 s15, 0x1f0
	s_mov_b64 s[0:1], 0
.LBB51_413:                             ; =>This Inner Loop Header: Depth=1
	scratch_load_dwordx2 v[112:113], off, s14
	v_mov_b32_e32 v111, s15
	ds_read_b64 v[114:115], v111
	v_add_u32_e32 v110, -1, v110
	s_add_i32 s15, s15, 8
	s_add_i32 s14, s14, 8
	v_cmp_eq_u32_e32 vcc, 0, v110
	s_or_b64 s[0:1], vcc, s[0:1]
	s_waitcnt vmcnt(0) lgkmcnt(0)
	v_fmac_f64_e32 v[108:109], v[112:113], v[114:115]
	s_andn2_b64 exec, exec, s[0:1]
	s_cbranch_execnz .LBB51_413
; %bb.414:
	s_or_b64 exec, exec, s[0:1]
.LBB51_415:
	s_or_b64 exec, exec, s[8:9]
	v_mov_b32_e32 v110, 0
	ds_read_b64 v[110:111], v110 offset:72
	s_waitcnt lgkmcnt(0)
	v_mul_f64 v[108:109], v[108:109], v[110:111]
	scratch_store_dwordx2 off, v[108:109], off offset:72
.LBB51_416:
	s_or_b64 exec, exec, s[4:5]
	scratch_load_dwordx2 v[108:109], off, off offset:64
	v_cmp_lt_u32_e64 s[0:1], 8, v0
	s_waitcnt vmcnt(0)
	ds_write_b64 v1, v[108:109]
	s_waitcnt lgkmcnt(0)
	; wave barrier
	s_and_saveexec_b64 s[4:5], s[0:1]
	s_cbranch_execz .LBB51_426
; %bb.417:
	s_andn2_b64 vcc, exec, s[6:7]
	s_cbranch_vccnz .LBB51_419
; %bb.418:
	scratch_load_dwordx2 v[108:109], v17, off
	ds_read_b64 v[110:111], v1
	s_waitcnt vmcnt(0) lgkmcnt(0)
	v_mul_f64 v[108:109], v[108:109], v[110:111]
	s_cbranch_execz .LBB51_420
	s_branch .LBB51_421
.LBB51_419:
                                        ; implicit-def: $vgpr108_vgpr109
.LBB51_420:
	ds_read_b64 v[108:109], v1
.LBB51_421:
	s_and_saveexec_b64 s[8:9], s[2:3]
	s_cbranch_execz .LBB51_425
; %bb.422:
	s_movk_i32 s14, 0x48
	v_add_u32_e32 v110, -9, v0
	s_movk_i32 s15, 0x1e8
	s_mov_b64 s[2:3], 0
.LBB51_423:                             ; =>This Inner Loop Header: Depth=1
	scratch_load_dwordx2 v[112:113], off, s14
	v_mov_b32_e32 v111, s15
	ds_read_b64 v[114:115], v111
	v_add_u32_e32 v110, -1, v110
	s_add_i32 s15, s15, 8
	s_add_i32 s14, s14, 8
	v_cmp_eq_u32_e32 vcc, 0, v110
	s_or_b64 s[2:3], vcc, s[2:3]
	s_waitcnt vmcnt(0) lgkmcnt(0)
	v_fmac_f64_e32 v[108:109], v[112:113], v[114:115]
	s_andn2_b64 exec, exec, s[2:3]
	s_cbranch_execnz .LBB51_423
; %bb.424:
	s_or_b64 exec, exec, s[2:3]
.LBB51_425:
	s_or_b64 exec, exec, s[8:9]
	v_mov_b32_e32 v110, 0
	ds_read_b64 v[110:111], v110 offset:64
	s_waitcnt lgkmcnt(0)
	v_mul_f64 v[108:109], v[108:109], v[110:111]
	scratch_store_dwordx2 off, v[108:109], off offset:64
.LBB51_426:
	s_or_b64 exec, exec, s[4:5]
	scratch_load_dwordx2 v[108:109], off, off offset:56
	v_cmp_lt_u32_e64 s[2:3], 7, v0
	s_waitcnt vmcnt(0)
	ds_write_b64 v1, v[108:109]
	s_waitcnt lgkmcnt(0)
	; wave barrier
	s_and_saveexec_b64 s[4:5], s[2:3]
	s_cbranch_execz .LBB51_436
; %bb.427:
	s_andn2_b64 vcc, exec, s[6:7]
	s_cbranch_vccnz .LBB51_429
; %bb.428:
	scratch_load_dwordx2 v[108:109], v17, off
	ds_read_b64 v[110:111], v1
	s_waitcnt vmcnt(0) lgkmcnt(0)
	v_mul_f64 v[108:109], v[108:109], v[110:111]
	s_cbranch_execz .LBB51_430
	s_branch .LBB51_431
.LBB51_429:
                                        ; implicit-def: $vgpr108_vgpr109
.LBB51_430:
	ds_read_b64 v[108:109], v1
.LBB51_431:
	s_and_saveexec_b64 s[8:9], s[0:1]
	s_cbranch_execz .LBB51_435
; %bb.432:
	v_add_u32_e32 v110, -8, v0
	s_movk_i32 s14, 0x1e0
	s_mov_b64 s[0:1], 0
.LBB51_433:                             ; =>This Inner Loop Header: Depth=1
	scratch_load_dwordx2 v[112:113], off, s13
	v_mov_b32_e32 v111, s14
	ds_read_b64 v[114:115], v111
	v_add_u32_e32 v110, -1, v110
	s_add_i32 s14, s14, 8
	s_add_i32 s13, s13, 8
	v_cmp_eq_u32_e32 vcc, 0, v110
	s_or_b64 s[0:1], vcc, s[0:1]
	s_waitcnt vmcnt(0) lgkmcnt(0)
	v_fmac_f64_e32 v[108:109], v[112:113], v[114:115]
	s_andn2_b64 exec, exec, s[0:1]
	s_cbranch_execnz .LBB51_433
; %bb.434:
	s_or_b64 exec, exec, s[0:1]
.LBB51_435:
	s_or_b64 exec, exec, s[8:9]
	v_mov_b32_e32 v110, 0
	ds_read_b64 v[110:111], v110 offset:56
	s_waitcnt lgkmcnt(0)
	v_mul_f64 v[108:109], v[108:109], v[110:111]
	scratch_store_dwordx2 off, v[108:109], off offset:56
.LBB51_436:
	s_or_b64 exec, exec, s[4:5]
	scratch_load_dwordx2 v[108:109], off, off offset:48
	v_cmp_lt_u32_e64 s[0:1], 6, v0
	s_waitcnt vmcnt(0)
	ds_write_b64 v1, v[108:109]
	s_waitcnt lgkmcnt(0)
	; wave barrier
	s_and_saveexec_b64 s[4:5], s[0:1]
	s_cbranch_execz .LBB51_446
; %bb.437:
	s_andn2_b64 vcc, exec, s[6:7]
	s_cbranch_vccnz .LBB51_439
; %bb.438:
	scratch_load_dwordx2 v[108:109], v17, off
	ds_read_b64 v[110:111], v1
	s_waitcnt vmcnt(0) lgkmcnt(0)
	v_mul_f64 v[108:109], v[108:109], v[110:111]
	s_cbranch_execz .LBB51_440
	s_branch .LBB51_441
.LBB51_439:
                                        ; implicit-def: $vgpr108_vgpr109
.LBB51_440:
	ds_read_b64 v[108:109], v1
.LBB51_441:
	s_and_saveexec_b64 s[8:9], s[2:3]
	s_cbranch_execz .LBB51_445
; %bb.442:
	s_mov_b32 s13, 56
	v_add_u32_e32 v110, -7, v0
	s_movk_i32 s14, 0x1d8
	s_mov_b64 s[2:3], 0
.LBB51_443:                             ; =>This Inner Loop Header: Depth=1
	scratch_load_dwordx2 v[112:113], off, s13
	v_mov_b32_e32 v111, s14
	ds_read_b64 v[114:115], v111
	v_add_u32_e32 v110, -1, v110
	s_add_i32 s14, s14, 8
	s_add_i32 s13, s13, 8
	v_cmp_eq_u32_e32 vcc, 0, v110
	s_or_b64 s[2:3], vcc, s[2:3]
	s_waitcnt vmcnt(0) lgkmcnt(0)
	v_fmac_f64_e32 v[108:109], v[112:113], v[114:115]
	s_andn2_b64 exec, exec, s[2:3]
	s_cbranch_execnz .LBB51_443
; %bb.444:
	s_or_b64 exec, exec, s[2:3]
.LBB51_445:
	s_or_b64 exec, exec, s[8:9]
	v_mov_b32_e32 v110, 0
	ds_read_b64 v[110:111], v110 offset:48
	s_waitcnt lgkmcnt(0)
	v_mul_f64 v[108:109], v[108:109], v[110:111]
	scratch_store_dwordx2 off, v[108:109], off offset:48
.LBB51_446:
	s_or_b64 exec, exec, s[4:5]
	scratch_load_dwordx2 v[108:109], off, off offset:40
	v_cmp_lt_u32_e64 s[2:3], 5, v0
	s_waitcnt vmcnt(0)
	ds_write_b64 v1, v[108:109]
	s_waitcnt lgkmcnt(0)
	; wave barrier
	s_and_saveexec_b64 s[4:5], s[2:3]
	s_cbranch_execz .LBB51_456
; %bb.447:
	s_andn2_b64 vcc, exec, s[6:7]
	s_cbranch_vccnz .LBB51_449
; %bb.448:
	scratch_load_dwordx2 v[108:109], v17, off
	ds_read_b64 v[110:111], v1
	s_waitcnt vmcnt(0) lgkmcnt(0)
	v_mul_f64 v[108:109], v[108:109], v[110:111]
	s_cbranch_execz .LBB51_450
	s_branch .LBB51_451
.LBB51_449:
                                        ; implicit-def: $vgpr108_vgpr109
.LBB51_450:
	ds_read_b64 v[108:109], v1
.LBB51_451:
	s_and_saveexec_b64 s[8:9], s[0:1]
	s_cbranch_execz .LBB51_455
; %bb.452:
	v_add_u32_e32 v110, -6, v0
	s_movk_i32 s13, 0x1d0
	s_mov_b64 s[0:1], 0
.LBB51_453:                             ; =>This Inner Loop Header: Depth=1
	scratch_load_dwordx2 v[112:113], off, s12
	v_mov_b32_e32 v111, s13
	ds_read_b64 v[114:115], v111
	v_add_u32_e32 v110, -1, v110
	s_add_i32 s13, s13, 8
	s_add_i32 s12, s12, 8
	v_cmp_eq_u32_e32 vcc, 0, v110
	s_or_b64 s[0:1], vcc, s[0:1]
	s_waitcnt vmcnt(0) lgkmcnt(0)
	v_fmac_f64_e32 v[108:109], v[112:113], v[114:115]
	s_andn2_b64 exec, exec, s[0:1]
	s_cbranch_execnz .LBB51_453
; %bb.454:
	s_or_b64 exec, exec, s[0:1]
.LBB51_455:
	s_or_b64 exec, exec, s[8:9]
	v_mov_b32_e32 v110, 0
	ds_read_b64 v[110:111], v110 offset:40
	s_waitcnt lgkmcnt(0)
	v_mul_f64 v[108:109], v[108:109], v[110:111]
	scratch_store_dwordx2 off, v[108:109], off offset:40
.LBB51_456:
	s_or_b64 exec, exec, s[4:5]
	scratch_load_dwordx2 v[108:109], off, off offset:32
	v_cmp_lt_u32_e64 s[0:1], 4, v0
	s_waitcnt vmcnt(0)
	ds_write_b64 v1, v[108:109]
	s_waitcnt lgkmcnt(0)
	; wave barrier
	s_and_saveexec_b64 s[4:5], s[0:1]
	s_cbranch_execz .LBB51_466
; %bb.457:
	s_andn2_b64 vcc, exec, s[6:7]
	s_cbranch_vccnz .LBB51_459
; %bb.458:
	scratch_load_dwordx2 v[108:109], v17, off
	ds_read_b64 v[110:111], v1
	s_waitcnt vmcnt(0) lgkmcnt(0)
	v_mul_f64 v[108:109], v[108:109], v[110:111]
	s_cbranch_execz .LBB51_460
	s_branch .LBB51_461
.LBB51_459:
                                        ; implicit-def: $vgpr108_vgpr109
.LBB51_460:
	ds_read_b64 v[108:109], v1
.LBB51_461:
	s_and_saveexec_b64 s[8:9], s[2:3]
	s_cbranch_execz .LBB51_465
; %bb.462:
	s_mov_b32 s12, 40
	v_add_u32_e32 v110, -5, v0
	s_movk_i32 s13, 0x1c8
	s_mov_b64 s[2:3], 0
.LBB51_463:                             ; =>This Inner Loop Header: Depth=1
	scratch_load_dwordx2 v[112:113], off, s12
	v_mov_b32_e32 v111, s13
	ds_read_b64 v[114:115], v111
	v_add_u32_e32 v110, -1, v110
	s_add_i32 s13, s13, 8
	s_add_i32 s12, s12, 8
	v_cmp_eq_u32_e32 vcc, 0, v110
	s_or_b64 s[2:3], vcc, s[2:3]
	s_waitcnt vmcnt(0) lgkmcnt(0)
	v_fmac_f64_e32 v[108:109], v[112:113], v[114:115]
	s_andn2_b64 exec, exec, s[2:3]
	s_cbranch_execnz .LBB51_463
; %bb.464:
	s_or_b64 exec, exec, s[2:3]
.LBB51_465:
	s_or_b64 exec, exec, s[8:9]
	v_mov_b32_e32 v110, 0
	ds_read_b64 v[110:111], v110 offset:32
	s_waitcnt lgkmcnt(0)
	v_mul_f64 v[108:109], v[108:109], v[110:111]
	scratch_store_dwordx2 off, v[108:109], off offset:32
.LBB51_466:
	s_or_b64 exec, exec, s[4:5]
	scratch_load_dwordx2 v[108:109], off, off offset:24
	v_cmp_lt_u32_e64 s[2:3], 3, v0
	s_waitcnt vmcnt(0)
	ds_write_b64 v1, v[108:109]
	s_waitcnt lgkmcnt(0)
	; wave barrier
	s_and_saveexec_b64 s[4:5], s[2:3]
	s_cbranch_execz .LBB51_476
; %bb.467:
	s_andn2_b64 vcc, exec, s[6:7]
	s_cbranch_vccnz .LBB51_469
; %bb.468:
	scratch_load_dwordx2 v[108:109], v17, off
	ds_read_b64 v[110:111], v1
	s_waitcnt vmcnt(0) lgkmcnt(0)
	v_mul_f64 v[108:109], v[108:109], v[110:111]
	s_cbranch_execz .LBB51_470
	s_branch .LBB51_471
.LBB51_469:
                                        ; implicit-def: $vgpr108_vgpr109
.LBB51_470:
	ds_read_b64 v[108:109], v1
.LBB51_471:
	s_and_saveexec_b64 s[8:9], s[0:1]
	s_cbranch_execz .LBB51_475
; %bb.472:
	v_add_u32_e32 v110, -4, v0
	s_movk_i32 s12, 0x1c0
	s_mov_b64 s[0:1], 0
.LBB51_473:                             ; =>This Inner Loop Header: Depth=1
	scratch_load_dwordx2 v[112:113], off, s11
	v_mov_b32_e32 v111, s12
	ds_read_b64 v[114:115], v111
	v_add_u32_e32 v110, -1, v110
	s_add_i32 s12, s12, 8
	s_add_i32 s11, s11, 8
	v_cmp_eq_u32_e32 vcc, 0, v110
	s_or_b64 s[0:1], vcc, s[0:1]
	s_waitcnt vmcnt(0) lgkmcnt(0)
	v_fmac_f64_e32 v[108:109], v[112:113], v[114:115]
	s_andn2_b64 exec, exec, s[0:1]
	s_cbranch_execnz .LBB51_473
; %bb.474:
	s_or_b64 exec, exec, s[0:1]
.LBB51_475:
	s_or_b64 exec, exec, s[8:9]
	v_mov_b32_e32 v110, 0
	ds_read_b64 v[110:111], v110 offset:24
	s_waitcnt lgkmcnt(0)
	v_mul_f64 v[108:109], v[108:109], v[110:111]
	scratch_store_dwordx2 off, v[108:109], off offset:24
.LBB51_476:
	s_or_b64 exec, exec, s[4:5]
	scratch_load_dwordx2 v[108:109], off, off offset:16
	v_cmp_lt_u32_e64 s[0:1], 2, v0
	s_waitcnt vmcnt(0)
	ds_write_b64 v1, v[108:109]
	s_waitcnt lgkmcnt(0)
	; wave barrier
	s_and_saveexec_b64 s[4:5], s[0:1]
	s_cbranch_execz .LBB51_486
; %bb.477:
	s_andn2_b64 vcc, exec, s[6:7]
	s_cbranch_vccnz .LBB51_479
; %bb.478:
	scratch_load_dwordx2 v[108:109], v17, off
	ds_read_b64 v[110:111], v1
	s_waitcnt vmcnt(0) lgkmcnt(0)
	v_mul_f64 v[108:109], v[108:109], v[110:111]
	s_cbranch_execz .LBB51_480
	s_branch .LBB51_481
.LBB51_479:
                                        ; implicit-def: $vgpr108_vgpr109
.LBB51_480:
	ds_read_b64 v[108:109], v1
.LBB51_481:
	s_and_saveexec_b64 s[8:9], s[2:3]
	s_cbranch_execz .LBB51_485
; %bb.482:
	s_mov_b32 s11, 24
	v_add_u32_e32 v110, -3, v0
	s_movk_i32 s12, 0x1b8
	s_mov_b64 s[2:3], 0
.LBB51_483:                             ; =>This Inner Loop Header: Depth=1
	scratch_load_dwordx2 v[112:113], off, s11
	v_mov_b32_e32 v111, s12
	ds_read_b64 v[114:115], v111
	v_add_u32_e32 v110, -1, v110
	s_add_i32 s12, s12, 8
	s_add_i32 s11, s11, 8
	v_cmp_eq_u32_e32 vcc, 0, v110
	s_or_b64 s[2:3], vcc, s[2:3]
	s_waitcnt vmcnt(0) lgkmcnt(0)
	v_fmac_f64_e32 v[108:109], v[112:113], v[114:115]
	s_andn2_b64 exec, exec, s[2:3]
	s_cbranch_execnz .LBB51_483
; %bb.484:
	s_or_b64 exec, exec, s[2:3]
.LBB51_485:
	s_or_b64 exec, exec, s[8:9]
	v_mov_b32_e32 v110, 0
	ds_read_b64 v[110:111], v110 offset:16
	s_waitcnt lgkmcnt(0)
	v_mul_f64 v[108:109], v[108:109], v[110:111]
	scratch_store_dwordx2 off, v[108:109], off offset:16
.LBB51_486:
	s_or_b64 exec, exec, s[4:5]
	scratch_load_dwordx2 v[108:109], off, off offset:8
	v_cmp_lt_u32_e64 s[2:3], 1, v0
	s_waitcnt vmcnt(0)
	ds_write_b64 v1, v[108:109]
	s_waitcnt lgkmcnt(0)
	; wave barrier
	s_and_saveexec_b64 s[4:5], s[2:3]
	s_cbranch_execz .LBB51_496
; %bb.487:
	s_andn2_b64 vcc, exec, s[6:7]
	s_cbranch_vccnz .LBB51_489
; %bb.488:
	scratch_load_dwordx2 v[108:109], v17, off
	ds_read_b64 v[110:111], v1
	s_waitcnt vmcnt(0) lgkmcnt(0)
	v_mul_f64 v[108:109], v[108:109], v[110:111]
	s_cbranch_execz .LBB51_490
	s_branch .LBB51_491
.LBB51_489:
                                        ; implicit-def: $vgpr108_vgpr109
.LBB51_490:
	ds_read_b64 v[108:109], v1
.LBB51_491:
	s_and_saveexec_b64 s[8:9], s[0:1]
	s_cbranch_execz .LBB51_495
; %bb.492:
	v_add_u32_e32 v110, -2, v0
	s_movk_i32 s11, 0x1b0
	s_mov_b64 s[0:1], 0
.LBB51_493:                             ; =>This Inner Loop Header: Depth=1
	scratch_load_dwordx2 v[112:113], off, s10
	v_mov_b32_e32 v111, s11
	ds_read_b64 v[114:115], v111
	v_add_u32_e32 v110, -1, v110
	s_add_i32 s11, s11, 8
	s_add_i32 s10, s10, 8
	v_cmp_eq_u32_e32 vcc, 0, v110
	s_or_b64 s[0:1], vcc, s[0:1]
	s_waitcnt vmcnt(0) lgkmcnt(0)
	v_fmac_f64_e32 v[108:109], v[112:113], v[114:115]
	s_andn2_b64 exec, exec, s[0:1]
	s_cbranch_execnz .LBB51_493
; %bb.494:
	s_or_b64 exec, exec, s[0:1]
.LBB51_495:
	s_or_b64 exec, exec, s[8:9]
	v_mov_b32_e32 v110, 0
	ds_read_b64 v[110:111], v110 offset:8
	s_waitcnt lgkmcnt(0)
	v_mul_f64 v[108:109], v[108:109], v[110:111]
	scratch_store_dwordx2 off, v[108:109], off offset:8
.LBB51_496:
	s_or_b64 exec, exec, s[4:5]
	scratch_load_dwordx2 v[108:109], off, off
	v_cmp_ne_u32_e32 vcc, 0, v0
	s_waitcnt vmcnt(0)
	ds_write_b64 v1, v[108:109]
	s_waitcnt lgkmcnt(0)
	; wave barrier
	s_and_saveexec_b64 s[0:1], vcc
	s_cbranch_execz .LBB51_506
; %bb.497:
	s_andn2_b64 vcc, exec, s[6:7]
	s_cbranch_vccnz .LBB51_499
; %bb.498:
	scratch_load_dwordx2 v[108:109], v17, off
	ds_read_b64 v[110:111], v1
	s_waitcnt vmcnt(0) lgkmcnt(0)
	v_mul_f64 v[108:109], v[108:109], v[110:111]
	s_cbranch_execz .LBB51_500
	s_branch .LBB51_501
.LBB51_499:
                                        ; implicit-def: $vgpr108_vgpr109
.LBB51_500:
	ds_read_b64 v[108:109], v1
.LBB51_501:
	s_and_saveexec_b64 s[4:5], s[2:3]
	s_cbranch_execz .LBB51_505
; %bb.502:
	s_or_b32 s8, 0, 8
	v_add_u32_e32 v110, -1, v0
	s_movk_i32 s9, 0x1a8
	s_mov_b64 s[2:3], 0
.LBB51_503:                             ; =>This Inner Loop Header: Depth=1
	scratch_load_dwordx2 v[112:113], off, s8
	v_mov_b32_e32 v111, s9
	ds_read_b64 v[114:115], v111
	v_add_u32_e32 v110, -1, v110
	s_add_i32 s9, s9, 8
	s_add_i32 s8, s8, 8
	v_cmp_eq_u32_e32 vcc, 0, v110
	s_or_b64 s[2:3], vcc, s[2:3]
	s_waitcnt vmcnt(0) lgkmcnt(0)
	v_fmac_f64_e32 v[108:109], v[112:113], v[114:115]
	s_andn2_b64 exec, exec, s[2:3]
	s_cbranch_execnz .LBB51_503
; %bb.504:
	s_or_b64 exec, exec, s[2:3]
.LBB51_505:
	s_or_b64 exec, exec, s[4:5]
	v_mov_b32_e32 v110, 0
	ds_read_b64 v[110:111], v110
	s_waitcnt lgkmcnt(0)
	v_mul_f64 v[108:109], v[108:109], v[110:111]
	scratch_store_dwordx2 off, v[108:109], off
.LBB51_506:
	s_or_b64 exec, exec, s[0:1]
	s_mov_b64 s[0:1], 0
.LBB51_507:
	s_and_b64 vcc, exec, s[0:1]
	s_cbranch_vccz .LBB51_1009
; %bb.508:
	scratch_load_dwordx2 v[108:109], off, off offset:8
	v_cmp_eq_u32_e64 s[2:3], 0, v0
	s_waitcnt vmcnt(0)
	ds_write_b64 v1, v[108:109]
	s_waitcnt lgkmcnt(0)
	; wave barrier
	s_and_saveexec_b64 s[0:1], s[2:3]
	s_cbranch_execz .LBB51_514
; %bb.509:
	s_and_b64 vcc, exec, s[6:7]
	s_cbranch_vccz .LBB51_511
; %bb.510:
	scratch_load_dwordx2 v[108:109], v17, off
	ds_read_b64 v[110:111], v1
	s_waitcnt vmcnt(0) lgkmcnt(0)
	v_mul_f64 v[108:109], v[108:109], v[110:111]
	s_cbranch_execz .LBB51_512
	s_branch .LBB51_513
.LBB51_511:
                                        ; implicit-def: $vgpr108_vgpr109
.LBB51_512:
	ds_read_b64 v[108:109], v1
.LBB51_513:
	v_mov_b32_e32 v110, 0
	ds_read_b64 v[110:111], v110 offset:8
	s_waitcnt lgkmcnt(0)
	v_mul_f64 v[108:109], v[108:109], v[110:111]
	scratch_store_dwordx2 off, v[108:109], off offset:8
.LBB51_514:
	s_or_b64 exec, exec, s[0:1]
	scratch_load_dwordx2 v[108:109], off, off offset:16
	v_cndmask_b32_e64 v110, 0, 1, s[6:7]
	v_cmp_gt_u32_e32 vcc, 2, v0
	v_cmp_ne_u32_e64 s[0:1], 1, v110
	s_waitcnt vmcnt(0)
	ds_write_b64 v1, v[108:109]
	s_waitcnt lgkmcnt(0)
	; wave barrier
	s_and_saveexec_b64 s[4:5], vcc
	s_cbranch_execz .LBB51_520
; %bb.515:
	s_and_b64 vcc, exec, s[0:1]
	s_cbranch_vccnz .LBB51_517
; %bb.516:
	scratch_load_dwordx2 v[108:109], v17, off
	ds_read_b64 v[110:111], v1
	s_waitcnt vmcnt(0) lgkmcnt(0)
	v_mul_f64 v[108:109], v[108:109], v[110:111]
	s_cbranch_execz .LBB51_518
	s_branch .LBB51_519
.LBB51_517:
                                        ; implicit-def: $vgpr108_vgpr109
.LBB51_518:
	ds_read_b64 v[108:109], v1
.LBB51_519:
	scratch_load_dwordx2 v[114:115], off, off offset:8
	v_mov_b32_e32 v110, 0
	ds_read2_b64 v[110:113], v110 offset0:2 offset1:53
	s_waitcnt vmcnt(0) lgkmcnt(0)
	v_fma_f64 v[112:113], v[114:115], v[112:113], v[108:109]
	v_cndmask_b32_e64 v109, v109, v113, s[2:3]
	v_cndmask_b32_e64 v108, v108, v112, s[2:3]
	v_mul_f64 v[108:109], v[108:109], v[110:111]
	scratch_store_dwordx2 off, v[108:109], off offset:16
.LBB51_520:
	s_or_b64 exec, exec, s[4:5]
	scratch_load_dwordx2 v[108:109], off, off offset:24
	v_cmp_gt_u32_e32 vcc, 3, v0
	s_waitcnt vmcnt(0)
	ds_write_b64 v1, v[108:109]
	s_waitcnt lgkmcnt(0)
	; wave barrier
	s_and_saveexec_b64 s[4:5], vcc
	s_cbranch_execz .LBB51_528
; %bb.521:
	s_and_b64 vcc, exec, s[0:1]
	s_cbranch_vccnz .LBB51_523
; %bb.522:
	scratch_load_dwordx2 v[108:109], v17, off
	ds_read_b64 v[110:111], v1
	s_waitcnt vmcnt(0) lgkmcnt(0)
	v_mul_f64 v[108:109], v[108:109], v[110:111]
	s_cbranch_execz .LBB51_524
	s_branch .LBB51_525
.LBB51_523:
                                        ; implicit-def: $vgpr108_vgpr109
.LBB51_524:
	ds_read_b64 v[108:109], v1
.LBB51_525:
	v_cmp_ne_u32_e32 vcc, 2, v0
	s_and_saveexec_b64 s[6:7], vcc
	s_cbranch_execz .LBB51_527
; %bb.526:
	scratch_load_dwordx2 v[110:111], v17, off offset:8
	scratch_load_dwordx2 v[112:113], off, off offset:16
	ds_read_b64 v[114:115], v1 offset:8
	v_mov_b32_e32 v116, 0
	ds_read_b64 v[116:117], v116 offset:432
	s_waitcnt vmcnt(1) lgkmcnt(1)
	v_fmac_f64_e32 v[108:109], v[110:111], v[114:115]
	s_waitcnt vmcnt(0) lgkmcnt(0)
	v_fma_f64 v[110:111], v[112:113], v[116:117], v[108:109]
	v_cndmask_b32_e64 v109, v109, v111, s[2:3]
	v_cndmask_b32_e64 v108, v108, v110, s[2:3]
.LBB51_527:
	s_or_b64 exec, exec, s[6:7]
	v_mov_b32_e32 v110, 0
	ds_read_b64 v[110:111], v110 offset:24
	s_waitcnt lgkmcnt(0)
	v_mul_f64 v[108:109], v[108:109], v[110:111]
	scratch_store_dwordx2 off, v[108:109], off offset:24
.LBB51_528:
	s_or_b64 exec, exec, s[4:5]
	scratch_load_dwordx2 v[108:109], off, off offset:32
	v_cmp_gt_u32_e32 vcc, 4, v0
	s_waitcnt vmcnt(0)
	ds_write_b64 v1, v[108:109]
	s_waitcnt lgkmcnt(0)
	; wave barrier
	s_and_saveexec_b64 s[2:3], vcc
	s_cbranch_execz .LBB51_538
; %bb.529:
	s_and_b64 vcc, exec, s[0:1]
	s_cbranch_vccnz .LBB51_531
; %bb.530:
	scratch_load_dwordx2 v[108:109], v17, off
	ds_read_b64 v[110:111], v1
	s_waitcnt vmcnt(0) lgkmcnt(0)
	v_mul_f64 v[108:109], v[108:109], v[110:111]
	s_cbranch_execz .LBB51_532
	s_branch .LBB51_533
.LBB51_531:
                                        ; implicit-def: $vgpr108_vgpr109
.LBB51_532:
	ds_read_b64 v[108:109], v1
.LBB51_533:
	v_cmp_ne_u32_e32 vcc, 3, v0
	s_and_saveexec_b64 s[4:5], vcc
	s_cbranch_execz .LBB51_537
; %bb.534:
	s_mov_b32 s6, 0
	v_add_u32_e32 v110, 0x1a8, v16
	v_add3_u32 v111, v16, s6, 8
	s_mov_b64 s[6:7], 0
	v_mov_b32_e32 v112, v0
.LBB51_535:                             ; =>This Inner Loop Header: Depth=1
	scratch_load_dwordx2 v[114:115], v111, off
	ds_read_b64 v[116:117], v110
	v_add_u32_e32 v112, 1, v112
	v_cmp_lt_u32_e32 vcc, 2, v112
	v_add_u32_e32 v110, 8, v110
	v_add_u32_e32 v111, 8, v111
	s_or_b64 s[6:7], vcc, s[6:7]
	s_waitcnt vmcnt(0) lgkmcnt(0)
	v_fmac_f64_e32 v[108:109], v[114:115], v[116:117]
	s_andn2_b64 exec, exec, s[6:7]
	s_cbranch_execnz .LBB51_535
; %bb.536:
	s_or_b64 exec, exec, s[6:7]
.LBB51_537:
	s_or_b64 exec, exec, s[4:5]
	v_mov_b32_e32 v110, 0
	ds_read_b64 v[110:111], v110 offset:32
	s_waitcnt lgkmcnt(0)
	v_mul_f64 v[108:109], v[108:109], v[110:111]
	scratch_store_dwordx2 off, v[108:109], off offset:32
.LBB51_538:
	s_or_b64 exec, exec, s[2:3]
	scratch_load_dwordx2 v[108:109], off, off offset:40
	v_cmp_gt_u32_e32 vcc, 5, v0
	s_waitcnt vmcnt(0)
	ds_write_b64 v1, v[108:109]
	s_waitcnt lgkmcnt(0)
	; wave barrier
	s_and_saveexec_b64 s[2:3], vcc
	s_cbranch_execz .LBB51_548
; %bb.539:
	s_and_b64 vcc, exec, s[0:1]
	s_cbranch_vccnz .LBB51_541
; %bb.540:
	scratch_load_dwordx2 v[108:109], v17, off
	ds_read_b64 v[110:111], v1
	s_waitcnt vmcnt(0) lgkmcnt(0)
	v_mul_f64 v[108:109], v[108:109], v[110:111]
	s_cbranch_execz .LBB51_542
	s_branch .LBB51_543
.LBB51_541:
                                        ; implicit-def: $vgpr108_vgpr109
.LBB51_542:
	ds_read_b64 v[108:109], v1
.LBB51_543:
	v_cmp_ne_u32_e32 vcc, 4, v0
	s_and_saveexec_b64 s[4:5], vcc
	s_cbranch_execz .LBB51_547
; %bb.544:
	s_mov_b32 s6, 0
	v_add_u32_e32 v110, 0x1a8, v16
	v_add3_u32 v111, v16, s6, 8
	s_mov_b64 s[6:7], 0
	v_mov_b32_e32 v112, v0
.LBB51_545:                             ; =>This Inner Loop Header: Depth=1
	scratch_load_dwordx2 v[114:115], v111, off
	ds_read_b64 v[116:117], v110
	v_add_u32_e32 v112, 1, v112
	v_cmp_lt_u32_e32 vcc, 3, v112
	v_add_u32_e32 v110, 8, v110
	v_add_u32_e32 v111, 8, v111
	s_or_b64 s[6:7], vcc, s[6:7]
	s_waitcnt vmcnt(0) lgkmcnt(0)
	v_fmac_f64_e32 v[108:109], v[114:115], v[116:117]
	s_andn2_b64 exec, exec, s[6:7]
	s_cbranch_execnz .LBB51_545
; %bb.546:
	s_or_b64 exec, exec, s[6:7]
.LBB51_547:
	s_or_b64 exec, exec, s[4:5]
	v_mov_b32_e32 v110, 0
	ds_read_b64 v[110:111], v110 offset:40
	s_waitcnt lgkmcnt(0)
	v_mul_f64 v[108:109], v[108:109], v[110:111]
	scratch_store_dwordx2 off, v[108:109], off offset:40
.LBB51_548:
	s_or_b64 exec, exec, s[2:3]
	scratch_load_dwordx2 v[108:109], off, off offset:48
	v_cmp_gt_u32_e32 vcc, 6, v0
	s_waitcnt vmcnt(0)
	ds_write_b64 v1, v[108:109]
	s_waitcnt lgkmcnt(0)
	; wave barrier
	s_and_saveexec_b64 s[2:3], vcc
	s_cbranch_execz .LBB51_558
; %bb.549:
	s_and_b64 vcc, exec, s[0:1]
	s_cbranch_vccnz .LBB51_551
; %bb.550:
	scratch_load_dwordx2 v[108:109], v17, off
	ds_read_b64 v[110:111], v1
	s_waitcnt vmcnt(0) lgkmcnt(0)
	v_mul_f64 v[108:109], v[108:109], v[110:111]
	s_cbranch_execz .LBB51_552
	s_branch .LBB51_553
.LBB51_551:
                                        ; implicit-def: $vgpr108_vgpr109
.LBB51_552:
	ds_read_b64 v[108:109], v1
.LBB51_553:
	v_cmp_ne_u32_e32 vcc, 5, v0
	s_and_saveexec_b64 s[4:5], vcc
	s_cbranch_execz .LBB51_557
; %bb.554:
	s_mov_b32 s6, 0
	v_add_u32_e32 v110, 0x1a8, v16
	v_add3_u32 v111, v16, s6, 8
	s_mov_b64 s[6:7], 0
	v_mov_b32_e32 v112, v0
.LBB51_555:                             ; =>This Inner Loop Header: Depth=1
	scratch_load_dwordx2 v[114:115], v111, off
	ds_read_b64 v[116:117], v110
	v_add_u32_e32 v112, 1, v112
	v_cmp_lt_u32_e32 vcc, 4, v112
	v_add_u32_e32 v110, 8, v110
	v_add_u32_e32 v111, 8, v111
	s_or_b64 s[6:7], vcc, s[6:7]
	s_waitcnt vmcnt(0) lgkmcnt(0)
	v_fmac_f64_e32 v[108:109], v[114:115], v[116:117]
	s_andn2_b64 exec, exec, s[6:7]
	s_cbranch_execnz .LBB51_555
; %bb.556:
	s_or_b64 exec, exec, s[6:7]
.LBB51_557:
	s_or_b64 exec, exec, s[4:5]
	v_mov_b32_e32 v110, 0
	ds_read_b64 v[110:111], v110 offset:48
	s_waitcnt lgkmcnt(0)
	v_mul_f64 v[108:109], v[108:109], v[110:111]
	scratch_store_dwordx2 off, v[108:109], off offset:48
.LBB51_558:
	s_or_b64 exec, exec, s[2:3]
	scratch_load_dwordx2 v[108:109], off, off offset:56
	v_cmp_gt_u32_e32 vcc, 7, v0
	s_waitcnt vmcnt(0)
	ds_write_b64 v1, v[108:109]
	s_waitcnt lgkmcnt(0)
	; wave barrier
	s_and_saveexec_b64 s[2:3], vcc
	s_cbranch_execz .LBB51_568
; %bb.559:
	s_and_b64 vcc, exec, s[0:1]
	s_cbranch_vccnz .LBB51_561
; %bb.560:
	scratch_load_dwordx2 v[108:109], v17, off
	ds_read_b64 v[110:111], v1
	s_waitcnt vmcnt(0) lgkmcnt(0)
	v_mul_f64 v[108:109], v[108:109], v[110:111]
	s_cbranch_execz .LBB51_562
	s_branch .LBB51_563
.LBB51_561:
                                        ; implicit-def: $vgpr108_vgpr109
.LBB51_562:
	ds_read_b64 v[108:109], v1
.LBB51_563:
	v_cmp_ne_u32_e32 vcc, 6, v0
	s_and_saveexec_b64 s[4:5], vcc
	s_cbranch_execz .LBB51_567
; %bb.564:
	s_mov_b32 s6, 0
	v_add_u32_e32 v110, 0x1a8, v16
	v_add3_u32 v111, v16, s6, 8
	s_mov_b64 s[6:7], 0
	v_mov_b32_e32 v112, v0
.LBB51_565:                             ; =>This Inner Loop Header: Depth=1
	scratch_load_dwordx2 v[114:115], v111, off
	ds_read_b64 v[116:117], v110
	v_add_u32_e32 v112, 1, v112
	v_cmp_lt_u32_e32 vcc, 5, v112
	v_add_u32_e32 v110, 8, v110
	v_add_u32_e32 v111, 8, v111
	s_or_b64 s[6:7], vcc, s[6:7]
	s_waitcnt vmcnt(0) lgkmcnt(0)
	v_fmac_f64_e32 v[108:109], v[114:115], v[116:117]
	s_andn2_b64 exec, exec, s[6:7]
	s_cbranch_execnz .LBB51_565
; %bb.566:
	s_or_b64 exec, exec, s[6:7]
.LBB51_567:
	s_or_b64 exec, exec, s[4:5]
	v_mov_b32_e32 v110, 0
	ds_read_b64 v[110:111], v110 offset:56
	s_waitcnt lgkmcnt(0)
	v_mul_f64 v[108:109], v[108:109], v[110:111]
	scratch_store_dwordx2 off, v[108:109], off offset:56
.LBB51_568:
	s_or_b64 exec, exec, s[2:3]
	scratch_load_dwordx2 v[108:109], off, off offset:64
	v_cmp_gt_u32_e32 vcc, 8, v0
	s_waitcnt vmcnt(0)
	ds_write_b64 v1, v[108:109]
	s_waitcnt lgkmcnt(0)
	; wave barrier
	s_and_saveexec_b64 s[2:3], vcc
	s_cbranch_execz .LBB51_578
; %bb.569:
	s_and_b64 vcc, exec, s[0:1]
	s_cbranch_vccnz .LBB51_571
; %bb.570:
	scratch_load_dwordx2 v[108:109], v17, off
	ds_read_b64 v[110:111], v1
	s_waitcnt vmcnt(0) lgkmcnt(0)
	v_mul_f64 v[108:109], v[108:109], v[110:111]
	s_cbranch_execz .LBB51_572
	s_branch .LBB51_573
.LBB51_571:
                                        ; implicit-def: $vgpr108_vgpr109
.LBB51_572:
	ds_read_b64 v[108:109], v1
.LBB51_573:
	v_cmp_ne_u32_e32 vcc, 7, v0
	s_and_saveexec_b64 s[4:5], vcc
	s_cbranch_execz .LBB51_577
; %bb.574:
	s_mov_b32 s6, 0
	v_add_u32_e32 v110, 0x1a8, v16
	v_add3_u32 v111, v16, s6, 8
	s_mov_b64 s[6:7], 0
	v_mov_b32_e32 v112, v0
.LBB51_575:                             ; =>This Inner Loop Header: Depth=1
	scratch_load_dwordx2 v[114:115], v111, off
	ds_read_b64 v[116:117], v110
	v_add_u32_e32 v112, 1, v112
	v_cmp_lt_u32_e32 vcc, 6, v112
	v_add_u32_e32 v110, 8, v110
	v_add_u32_e32 v111, 8, v111
	s_or_b64 s[6:7], vcc, s[6:7]
	s_waitcnt vmcnt(0) lgkmcnt(0)
	v_fmac_f64_e32 v[108:109], v[114:115], v[116:117]
	s_andn2_b64 exec, exec, s[6:7]
	s_cbranch_execnz .LBB51_575
; %bb.576:
	s_or_b64 exec, exec, s[6:7]
.LBB51_577:
	s_or_b64 exec, exec, s[4:5]
	v_mov_b32_e32 v110, 0
	ds_read_b64 v[110:111], v110 offset:64
	s_waitcnt lgkmcnt(0)
	v_mul_f64 v[108:109], v[108:109], v[110:111]
	scratch_store_dwordx2 off, v[108:109], off offset:64
.LBB51_578:
	s_or_b64 exec, exec, s[2:3]
	scratch_load_dwordx2 v[108:109], off, off offset:72
	v_cmp_gt_u32_e32 vcc, 9, v0
	s_waitcnt vmcnt(0)
	ds_write_b64 v1, v[108:109]
	s_waitcnt lgkmcnt(0)
	; wave barrier
	s_and_saveexec_b64 s[2:3], vcc
	s_cbranch_execz .LBB51_588
; %bb.579:
	s_and_b64 vcc, exec, s[0:1]
	s_cbranch_vccnz .LBB51_581
; %bb.580:
	scratch_load_dwordx2 v[108:109], v17, off
	ds_read_b64 v[110:111], v1
	s_waitcnt vmcnt(0) lgkmcnt(0)
	v_mul_f64 v[108:109], v[108:109], v[110:111]
	s_cbranch_execz .LBB51_582
	s_branch .LBB51_583
.LBB51_581:
                                        ; implicit-def: $vgpr108_vgpr109
.LBB51_582:
	ds_read_b64 v[108:109], v1
.LBB51_583:
	v_cmp_ne_u32_e32 vcc, 8, v0
	s_and_saveexec_b64 s[4:5], vcc
	s_cbranch_execz .LBB51_587
; %bb.584:
	s_mov_b32 s6, 0
	v_add_u32_e32 v110, 0x1a8, v16
	v_add3_u32 v111, v16, s6, 8
	s_mov_b64 s[6:7], 0
	v_mov_b32_e32 v112, v0
.LBB51_585:                             ; =>This Inner Loop Header: Depth=1
	scratch_load_dwordx2 v[114:115], v111, off
	ds_read_b64 v[116:117], v110
	v_add_u32_e32 v112, 1, v112
	v_cmp_lt_u32_e32 vcc, 7, v112
	v_add_u32_e32 v110, 8, v110
	v_add_u32_e32 v111, 8, v111
	s_or_b64 s[6:7], vcc, s[6:7]
	s_waitcnt vmcnt(0) lgkmcnt(0)
	v_fmac_f64_e32 v[108:109], v[114:115], v[116:117]
	s_andn2_b64 exec, exec, s[6:7]
	s_cbranch_execnz .LBB51_585
; %bb.586:
	s_or_b64 exec, exec, s[6:7]
.LBB51_587:
	s_or_b64 exec, exec, s[4:5]
	v_mov_b32_e32 v110, 0
	ds_read_b64 v[110:111], v110 offset:72
	s_waitcnt lgkmcnt(0)
	v_mul_f64 v[108:109], v[108:109], v[110:111]
	scratch_store_dwordx2 off, v[108:109], off offset:72
.LBB51_588:
	s_or_b64 exec, exec, s[2:3]
	scratch_load_dwordx2 v[108:109], off, off offset:80
	v_cmp_gt_u32_e32 vcc, 10, v0
	s_waitcnt vmcnt(0)
	ds_write_b64 v1, v[108:109]
	s_waitcnt lgkmcnt(0)
	; wave barrier
	s_and_saveexec_b64 s[2:3], vcc
	s_cbranch_execz .LBB51_598
; %bb.589:
	s_and_b64 vcc, exec, s[0:1]
	s_cbranch_vccnz .LBB51_591
; %bb.590:
	scratch_load_dwordx2 v[108:109], v17, off
	ds_read_b64 v[110:111], v1
	s_waitcnt vmcnt(0) lgkmcnt(0)
	v_mul_f64 v[108:109], v[108:109], v[110:111]
	s_cbranch_execz .LBB51_592
	s_branch .LBB51_593
.LBB51_591:
                                        ; implicit-def: $vgpr108_vgpr109
.LBB51_592:
	ds_read_b64 v[108:109], v1
.LBB51_593:
	v_cmp_ne_u32_e32 vcc, 9, v0
	s_and_saveexec_b64 s[4:5], vcc
	s_cbranch_execz .LBB51_597
; %bb.594:
	s_mov_b32 s6, 0
	v_add_u32_e32 v110, 0x1a8, v16
	v_add3_u32 v111, v16, s6, 8
	s_mov_b64 s[6:7], 0
	v_mov_b32_e32 v112, v0
.LBB51_595:                             ; =>This Inner Loop Header: Depth=1
	scratch_load_dwordx2 v[114:115], v111, off
	ds_read_b64 v[116:117], v110
	v_add_u32_e32 v112, 1, v112
	v_cmp_lt_u32_e32 vcc, 8, v112
	v_add_u32_e32 v110, 8, v110
	v_add_u32_e32 v111, 8, v111
	s_or_b64 s[6:7], vcc, s[6:7]
	s_waitcnt vmcnt(0) lgkmcnt(0)
	v_fmac_f64_e32 v[108:109], v[114:115], v[116:117]
	s_andn2_b64 exec, exec, s[6:7]
	s_cbranch_execnz .LBB51_595
; %bb.596:
	s_or_b64 exec, exec, s[6:7]
.LBB51_597:
	s_or_b64 exec, exec, s[4:5]
	v_mov_b32_e32 v110, 0
	ds_read_b64 v[110:111], v110 offset:80
	s_waitcnt lgkmcnt(0)
	v_mul_f64 v[108:109], v[108:109], v[110:111]
	scratch_store_dwordx2 off, v[108:109], off offset:80
.LBB51_598:
	s_or_b64 exec, exec, s[2:3]
	scratch_load_dwordx2 v[108:109], off, off offset:88
	v_cmp_gt_u32_e32 vcc, 11, v0
	s_waitcnt vmcnt(0)
	ds_write_b64 v1, v[108:109]
	s_waitcnt lgkmcnt(0)
	; wave barrier
	s_and_saveexec_b64 s[2:3], vcc
	s_cbranch_execz .LBB51_608
; %bb.599:
	s_and_b64 vcc, exec, s[0:1]
	s_cbranch_vccnz .LBB51_601
; %bb.600:
	scratch_load_dwordx2 v[108:109], v17, off
	ds_read_b64 v[110:111], v1
	s_waitcnt vmcnt(0) lgkmcnt(0)
	v_mul_f64 v[108:109], v[108:109], v[110:111]
	s_cbranch_execz .LBB51_602
	s_branch .LBB51_603
.LBB51_601:
                                        ; implicit-def: $vgpr108_vgpr109
.LBB51_602:
	ds_read_b64 v[108:109], v1
.LBB51_603:
	v_cmp_ne_u32_e32 vcc, 10, v0
	s_and_saveexec_b64 s[4:5], vcc
	s_cbranch_execz .LBB51_607
; %bb.604:
	s_mov_b32 s6, 0
	v_add_u32_e32 v110, 0x1a8, v16
	v_add3_u32 v111, v16, s6, 8
	s_mov_b64 s[6:7], 0
	v_mov_b32_e32 v112, v0
.LBB51_605:                             ; =>This Inner Loop Header: Depth=1
	scratch_load_dwordx2 v[114:115], v111, off
	ds_read_b64 v[116:117], v110
	v_add_u32_e32 v112, 1, v112
	v_cmp_lt_u32_e32 vcc, 9, v112
	v_add_u32_e32 v110, 8, v110
	v_add_u32_e32 v111, 8, v111
	s_or_b64 s[6:7], vcc, s[6:7]
	s_waitcnt vmcnt(0) lgkmcnt(0)
	v_fmac_f64_e32 v[108:109], v[114:115], v[116:117]
	s_andn2_b64 exec, exec, s[6:7]
	s_cbranch_execnz .LBB51_605
; %bb.606:
	s_or_b64 exec, exec, s[6:7]
.LBB51_607:
	s_or_b64 exec, exec, s[4:5]
	v_mov_b32_e32 v110, 0
	ds_read_b64 v[110:111], v110 offset:88
	s_waitcnt lgkmcnt(0)
	v_mul_f64 v[108:109], v[108:109], v[110:111]
	scratch_store_dwordx2 off, v[108:109], off offset:88
.LBB51_608:
	s_or_b64 exec, exec, s[2:3]
	scratch_load_dwordx2 v[108:109], off, off offset:96
	v_cmp_gt_u32_e32 vcc, 12, v0
	s_waitcnt vmcnt(0)
	ds_write_b64 v1, v[108:109]
	s_waitcnt lgkmcnt(0)
	; wave barrier
	s_and_saveexec_b64 s[2:3], vcc
	s_cbranch_execz .LBB51_618
; %bb.609:
	s_and_b64 vcc, exec, s[0:1]
	s_cbranch_vccnz .LBB51_611
; %bb.610:
	scratch_load_dwordx2 v[108:109], v17, off
	ds_read_b64 v[110:111], v1
	s_waitcnt vmcnt(0) lgkmcnt(0)
	v_mul_f64 v[108:109], v[108:109], v[110:111]
	s_cbranch_execz .LBB51_612
	s_branch .LBB51_613
.LBB51_611:
                                        ; implicit-def: $vgpr108_vgpr109
.LBB51_612:
	ds_read_b64 v[108:109], v1
.LBB51_613:
	v_cmp_ne_u32_e32 vcc, 11, v0
	s_and_saveexec_b64 s[4:5], vcc
	s_cbranch_execz .LBB51_617
; %bb.614:
	s_mov_b32 s6, 0
	v_add_u32_e32 v110, 0x1a8, v16
	v_add3_u32 v111, v16, s6, 8
	s_mov_b64 s[6:7], 0
	v_mov_b32_e32 v112, v0
.LBB51_615:                             ; =>This Inner Loop Header: Depth=1
	scratch_load_dwordx2 v[114:115], v111, off
	ds_read_b64 v[116:117], v110
	v_add_u32_e32 v112, 1, v112
	v_cmp_lt_u32_e32 vcc, 10, v112
	v_add_u32_e32 v110, 8, v110
	v_add_u32_e32 v111, 8, v111
	s_or_b64 s[6:7], vcc, s[6:7]
	s_waitcnt vmcnt(0) lgkmcnt(0)
	v_fmac_f64_e32 v[108:109], v[114:115], v[116:117]
	s_andn2_b64 exec, exec, s[6:7]
	s_cbranch_execnz .LBB51_615
; %bb.616:
	s_or_b64 exec, exec, s[6:7]
.LBB51_617:
	s_or_b64 exec, exec, s[4:5]
	v_mov_b32_e32 v110, 0
	ds_read_b64 v[110:111], v110 offset:96
	s_waitcnt lgkmcnt(0)
	v_mul_f64 v[108:109], v[108:109], v[110:111]
	scratch_store_dwordx2 off, v[108:109], off offset:96
.LBB51_618:
	s_or_b64 exec, exec, s[2:3]
	scratch_load_dwordx2 v[108:109], off, off offset:104
	v_cmp_gt_u32_e32 vcc, 13, v0
	s_waitcnt vmcnt(0)
	ds_write_b64 v1, v[108:109]
	s_waitcnt lgkmcnt(0)
	; wave barrier
	s_and_saveexec_b64 s[2:3], vcc
	s_cbranch_execz .LBB51_628
; %bb.619:
	s_and_b64 vcc, exec, s[0:1]
	s_cbranch_vccnz .LBB51_621
; %bb.620:
	scratch_load_dwordx2 v[108:109], v17, off
	ds_read_b64 v[110:111], v1
	s_waitcnt vmcnt(0) lgkmcnt(0)
	v_mul_f64 v[108:109], v[108:109], v[110:111]
	s_cbranch_execz .LBB51_622
	s_branch .LBB51_623
.LBB51_621:
                                        ; implicit-def: $vgpr108_vgpr109
.LBB51_622:
	ds_read_b64 v[108:109], v1
.LBB51_623:
	v_cmp_ne_u32_e32 vcc, 12, v0
	s_and_saveexec_b64 s[4:5], vcc
	s_cbranch_execz .LBB51_627
; %bb.624:
	s_mov_b32 s6, 0
	v_add_u32_e32 v110, 0x1a8, v16
	v_add3_u32 v111, v16, s6, 8
	s_mov_b64 s[6:7], 0
	v_mov_b32_e32 v112, v0
.LBB51_625:                             ; =>This Inner Loop Header: Depth=1
	scratch_load_dwordx2 v[114:115], v111, off
	ds_read_b64 v[116:117], v110
	v_add_u32_e32 v112, 1, v112
	v_cmp_lt_u32_e32 vcc, 11, v112
	v_add_u32_e32 v110, 8, v110
	v_add_u32_e32 v111, 8, v111
	s_or_b64 s[6:7], vcc, s[6:7]
	s_waitcnt vmcnt(0) lgkmcnt(0)
	v_fmac_f64_e32 v[108:109], v[114:115], v[116:117]
	s_andn2_b64 exec, exec, s[6:7]
	s_cbranch_execnz .LBB51_625
; %bb.626:
	s_or_b64 exec, exec, s[6:7]
.LBB51_627:
	s_or_b64 exec, exec, s[4:5]
	v_mov_b32_e32 v110, 0
	ds_read_b64 v[110:111], v110 offset:104
	s_waitcnt lgkmcnt(0)
	v_mul_f64 v[108:109], v[108:109], v[110:111]
	scratch_store_dwordx2 off, v[108:109], off offset:104
.LBB51_628:
	s_or_b64 exec, exec, s[2:3]
	scratch_load_dwordx2 v[108:109], off, off offset:112
	v_cmp_gt_u32_e32 vcc, 14, v0
	s_waitcnt vmcnt(0)
	ds_write_b64 v1, v[108:109]
	s_waitcnt lgkmcnt(0)
	; wave barrier
	s_and_saveexec_b64 s[2:3], vcc
	s_cbranch_execz .LBB51_638
; %bb.629:
	s_and_b64 vcc, exec, s[0:1]
	s_cbranch_vccnz .LBB51_631
; %bb.630:
	scratch_load_dwordx2 v[108:109], v17, off
	ds_read_b64 v[110:111], v1
	s_waitcnt vmcnt(0) lgkmcnt(0)
	v_mul_f64 v[108:109], v[108:109], v[110:111]
	s_cbranch_execz .LBB51_632
	s_branch .LBB51_633
.LBB51_631:
                                        ; implicit-def: $vgpr108_vgpr109
.LBB51_632:
	ds_read_b64 v[108:109], v1
.LBB51_633:
	v_cmp_ne_u32_e32 vcc, 13, v0
	s_and_saveexec_b64 s[4:5], vcc
	s_cbranch_execz .LBB51_637
; %bb.634:
	s_mov_b32 s6, 0
	v_add_u32_e32 v110, 0x1a8, v16
	v_add3_u32 v111, v16, s6, 8
	s_mov_b64 s[6:7], 0
	v_mov_b32_e32 v112, v0
.LBB51_635:                             ; =>This Inner Loop Header: Depth=1
	scratch_load_dwordx2 v[114:115], v111, off
	ds_read_b64 v[116:117], v110
	v_add_u32_e32 v112, 1, v112
	v_cmp_lt_u32_e32 vcc, 12, v112
	v_add_u32_e32 v110, 8, v110
	v_add_u32_e32 v111, 8, v111
	s_or_b64 s[6:7], vcc, s[6:7]
	s_waitcnt vmcnt(0) lgkmcnt(0)
	v_fmac_f64_e32 v[108:109], v[114:115], v[116:117]
	s_andn2_b64 exec, exec, s[6:7]
	s_cbranch_execnz .LBB51_635
; %bb.636:
	s_or_b64 exec, exec, s[6:7]
.LBB51_637:
	s_or_b64 exec, exec, s[4:5]
	v_mov_b32_e32 v110, 0
	ds_read_b64 v[110:111], v110 offset:112
	s_waitcnt lgkmcnt(0)
	v_mul_f64 v[108:109], v[108:109], v[110:111]
	scratch_store_dwordx2 off, v[108:109], off offset:112
.LBB51_638:
	s_or_b64 exec, exec, s[2:3]
	scratch_load_dwordx2 v[108:109], off, off offset:120
	v_cmp_gt_u32_e32 vcc, 15, v0
	s_waitcnt vmcnt(0)
	ds_write_b64 v1, v[108:109]
	s_waitcnt lgkmcnt(0)
	; wave barrier
	s_and_saveexec_b64 s[2:3], vcc
	s_cbranch_execz .LBB51_648
; %bb.639:
	s_and_b64 vcc, exec, s[0:1]
	s_cbranch_vccnz .LBB51_641
; %bb.640:
	scratch_load_dwordx2 v[108:109], v17, off
	ds_read_b64 v[110:111], v1
	s_waitcnt vmcnt(0) lgkmcnt(0)
	v_mul_f64 v[108:109], v[108:109], v[110:111]
	s_cbranch_execz .LBB51_642
	s_branch .LBB51_643
.LBB51_641:
                                        ; implicit-def: $vgpr108_vgpr109
.LBB51_642:
	ds_read_b64 v[108:109], v1
.LBB51_643:
	v_cmp_ne_u32_e32 vcc, 14, v0
	s_and_saveexec_b64 s[4:5], vcc
	s_cbranch_execz .LBB51_647
; %bb.644:
	s_mov_b32 s6, 0
	v_add_u32_e32 v110, 0x1a8, v16
	v_add3_u32 v111, v16, s6, 8
	s_mov_b64 s[6:7], 0
	v_mov_b32_e32 v112, v0
.LBB51_645:                             ; =>This Inner Loop Header: Depth=1
	scratch_load_dwordx2 v[114:115], v111, off
	ds_read_b64 v[116:117], v110
	v_add_u32_e32 v112, 1, v112
	v_cmp_lt_u32_e32 vcc, 13, v112
	v_add_u32_e32 v110, 8, v110
	v_add_u32_e32 v111, 8, v111
	s_or_b64 s[6:7], vcc, s[6:7]
	s_waitcnt vmcnt(0) lgkmcnt(0)
	v_fmac_f64_e32 v[108:109], v[114:115], v[116:117]
	s_andn2_b64 exec, exec, s[6:7]
	s_cbranch_execnz .LBB51_645
; %bb.646:
	s_or_b64 exec, exec, s[6:7]
.LBB51_647:
	s_or_b64 exec, exec, s[4:5]
	v_mov_b32_e32 v110, 0
	ds_read_b64 v[110:111], v110 offset:120
	s_waitcnt lgkmcnt(0)
	v_mul_f64 v[108:109], v[108:109], v[110:111]
	scratch_store_dwordx2 off, v[108:109], off offset:120
.LBB51_648:
	s_or_b64 exec, exec, s[2:3]
	scratch_load_dwordx2 v[108:109], off, off offset:128
	v_cmp_gt_u32_e32 vcc, 16, v0
	s_waitcnt vmcnt(0)
	ds_write_b64 v1, v[108:109]
	s_waitcnt lgkmcnt(0)
	; wave barrier
	s_and_saveexec_b64 s[2:3], vcc
	s_cbranch_execz .LBB51_658
; %bb.649:
	s_and_b64 vcc, exec, s[0:1]
	s_cbranch_vccnz .LBB51_651
; %bb.650:
	scratch_load_dwordx2 v[108:109], v17, off
	ds_read_b64 v[110:111], v1
	s_waitcnt vmcnt(0) lgkmcnt(0)
	v_mul_f64 v[108:109], v[108:109], v[110:111]
	s_cbranch_execz .LBB51_652
	s_branch .LBB51_653
.LBB51_651:
                                        ; implicit-def: $vgpr108_vgpr109
.LBB51_652:
	ds_read_b64 v[108:109], v1
.LBB51_653:
	v_cmp_ne_u32_e32 vcc, 15, v0
	s_and_saveexec_b64 s[4:5], vcc
	s_cbranch_execz .LBB51_657
; %bb.654:
	s_mov_b32 s6, 0
	v_add_u32_e32 v110, 0x1a8, v16
	v_add3_u32 v111, v16, s6, 8
	s_mov_b64 s[6:7], 0
	v_mov_b32_e32 v112, v0
.LBB51_655:                             ; =>This Inner Loop Header: Depth=1
	scratch_load_dwordx2 v[114:115], v111, off
	ds_read_b64 v[116:117], v110
	v_add_u32_e32 v112, 1, v112
	v_cmp_lt_u32_e32 vcc, 14, v112
	v_add_u32_e32 v110, 8, v110
	v_add_u32_e32 v111, 8, v111
	s_or_b64 s[6:7], vcc, s[6:7]
	s_waitcnt vmcnt(0) lgkmcnt(0)
	v_fmac_f64_e32 v[108:109], v[114:115], v[116:117]
	s_andn2_b64 exec, exec, s[6:7]
	s_cbranch_execnz .LBB51_655
; %bb.656:
	s_or_b64 exec, exec, s[6:7]
.LBB51_657:
	s_or_b64 exec, exec, s[4:5]
	v_mov_b32_e32 v110, 0
	ds_read_b64 v[110:111], v110 offset:128
	s_waitcnt lgkmcnt(0)
	v_mul_f64 v[108:109], v[108:109], v[110:111]
	scratch_store_dwordx2 off, v[108:109], off offset:128
.LBB51_658:
	s_or_b64 exec, exec, s[2:3]
	scratch_load_dwordx2 v[108:109], off, off offset:136
	v_cmp_gt_u32_e32 vcc, 17, v0
	s_waitcnt vmcnt(0)
	ds_write_b64 v1, v[108:109]
	s_waitcnt lgkmcnt(0)
	; wave barrier
	s_and_saveexec_b64 s[2:3], vcc
	s_cbranch_execz .LBB51_668
; %bb.659:
	s_and_b64 vcc, exec, s[0:1]
	s_cbranch_vccnz .LBB51_661
; %bb.660:
	scratch_load_dwordx2 v[108:109], v17, off
	ds_read_b64 v[110:111], v1
	s_waitcnt vmcnt(0) lgkmcnt(0)
	v_mul_f64 v[108:109], v[108:109], v[110:111]
	s_cbranch_execz .LBB51_662
	s_branch .LBB51_663
.LBB51_661:
                                        ; implicit-def: $vgpr108_vgpr109
.LBB51_662:
	ds_read_b64 v[108:109], v1
.LBB51_663:
	v_cmp_ne_u32_e32 vcc, 16, v0
	s_and_saveexec_b64 s[4:5], vcc
	s_cbranch_execz .LBB51_667
; %bb.664:
	s_mov_b32 s6, 0
	v_add_u32_e32 v110, 0x1a8, v16
	v_add3_u32 v111, v16, s6, 8
	s_mov_b64 s[6:7], 0
	v_mov_b32_e32 v112, v0
.LBB51_665:                             ; =>This Inner Loop Header: Depth=1
	scratch_load_dwordx2 v[114:115], v111, off
	ds_read_b64 v[116:117], v110
	v_add_u32_e32 v112, 1, v112
	v_cmp_lt_u32_e32 vcc, 15, v112
	v_add_u32_e32 v110, 8, v110
	v_add_u32_e32 v111, 8, v111
	s_or_b64 s[6:7], vcc, s[6:7]
	s_waitcnt vmcnt(0) lgkmcnt(0)
	v_fmac_f64_e32 v[108:109], v[114:115], v[116:117]
	s_andn2_b64 exec, exec, s[6:7]
	s_cbranch_execnz .LBB51_665
; %bb.666:
	s_or_b64 exec, exec, s[6:7]
.LBB51_667:
	s_or_b64 exec, exec, s[4:5]
	v_mov_b32_e32 v110, 0
	ds_read_b64 v[110:111], v110 offset:136
	s_waitcnt lgkmcnt(0)
	v_mul_f64 v[108:109], v[108:109], v[110:111]
	scratch_store_dwordx2 off, v[108:109], off offset:136
.LBB51_668:
	s_or_b64 exec, exec, s[2:3]
	scratch_load_dwordx2 v[108:109], off, off offset:144
	v_cmp_gt_u32_e32 vcc, 18, v0
	s_waitcnt vmcnt(0)
	ds_write_b64 v1, v[108:109]
	s_waitcnt lgkmcnt(0)
	; wave barrier
	s_and_saveexec_b64 s[2:3], vcc
	s_cbranch_execz .LBB51_678
; %bb.669:
	s_and_b64 vcc, exec, s[0:1]
	s_cbranch_vccnz .LBB51_671
; %bb.670:
	scratch_load_dwordx2 v[108:109], v17, off
	ds_read_b64 v[110:111], v1
	s_waitcnt vmcnt(0) lgkmcnt(0)
	v_mul_f64 v[108:109], v[108:109], v[110:111]
	s_cbranch_execz .LBB51_672
	s_branch .LBB51_673
.LBB51_671:
                                        ; implicit-def: $vgpr108_vgpr109
.LBB51_672:
	ds_read_b64 v[108:109], v1
.LBB51_673:
	v_cmp_ne_u32_e32 vcc, 17, v0
	s_and_saveexec_b64 s[4:5], vcc
	s_cbranch_execz .LBB51_677
; %bb.674:
	s_mov_b32 s6, 0
	v_add_u32_e32 v110, 0x1a8, v16
	v_add3_u32 v111, v16, s6, 8
	s_mov_b64 s[6:7], 0
	v_mov_b32_e32 v112, v0
.LBB51_675:                             ; =>This Inner Loop Header: Depth=1
	scratch_load_dwordx2 v[114:115], v111, off
	ds_read_b64 v[116:117], v110
	v_add_u32_e32 v112, 1, v112
	v_cmp_lt_u32_e32 vcc, 16, v112
	v_add_u32_e32 v110, 8, v110
	v_add_u32_e32 v111, 8, v111
	s_or_b64 s[6:7], vcc, s[6:7]
	s_waitcnt vmcnt(0) lgkmcnt(0)
	v_fmac_f64_e32 v[108:109], v[114:115], v[116:117]
	s_andn2_b64 exec, exec, s[6:7]
	s_cbranch_execnz .LBB51_675
; %bb.676:
	s_or_b64 exec, exec, s[6:7]
.LBB51_677:
	s_or_b64 exec, exec, s[4:5]
	v_mov_b32_e32 v110, 0
	ds_read_b64 v[110:111], v110 offset:144
	s_waitcnt lgkmcnt(0)
	v_mul_f64 v[108:109], v[108:109], v[110:111]
	scratch_store_dwordx2 off, v[108:109], off offset:144
.LBB51_678:
	s_or_b64 exec, exec, s[2:3]
	scratch_load_dwordx2 v[108:109], off, off offset:152
	v_cmp_gt_u32_e32 vcc, 19, v0
	s_waitcnt vmcnt(0)
	ds_write_b64 v1, v[108:109]
	s_waitcnt lgkmcnt(0)
	; wave barrier
	s_and_saveexec_b64 s[2:3], vcc
	s_cbranch_execz .LBB51_688
; %bb.679:
	s_and_b64 vcc, exec, s[0:1]
	s_cbranch_vccnz .LBB51_681
; %bb.680:
	scratch_load_dwordx2 v[108:109], v17, off
	ds_read_b64 v[110:111], v1
	s_waitcnt vmcnt(0) lgkmcnt(0)
	v_mul_f64 v[108:109], v[108:109], v[110:111]
	s_cbranch_execz .LBB51_682
	s_branch .LBB51_683
.LBB51_681:
                                        ; implicit-def: $vgpr108_vgpr109
.LBB51_682:
	ds_read_b64 v[108:109], v1
.LBB51_683:
	v_cmp_ne_u32_e32 vcc, 18, v0
	s_and_saveexec_b64 s[4:5], vcc
	s_cbranch_execz .LBB51_687
; %bb.684:
	s_mov_b32 s6, 0
	v_add_u32_e32 v110, 0x1a8, v16
	v_add3_u32 v111, v16, s6, 8
	s_mov_b64 s[6:7], 0
	v_mov_b32_e32 v112, v0
.LBB51_685:                             ; =>This Inner Loop Header: Depth=1
	scratch_load_dwordx2 v[114:115], v111, off
	ds_read_b64 v[116:117], v110
	v_add_u32_e32 v112, 1, v112
	v_cmp_lt_u32_e32 vcc, 17, v112
	v_add_u32_e32 v110, 8, v110
	v_add_u32_e32 v111, 8, v111
	s_or_b64 s[6:7], vcc, s[6:7]
	s_waitcnt vmcnt(0) lgkmcnt(0)
	v_fmac_f64_e32 v[108:109], v[114:115], v[116:117]
	s_andn2_b64 exec, exec, s[6:7]
	s_cbranch_execnz .LBB51_685
; %bb.686:
	s_or_b64 exec, exec, s[6:7]
.LBB51_687:
	s_or_b64 exec, exec, s[4:5]
	v_mov_b32_e32 v110, 0
	ds_read_b64 v[110:111], v110 offset:152
	s_waitcnt lgkmcnt(0)
	v_mul_f64 v[108:109], v[108:109], v[110:111]
	scratch_store_dwordx2 off, v[108:109], off offset:152
.LBB51_688:
	s_or_b64 exec, exec, s[2:3]
	scratch_load_dwordx2 v[108:109], off, off offset:160
	v_cmp_gt_u32_e32 vcc, 20, v0
	s_waitcnt vmcnt(0)
	ds_write_b64 v1, v[108:109]
	s_waitcnt lgkmcnt(0)
	; wave barrier
	s_and_saveexec_b64 s[2:3], vcc
	s_cbranch_execz .LBB51_698
; %bb.689:
	s_and_b64 vcc, exec, s[0:1]
	s_cbranch_vccnz .LBB51_691
; %bb.690:
	scratch_load_dwordx2 v[108:109], v17, off
	ds_read_b64 v[110:111], v1
	s_waitcnt vmcnt(0) lgkmcnt(0)
	v_mul_f64 v[108:109], v[108:109], v[110:111]
	s_cbranch_execz .LBB51_692
	s_branch .LBB51_693
.LBB51_691:
                                        ; implicit-def: $vgpr108_vgpr109
.LBB51_692:
	ds_read_b64 v[108:109], v1
.LBB51_693:
	v_cmp_ne_u32_e32 vcc, 19, v0
	s_and_saveexec_b64 s[4:5], vcc
	s_cbranch_execz .LBB51_697
; %bb.694:
	s_mov_b32 s6, 0
	v_add_u32_e32 v110, 0x1a8, v16
	v_add3_u32 v111, v16, s6, 8
	s_mov_b64 s[6:7], 0
	v_mov_b32_e32 v112, v0
.LBB51_695:                             ; =>This Inner Loop Header: Depth=1
	scratch_load_dwordx2 v[114:115], v111, off
	ds_read_b64 v[116:117], v110
	v_add_u32_e32 v112, 1, v112
	v_cmp_lt_u32_e32 vcc, 18, v112
	v_add_u32_e32 v110, 8, v110
	v_add_u32_e32 v111, 8, v111
	s_or_b64 s[6:7], vcc, s[6:7]
	s_waitcnt vmcnt(0) lgkmcnt(0)
	v_fmac_f64_e32 v[108:109], v[114:115], v[116:117]
	s_andn2_b64 exec, exec, s[6:7]
	s_cbranch_execnz .LBB51_695
; %bb.696:
	s_or_b64 exec, exec, s[6:7]
.LBB51_697:
	s_or_b64 exec, exec, s[4:5]
	v_mov_b32_e32 v110, 0
	ds_read_b64 v[110:111], v110 offset:160
	s_waitcnt lgkmcnt(0)
	v_mul_f64 v[108:109], v[108:109], v[110:111]
	scratch_store_dwordx2 off, v[108:109], off offset:160
.LBB51_698:
	s_or_b64 exec, exec, s[2:3]
	scratch_load_dwordx2 v[108:109], off, off offset:168
	v_cmp_gt_u32_e32 vcc, 21, v0
	s_waitcnt vmcnt(0)
	ds_write_b64 v1, v[108:109]
	s_waitcnt lgkmcnt(0)
	; wave barrier
	s_and_saveexec_b64 s[2:3], vcc
	s_cbranch_execz .LBB51_708
; %bb.699:
	s_and_b64 vcc, exec, s[0:1]
	s_cbranch_vccnz .LBB51_701
; %bb.700:
	scratch_load_dwordx2 v[108:109], v17, off
	ds_read_b64 v[110:111], v1
	s_waitcnt vmcnt(0) lgkmcnt(0)
	v_mul_f64 v[108:109], v[108:109], v[110:111]
	s_cbranch_execz .LBB51_702
	s_branch .LBB51_703
.LBB51_701:
                                        ; implicit-def: $vgpr108_vgpr109
.LBB51_702:
	ds_read_b64 v[108:109], v1
.LBB51_703:
	v_cmp_ne_u32_e32 vcc, 20, v0
	s_and_saveexec_b64 s[4:5], vcc
	s_cbranch_execz .LBB51_707
; %bb.704:
	s_mov_b32 s6, 0
	v_add_u32_e32 v110, 0x1a8, v16
	v_add3_u32 v111, v16, s6, 8
	s_mov_b64 s[6:7], 0
	v_mov_b32_e32 v112, v0
.LBB51_705:                             ; =>This Inner Loop Header: Depth=1
	scratch_load_dwordx2 v[114:115], v111, off
	ds_read_b64 v[116:117], v110
	v_add_u32_e32 v112, 1, v112
	v_cmp_lt_u32_e32 vcc, 19, v112
	v_add_u32_e32 v110, 8, v110
	v_add_u32_e32 v111, 8, v111
	s_or_b64 s[6:7], vcc, s[6:7]
	s_waitcnt vmcnt(0) lgkmcnt(0)
	v_fmac_f64_e32 v[108:109], v[114:115], v[116:117]
	s_andn2_b64 exec, exec, s[6:7]
	s_cbranch_execnz .LBB51_705
; %bb.706:
	s_or_b64 exec, exec, s[6:7]
.LBB51_707:
	s_or_b64 exec, exec, s[4:5]
	v_mov_b32_e32 v110, 0
	ds_read_b64 v[110:111], v110 offset:168
	s_waitcnt lgkmcnt(0)
	v_mul_f64 v[108:109], v[108:109], v[110:111]
	scratch_store_dwordx2 off, v[108:109], off offset:168
.LBB51_708:
	s_or_b64 exec, exec, s[2:3]
	scratch_load_dwordx2 v[108:109], off, off offset:176
	v_cmp_gt_u32_e32 vcc, 22, v0
	s_waitcnt vmcnt(0)
	ds_write_b64 v1, v[108:109]
	s_waitcnt lgkmcnt(0)
	; wave barrier
	s_and_saveexec_b64 s[2:3], vcc
	s_cbranch_execz .LBB51_718
; %bb.709:
	s_and_b64 vcc, exec, s[0:1]
	s_cbranch_vccnz .LBB51_711
; %bb.710:
	scratch_load_dwordx2 v[108:109], v17, off
	ds_read_b64 v[110:111], v1
	s_waitcnt vmcnt(0) lgkmcnt(0)
	v_mul_f64 v[108:109], v[108:109], v[110:111]
	s_cbranch_execz .LBB51_712
	s_branch .LBB51_713
.LBB51_711:
                                        ; implicit-def: $vgpr108_vgpr109
.LBB51_712:
	ds_read_b64 v[108:109], v1
.LBB51_713:
	v_cmp_ne_u32_e32 vcc, 21, v0
	s_and_saveexec_b64 s[4:5], vcc
	s_cbranch_execz .LBB51_717
; %bb.714:
	s_mov_b32 s6, 0
	v_add_u32_e32 v110, 0x1a8, v16
	v_add3_u32 v111, v16, s6, 8
	s_mov_b64 s[6:7], 0
	v_mov_b32_e32 v112, v0
.LBB51_715:                             ; =>This Inner Loop Header: Depth=1
	scratch_load_dwordx2 v[114:115], v111, off
	ds_read_b64 v[116:117], v110
	v_add_u32_e32 v112, 1, v112
	v_cmp_lt_u32_e32 vcc, 20, v112
	v_add_u32_e32 v110, 8, v110
	v_add_u32_e32 v111, 8, v111
	s_or_b64 s[6:7], vcc, s[6:7]
	s_waitcnt vmcnt(0) lgkmcnt(0)
	v_fmac_f64_e32 v[108:109], v[114:115], v[116:117]
	s_andn2_b64 exec, exec, s[6:7]
	s_cbranch_execnz .LBB51_715
; %bb.716:
	s_or_b64 exec, exec, s[6:7]
.LBB51_717:
	s_or_b64 exec, exec, s[4:5]
	v_mov_b32_e32 v110, 0
	ds_read_b64 v[110:111], v110 offset:176
	s_waitcnt lgkmcnt(0)
	v_mul_f64 v[108:109], v[108:109], v[110:111]
	scratch_store_dwordx2 off, v[108:109], off offset:176
.LBB51_718:
	s_or_b64 exec, exec, s[2:3]
	scratch_load_dwordx2 v[108:109], off, off offset:184
	v_cmp_gt_u32_e32 vcc, 23, v0
	s_waitcnt vmcnt(0)
	ds_write_b64 v1, v[108:109]
	s_waitcnt lgkmcnt(0)
	; wave barrier
	s_and_saveexec_b64 s[2:3], vcc
	s_cbranch_execz .LBB51_728
; %bb.719:
	s_and_b64 vcc, exec, s[0:1]
	s_cbranch_vccnz .LBB51_721
; %bb.720:
	scratch_load_dwordx2 v[108:109], v17, off
	ds_read_b64 v[110:111], v1
	s_waitcnt vmcnt(0) lgkmcnt(0)
	v_mul_f64 v[108:109], v[108:109], v[110:111]
	s_cbranch_execz .LBB51_722
	s_branch .LBB51_723
.LBB51_721:
                                        ; implicit-def: $vgpr108_vgpr109
.LBB51_722:
	ds_read_b64 v[108:109], v1
.LBB51_723:
	v_cmp_ne_u32_e32 vcc, 22, v0
	s_and_saveexec_b64 s[4:5], vcc
	s_cbranch_execz .LBB51_727
; %bb.724:
	s_mov_b32 s6, 0
	v_add_u32_e32 v110, 0x1a8, v16
	v_add3_u32 v111, v16, s6, 8
	s_mov_b64 s[6:7], 0
	v_mov_b32_e32 v112, v0
.LBB51_725:                             ; =>This Inner Loop Header: Depth=1
	scratch_load_dwordx2 v[114:115], v111, off
	ds_read_b64 v[116:117], v110
	v_add_u32_e32 v112, 1, v112
	v_cmp_lt_u32_e32 vcc, 21, v112
	v_add_u32_e32 v110, 8, v110
	v_add_u32_e32 v111, 8, v111
	s_or_b64 s[6:7], vcc, s[6:7]
	s_waitcnt vmcnt(0) lgkmcnt(0)
	v_fmac_f64_e32 v[108:109], v[114:115], v[116:117]
	s_andn2_b64 exec, exec, s[6:7]
	s_cbranch_execnz .LBB51_725
; %bb.726:
	s_or_b64 exec, exec, s[6:7]
.LBB51_727:
	s_or_b64 exec, exec, s[4:5]
	v_mov_b32_e32 v110, 0
	ds_read_b64 v[110:111], v110 offset:184
	s_waitcnt lgkmcnt(0)
	v_mul_f64 v[108:109], v[108:109], v[110:111]
	scratch_store_dwordx2 off, v[108:109], off offset:184
.LBB51_728:
	s_or_b64 exec, exec, s[2:3]
	scratch_load_dwordx2 v[108:109], off, off offset:192
	v_cmp_gt_u32_e32 vcc, 24, v0
	s_waitcnt vmcnt(0)
	ds_write_b64 v1, v[108:109]
	s_waitcnt lgkmcnt(0)
	; wave barrier
	s_and_saveexec_b64 s[2:3], vcc
	s_cbranch_execz .LBB51_738
; %bb.729:
	s_and_b64 vcc, exec, s[0:1]
	s_cbranch_vccnz .LBB51_731
; %bb.730:
	scratch_load_dwordx2 v[108:109], v17, off
	ds_read_b64 v[110:111], v1
	s_waitcnt vmcnt(0) lgkmcnt(0)
	v_mul_f64 v[108:109], v[108:109], v[110:111]
	s_cbranch_execz .LBB51_732
	s_branch .LBB51_733
.LBB51_731:
                                        ; implicit-def: $vgpr108_vgpr109
.LBB51_732:
	ds_read_b64 v[108:109], v1
.LBB51_733:
	v_cmp_ne_u32_e32 vcc, 23, v0
	s_and_saveexec_b64 s[4:5], vcc
	s_cbranch_execz .LBB51_737
; %bb.734:
	s_mov_b32 s6, 0
	v_add_u32_e32 v110, 0x1a8, v16
	v_add3_u32 v111, v16, s6, 8
	s_mov_b64 s[6:7], 0
	v_mov_b32_e32 v112, v0
.LBB51_735:                             ; =>This Inner Loop Header: Depth=1
	scratch_load_dwordx2 v[114:115], v111, off
	ds_read_b64 v[116:117], v110
	v_add_u32_e32 v112, 1, v112
	v_cmp_lt_u32_e32 vcc, 22, v112
	v_add_u32_e32 v110, 8, v110
	v_add_u32_e32 v111, 8, v111
	s_or_b64 s[6:7], vcc, s[6:7]
	s_waitcnt vmcnt(0) lgkmcnt(0)
	v_fmac_f64_e32 v[108:109], v[114:115], v[116:117]
	s_andn2_b64 exec, exec, s[6:7]
	s_cbranch_execnz .LBB51_735
; %bb.736:
	s_or_b64 exec, exec, s[6:7]
.LBB51_737:
	s_or_b64 exec, exec, s[4:5]
	v_mov_b32_e32 v110, 0
	ds_read_b64 v[110:111], v110 offset:192
	s_waitcnt lgkmcnt(0)
	v_mul_f64 v[108:109], v[108:109], v[110:111]
	scratch_store_dwordx2 off, v[108:109], off offset:192
.LBB51_738:
	s_or_b64 exec, exec, s[2:3]
	scratch_load_dwordx2 v[108:109], off, off offset:200
	v_cmp_gt_u32_e32 vcc, 25, v0
	s_waitcnt vmcnt(0)
	ds_write_b64 v1, v[108:109]
	s_waitcnt lgkmcnt(0)
	; wave barrier
	s_and_saveexec_b64 s[2:3], vcc
	s_cbranch_execz .LBB51_748
; %bb.739:
	s_and_b64 vcc, exec, s[0:1]
	s_cbranch_vccnz .LBB51_741
; %bb.740:
	scratch_load_dwordx2 v[108:109], v17, off
	ds_read_b64 v[110:111], v1
	s_waitcnt vmcnt(0) lgkmcnt(0)
	v_mul_f64 v[108:109], v[108:109], v[110:111]
	s_cbranch_execz .LBB51_742
	s_branch .LBB51_743
.LBB51_741:
                                        ; implicit-def: $vgpr108_vgpr109
.LBB51_742:
	ds_read_b64 v[108:109], v1
.LBB51_743:
	v_cmp_ne_u32_e32 vcc, 24, v0
	s_and_saveexec_b64 s[4:5], vcc
	s_cbranch_execz .LBB51_747
; %bb.744:
	s_mov_b32 s6, 0
	v_add_u32_e32 v110, 0x1a8, v16
	v_add3_u32 v111, v16, s6, 8
	s_mov_b64 s[6:7], 0
	v_mov_b32_e32 v112, v0
.LBB51_745:                             ; =>This Inner Loop Header: Depth=1
	scratch_load_dwordx2 v[114:115], v111, off
	ds_read_b64 v[116:117], v110
	v_add_u32_e32 v112, 1, v112
	v_cmp_lt_u32_e32 vcc, 23, v112
	v_add_u32_e32 v110, 8, v110
	v_add_u32_e32 v111, 8, v111
	s_or_b64 s[6:7], vcc, s[6:7]
	s_waitcnt vmcnt(0) lgkmcnt(0)
	v_fmac_f64_e32 v[108:109], v[114:115], v[116:117]
	s_andn2_b64 exec, exec, s[6:7]
	s_cbranch_execnz .LBB51_745
; %bb.746:
	s_or_b64 exec, exec, s[6:7]
.LBB51_747:
	s_or_b64 exec, exec, s[4:5]
	v_mov_b32_e32 v110, 0
	ds_read_b64 v[110:111], v110 offset:200
	s_waitcnt lgkmcnt(0)
	v_mul_f64 v[108:109], v[108:109], v[110:111]
	scratch_store_dwordx2 off, v[108:109], off offset:200
.LBB51_748:
	s_or_b64 exec, exec, s[2:3]
	scratch_load_dwordx2 v[108:109], off, off offset:208
	v_cmp_gt_u32_e32 vcc, 26, v0
	s_waitcnt vmcnt(0)
	ds_write_b64 v1, v[108:109]
	s_waitcnt lgkmcnt(0)
	; wave barrier
	s_and_saveexec_b64 s[2:3], vcc
	s_cbranch_execz .LBB51_758
; %bb.749:
	s_and_b64 vcc, exec, s[0:1]
	s_cbranch_vccnz .LBB51_751
; %bb.750:
	scratch_load_dwordx2 v[108:109], v17, off
	ds_read_b64 v[110:111], v1
	s_waitcnt vmcnt(0) lgkmcnt(0)
	v_mul_f64 v[108:109], v[108:109], v[110:111]
	s_cbranch_execz .LBB51_752
	s_branch .LBB51_753
.LBB51_751:
                                        ; implicit-def: $vgpr108_vgpr109
.LBB51_752:
	ds_read_b64 v[108:109], v1
.LBB51_753:
	v_cmp_ne_u32_e32 vcc, 25, v0
	s_and_saveexec_b64 s[4:5], vcc
	s_cbranch_execz .LBB51_757
; %bb.754:
	s_mov_b32 s6, 0
	v_add_u32_e32 v110, 0x1a8, v16
	v_add3_u32 v111, v16, s6, 8
	s_mov_b64 s[6:7], 0
	v_mov_b32_e32 v112, v0
.LBB51_755:                             ; =>This Inner Loop Header: Depth=1
	scratch_load_dwordx2 v[114:115], v111, off
	ds_read_b64 v[116:117], v110
	v_add_u32_e32 v112, 1, v112
	v_cmp_lt_u32_e32 vcc, 24, v112
	v_add_u32_e32 v110, 8, v110
	v_add_u32_e32 v111, 8, v111
	s_or_b64 s[6:7], vcc, s[6:7]
	s_waitcnt vmcnt(0) lgkmcnt(0)
	v_fmac_f64_e32 v[108:109], v[114:115], v[116:117]
	s_andn2_b64 exec, exec, s[6:7]
	s_cbranch_execnz .LBB51_755
; %bb.756:
	s_or_b64 exec, exec, s[6:7]
.LBB51_757:
	s_or_b64 exec, exec, s[4:5]
	v_mov_b32_e32 v110, 0
	ds_read_b64 v[110:111], v110 offset:208
	s_waitcnt lgkmcnt(0)
	v_mul_f64 v[108:109], v[108:109], v[110:111]
	scratch_store_dwordx2 off, v[108:109], off offset:208
.LBB51_758:
	s_or_b64 exec, exec, s[2:3]
	scratch_load_dwordx2 v[108:109], off, off offset:216
	v_cmp_gt_u32_e32 vcc, 27, v0
	s_waitcnt vmcnt(0)
	ds_write_b64 v1, v[108:109]
	s_waitcnt lgkmcnt(0)
	; wave barrier
	s_and_saveexec_b64 s[2:3], vcc
	s_cbranch_execz .LBB51_768
; %bb.759:
	s_and_b64 vcc, exec, s[0:1]
	s_cbranch_vccnz .LBB51_761
; %bb.760:
	scratch_load_dwordx2 v[108:109], v17, off
	ds_read_b64 v[110:111], v1
	s_waitcnt vmcnt(0) lgkmcnt(0)
	v_mul_f64 v[108:109], v[108:109], v[110:111]
	s_cbranch_execz .LBB51_762
	s_branch .LBB51_763
.LBB51_761:
                                        ; implicit-def: $vgpr108_vgpr109
.LBB51_762:
	ds_read_b64 v[108:109], v1
.LBB51_763:
	v_cmp_ne_u32_e32 vcc, 26, v0
	s_and_saveexec_b64 s[4:5], vcc
	s_cbranch_execz .LBB51_767
; %bb.764:
	s_mov_b32 s6, 0
	v_add_u32_e32 v110, 0x1a8, v16
	v_add3_u32 v111, v16, s6, 8
	s_mov_b64 s[6:7], 0
	v_mov_b32_e32 v112, v0
.LBB51_765:                             ; =>This Inner Loop Header: Depth=1
	scratch_load_dwordx2 v[114:115], v111, off
	ds_read_b64 v[116:117], v110
	v_add_u32_e32 v112, 1, v112
	v_cmp_lt_u32_e32 vcc, 25, v112
	v_add_u32_e32 v110, 8, v110
	v_add_u32_e32 v111, 8, v111
	s_or_b64 s[6:7], vcc, s[6:7]
	s_waitcnt vmcnt(0) lgkmcnt(0)
	v_fmac_f64_e32 v[108:109], v[114:115], v[116:117]
	s_andn2_b64 exec, exec, s[6:7]
	s_cbranch_execnz .LBB51_765
; %bb.766:
	s_or_b64 exec, exec, s[6:7]
.LBB51_767:
	s_or_b64 exec, exec, s[4:5]
	v_mov_b32_e32 v110, 0
	ds_read_b64 v[110:111], v110 offset:216
	s_waitcnt lgkmcnt(0)
	v_mul_f64 v[108:109], v[108:109], v[110:111]
	scratch_store_dwordx2 off, v[108:109], off offset:216
.LBB51_768:
	s_or_b64 exec, exec, s[2:3]
	scratch_load_dwordx2 v[108:109], off, off offset:224
	v_cmp_gt_u32_e32 vcc, 28, v0
	s_waitcnt vmcnt(0)
	ds_write_b64 v1, v[108:109]
	s_waitcnt lgkmcnt(0)
	; wave barrier
	s_and_saveexec_b64 s[2:3], vcc
	s_cbranch_execz .LBB51_778
; %bb.769:
	s_and_b64 vcc, exec, s[0:1]
	s_cbranch_vccnz .LBB51_771
; %bb.770:
	scratch_load_dwordx2 v[108:109], v17, off
	ds_read_b64 v[110:111], v1
	s_waitcnt vmcnt(0) lgkmcnt(0)
	v_mul_f64 v[108:109], v[108:109], v[110:111]
	s_cbranch_execz .LBB51_772
	s_branch .LBB51_773
.LBB51_771:
                                        ; implicit-def: $vgpr108_vgpr109
.LBB51_772:
	ds_read_b64 v[108:109], v1
.LBB51_773:
	v_cmp_ne_u32_e32 vcc, 27, v0
	s_and_saveexec_b64 s[4:5], vcc
	s_cbranch_execz .LBB51_777
; %bb.774:
	s_mov_b32 s6, 0
	v_add_u32_e32 v110, 0x1a8, v16
	v_add3_u32 v111, v16, s6, 8
	s_mov_b64 s[6:7], 0
	v_mov_b32_e32 v112, v0
.LBB51_775:                             ; =>This Inner Loop Header: Depth=1
	scratch_load_dwordx2 v[114:115], v111, off
	ds_read_b64 v[116:117], v110
	v_add_u32_e32 v112, 1, v112
	v_cmp_lt_u32_e32 vcc, 26, v112
	v_add_u32_e32 v110, 8, v110
	v_add_u32_e32 v111, 8, v111
	s_or_b64 s[6:7], vcc, s[6:7]
	s_waitcnt vmcnt(0) lgkmcnt(0)
	v_fmac_f64_e32 v[108:109], v[114:115], v[116:117]
	s_andn2_b64 exec, exec, s[6:7]
	s_cbranch_execnz .LBB51_775
; %bb.776:
	s_or_b64 exec, exec, s[6:7]
.LBB51_777:
	s_or_b64 exec, exec, s[4:5]
	v_mov_b32_e32 v110, 0
	ds_read_b64 v[110:111], v110 offset:224
	s_waitcnt lgkmcnt(0)
	v_mul_f64 v[108:109], v[108:109], v[110:111]
	scratch_store_dwordx2 off, v[108:109], off offset:224
.LBB51_778:
	s_or_b64 exec, exec, s[2:3]
	scratch_load_dwordx2 v[108:109], off, off offset:232
	v_cmp_gt_u32_e32 vcc, 29, v0
	s_waitcnt vmcnt(0)
	ds_write_b64 v1, v[108:109]
	s_waitcnt lgkmcnt(0)
	; wave barrier
	s_and_saveexec_b64 s[2:3], vcc
	s_cbranch_execz .LBB51_788
; %bb.779:
	s_and_b64 vcc, exec, s[0:1]
	s_cbranch_vccnz .LBB51_781
; %bb.780:
	scratch_load_dwordx2 v[108:109], v17, off
	ds_read_b64 v[110:111], v1
	s_waitcnt vmcnt(0) lgkmcnt(0)
	v_mul_f64 v[108:109], v[108:109], v[110:111]
	s_cbranch_execz .LBB51_782
	s_branch .LBB51_783
.LBB51_781:
                                        ; implicit-def: $vgpr108_vgpr109
.LBB51_782:
	ds_read_b64 v[108:109], v1
.LBB51_783:
	v_cmp_ne_u32_e32 vcc, 28, v0
	s_and_saveexec_b64 s[4:5], vcc
	s_cbranch_execz .LBB51_787
; %bb.784:
	s_mov_b32 s6, 0
	v_add_u32_e32 v110, 0x1a8, v16
	v_add3_u32 v111, v16, s6, 8
	s_mov_b64 s[6:7], 0
	v_mov_b32_e32 v112, v0
.LBB51_785:                             ; =>This Inner Loop Header: Depth=1
	scratch_load_dwordx2 v[114:115], v111, off
	ds_read_b64 v[116:117], v110
	v_add_u32_e32 v112, 1, v112
	v_cmp_lt_u32_e32 vcc, 27, v112
	v_add_u32_e32 v110, 8, v110
	v_add_u32_e32 v111, 8, v111
	s_or_b64 s[6:7], vcc, s[6:7]
	s_waitcnt vmcnt(0) lgkmcnt(0)
	v_fmac_f64_e32 v[108:109], v[114:115], v[116:117]
	s_andn2_b64 exec, exec, s[6:7]
	s_cbranch_execnz .LBB51_785
; %bb.786:
	s_or_b64 exec, exec, s[6:7]
.LBB51_787:
	s_or_b64 exec, exec, s[4:5]
	v_mov_b32_e32 v110, 0
	ds_read_b64 v[110:111], v110 offset:232
	s_waitcnt lgkmcnt(0)
	v_mul_f64 v[108:109], v[108:109], v[110:111]
	scratch_store_dwordx2 off, v[108:109], off offset:232
.LBB51_788:
	s_or_b64 exec, exec, s[2:3]
	scratch_load_dwordx2 v[108:109], off, off offset:240
	v_cmp_gt_u32_e32 vcc, 30, v0
	s_waitcnt vmcnt(0)
	ds_write_b64 v1, v[108:109]
	s_waitcnt lgkmcnt(0)
	; wave barrier
	s_and_saveexec_b64 s[2:3], vcc
	s_cbranch_execz .LBB51_798
; %bb.789:
	s_and_b64 vcc, exec, s[0:1]
	s_cbranch_vccnz .LBB51_791
; %bb.790:
	scratch_load_dwordx2 v[108:109], v17, off
	ds_read_b64 v[110:111], v1
	s_waitcnt vmcnt(0) lgkmcnt(0)
	v_mul_f64 v[108:109], v[108:109], v[110:111]
	s_cbranch_execz .LBB51_792
	s_branch .LBB51_793
.LBB51_791:
                                        ; implicit-def: $vgpr108_vgpr109
.LBB51_792:
	ds_read_b64 v[108:109], v1
.LBB51_793:
	v_cmp_ne_u32_e32 vcc, 29, v0
	s_and_saveexec_b64 s[4:5], vcc
	s_cbranch_execz .LBB51_797
; %bb.794:
	s_mov_b32 s6, 0
	v_add_u32_e32 v110, 0x1a8, v16
	v_add3_u32 v111, v16, s6, 8
	s_mov_b64 s[6:7], 0
	v_mov_b32_e32 v112, v0
.LBB51_795:                             ; =>This Inner Loop Header: Depth=1
	scratch_load_dwordx2 v[114:115], v111, off
	ds_read_b64 v[116:117], v110
	v_add_u32_e32 v112, 1, v112
	v_cmp_lt_u32_e32 vcc, 28, v112
	v_add_u32_e32 v110, 8, v110
	v_add_u32_e32 v111, 8, v111
	s_or_b64 s[6:7], vcc, s[6:7]
	s_waitcnt vmcnt(0) lgkmcnt(0)
	v_fmac_f64_e32 v[108:109], v[114:115], v[116:117]
	s_andn2_b64 exec, exec, s[6:7]
	s_cbranch_execnz .LBB51_795
; %bb.796:
	s_or_b64 exec, exec, s[6:7]
.LBB51_797:
	s_or_b64 exec, exec, s[4:5]
	v_mov_b32_e32 v110, 0
	ds_read_b64 v[110:111], v110 offset:240
	s_waitcnt lgkmcnt(0)
	v_mul_f64 v[108:109], v[108:109], v[110:111]
	scratch_store_dwordx2 off, v[108:109], off offset:240
.LBB51_798:
	s_or_b64 exec, exec, s[2:3]
	scratch_load_dwordx2 v[108:109], off, off offset:248
	v_cmp_gt_u32_e32 vcc, 31, v0
	s_waitcnt vmcnt(0)
	ds_write_b64 v1, v[108:109]
	s_waitcnt lgkmcnt(0)
	; wave barrier
	s_and_saveexec_b64 s[2:3], vcc
	s_cbranch_execz .LBB51_808
; %bb.799:
	s_and_b64 vcc, exec, s[0:1]
	s_cbranch_vccnz .LBB51_801
; %bb.800:
	scratch_load_dwordx2 v[108:109], v17, off
	ds_read_b64 v[110:111], v1
	s_waitcnt vmcnt(0) lgkmcnt(0)
	v_mul_f64 v[108:109], v[108:109], v[110:111]
	s_cbranch_execz .LBB51_802
	s_branch .LBB51_803
.LBB51_801:
                                        ; implicit-def: $vgpr108_vgpr109
.LBB51_802:
	ds_read_b64 v[108:109], v1
.LBB51_803:
	v_cmp_ne_u32_e32 vcc, 30, v0
	s_and_saveexec_b64 s[4:5], vcc
	s_cbranch_execz .LBB51_807
; %bb.804:
	s_mov_b32 s6, 0
	v_add_u32_e32 v110, 0x1a8, v16
	v_add3_u32 v111, v16, s6, 8
	s_mov_b64 s[6:7], 0
	v_mov_b32_e32 v112, v0
.LBB51_805:                             ; =>This Inner Loop Header: Depth=1
	scratch_load_dwordx2 v[114:115], v111, off
	ds_read_b64 v[116:117], v110
	v_add_u32_e32 v112, 1, v112
	v_cmp_lt_u32_e32 vcc, 29, v112
	v_add_u32_e32 v110, 8, v110
	v_add_u32_e32 v111, 8, v111
	s_or_b64 s[6:7], vcc, s[6:7]
	s_waitcnt vmcnt(0) lgkmcnt(0)
	v_fmac_f64_e32 v[108:109], v[114:115], v[116:117]
	s_andn2_b64 exec, exec, s[6:7]
	s_cbranch_execnz .LBB51_805
; %bb.806:
	s_or_b64 exec, exec, s[6:7]
.LBB51_807:
	s_or_b64 exec, exec, s[4:5]
	v_mov_b32_e32 v110, 0
	ds_read_b64 v[110:111], v110 offset:248
	s_waitcnt lgkmcnt(0)
	v_mul_f64 v[108:109], v[108:109], v[110:111]
	scratch_store_dwordx2 off, v[108:109], off offset:248
.LBB51_808:
	s_or_b64 exec, exec, s[2:3]
	scratch_load_dwordx2 v[108:109], off, off offset:256
	v_cmp_gt_u32_e32 vcc, 32, v0
	s_waitcnt vmcnt(0)
	ds_write_b64 v1, v[108:109]
	s_waitcnt lgkmcnt(0)
	; wave barrier
	s_and_saveexec_b64 s[2:3], vcc
	s_cbranch_execz .LBB51_818
; %bb.809:
	s_and_b64 vcc, exec, s[0:1]
	s_cbranch_vccnz .LBB51_811
; %bb.810:
	scratch_load_dwordx2 v[108:109], v17, off
	ds_read_b64 v[110:111], v1
	s_waitcnt vmcnt(0) lgkmcnt(0)
	v_mul_f64 v[108:109], v[108:109], v[110:111]
	s_cbranch_execz .LBB51_812
	s_branch .LBB51_813
.LBB51_811:
                                        ; implicit-def: $vgpr108_vgpr109
.LBB51_812:
	ds_read_b64 v[108:109], v1
.LBB51_813:
	v_cmp_ne_u32_e32 vcc, 31, v0
	s_and_saveexec_b64 s[4:5], vcc
	s_cbranch_execz .LBB51_817
; %bb.814:
	s_mov_b32 s6, 0
	v_add_u32_e32 v110, 0x1a8, v16
	v_add3_u32 v111, v16, s6, 8
	s_mov_b64 s[6:7], 0
	v_mov_b32_e32 v112, v0
.LBB51_815:                             ; =>This Inner Loop Header: Depth=1
	scratch_load_dwordx2 v[114:115], v111, off
	ds_read_b64 v[116:117], v110
	v_add_u32_e32 v112, 1, v112
	v_cmp_lt_u32_e32 vcc, 30, v112
	v_add_u32_e32 v110, 8, v110
	v_add_u32_e32 v111, 8, v111
	s_or_b64 s[6:7], vcc, s[6:7]
	s_waitcnt vmcnt(0) lgkmcnt(0)
	v_fmac_f64_e32 v[108:109], v[114:115], v[116:117]
	s_andn2_b64 exec, exec, s[6:7]
	s_cbranch_execnz .LBB51_815
; %bb.816:
	s_or_b64 exec, exec, s[6:7]
.LBB51_817:
	s_or_b64 exec, exec, s[4:5]
	v_mov_b32_e32 v110, 0
	ds_read_b64 v[110:111], v110 offset:256
	s_waitcnt lgkmcnt(0)
	v_mul_f64 v[108:109], v[108:109], v[110:111]
	scratch_store_dwordx2 off, v[108:109], off offset:256
.LBB51_818:
	s_or_b64 exec, exec, s[2:3]
	scratch_load_dwordx2 v[108:109], off, off offset:264
	v_cmp_gt_u32_e32 vcc, 33, v0
	s_waitcnt vmcnt(0)
	ds_write_b64 v1, v[108:109]
	s_waitcnt lgkmcnt(0)
	; wave barrier
	s_and_saveexec_b64 s[2:3], vcc
	s_cbranch_execz .LBB51_828
; %bb.819:
	s_and_b64 vcc, exec, s[0:1]
	s_cbranch_vccnz .LBB51_821
; %bb.820:
	scratch_load_dwordx2 v[108:109], v17, off
	ds_read_b64 v[110:111], v1
	s_waitcnt vmcnt(0) lgkmcnt(0)
	v_mul_f64 v[108:109], v[108:109], v[110:111]
	s_cbranch_execz .LBB51_822
	s_branch .LBB51_823
.LBB51_821:
                                        ; implicit-def: $vgpr108_vgpr109
.LBB51_822:
	ds_read_b64 v[108:109], v1
.LBB51_823:
	v_cmp_ne_u32_e32 vcc, 32, v0
	s_and_saveexec_b64 s[4:5], vcc
	s_cbranch_execz .LBB51_827
; %bb.824:
	s_mov_b32 s6, 0
	v_add_u32_e32 v110, 0x1a8, v16
	v_add3_u32 v111, v16, s6, 8
	s_mov_b64 s[6:7], 0
	v_mov_b32_e32 v112, v0
.LBB51_825:                             ; =>This Inner Loop Header: Depth=1
	scratch_load_dwordx2 v[114:115], v111, off
	ds_read_b64 v[116:117], v110
	v_add_u32_e32 v112, 1, v112
	v_cmp_lt_u32_e32 vcc, 31, v112
	v_add_u32_e32 v110, 8, v110
	v_add_u32_e32 v111, 8, v111
	s_or_b64 s[6:7], vcc, s[6:7]
	s_waitcnt vmcnt(0) lgkmcnt(0)
	v_fmac_f64_e32 v[108:109], v[114:115], v[116:117]
	s_andn2_b64 exec, exec, s[6:7]
	s_cbranch_execnz .LBB51_825
; %bb.826:
	s_or_b64 exec, exec, s[6:7]
.LBB51_827:
	s_or_b64 exec, exec, s[4:5]
	v_mov_b32_e32 v110, 0
	ds_read_b64 v[110:111], v110 offset:264
	s_waitcnt lgkmcnt(0)
	v_mul_f64 v[108:109], v[108:109], v[110:111]
	scratch_store_dwordx2 off, v[108:109], off offset:264
.LBB51_828:
	s_or_b64 exec, exec, s[2:3]
	scratch_load_dwordx2 v[108:109], off, off offset:272
	v_cmp_gt_u32_e32 vcc, 34, v0
	s_waitcnt vmcnt(0)
	ds_write_b64 v1, v[108:109]
	s_waitcnt lgkmcnt(0)
	; wave barrier
	s_and_saveexec_b64 s[2:3], vcc
	s_cbranch_execz .LBB51_838
; %bb.829:
	s_and_b64 vcc, exec, s[0:1]
	s_cbranch_vccnz .LBB51_831
; %bb.830:
	scratch_load_dwordx2 v[108:109], v17, off
	ds_read_b64 v[110:111], v1
	s_waitcnt vmcnt(0) lgkmcnt(0)
	v_mul_f64 v[108:109], v[108:109], v[110:111]
	s_cbranch_execz .LBB51_832
	s_branch .LBB51_833
.LBB51_831:
                                        ; implicit-def: $vgpr108_vgpr109
.LBB51_832:
	ds_read_b64 v[108:109], v1
.LBB51_833:
	v_cmp_ne_u32_e32 vcc, 33, v0
	s_and_saveexec_b64 s[4:5], vcc
	s_cbranch_execz .LBB51_837
; %bb.834:
	s_mov_b32 s6, 0
	v_add_u32_e32 v110, 0x1a8, v16
	v_add3_u32 v111, v16, s6, 8
	s_mov_b64 s[6:7], 0
	v_mov_b32_e32 v112, v0
.LBB51_835:                             ; =>This Inner Loop Header: Depth=1
	scratch_load_dwordx2 v[114:115], v111, off
	ds_read_b64 v[116:117], v110
	v_add_u32_e32 v112, 1, v112
	v_cmp_lt_u32_e32 vcc, 32, v112
	v_add_u32_e32 v110, 8, v110
	v_add_u32_e32 v111, 8, v111
	s_or_b64 s[6:7], vcc, s[6:7]
	s_waitcnt vmcnt(0) lgkmcnt(0)
	v_fmac_f64_e32 v[108:109], v[114:115], v[116:117]
	s_andn2_b64 exec, exec, s[6:7]
	s_cbranch_execnz .LBB51_835
; %bb.836:
	s_or_b64 exec, exec, s[6:7]
.LBB51_837:
	s_or_b64 exec, exec, s[4:5]
	v_mov_b32_e32 v110, 0
	ds_read_b64 v[110:111], v110 offset:272
	s_waitcnt lgkmcnt(0)
	v_mul_f64 v[108:109], v[108:109], v[110:111]
	scratch_store_dwordx2 off, v[108:109], off offset:272
.LBB51_838:
	s_or_b64 exec, exec, s[2:3]
	scratch_load_dwordx2 v[108:109], off, off offset:280
	v_cmp_gt_u32_e32 vcc, 35, v0
	s_waitcnt vmcnt(0)
	ds_write_b64 v1, v[108:109]
	s_waitcnt lgkmcnt(0)
	; wave barrier
	s_and_saveexec_b64 s[2:3], vcc
	s_cbranch_execz .LBB51_848
; %bb.839:
	s_and_b64 vcc, exec, s[0:1]
	s_cbranch_vccnz .LBB51_841
; %bb.840:
	scratch_load_dwordx2 v[108:109], v17, off
	ds_read_b64 v[110:111], v1
	s_waitcnt vmcnt(0) lgkmcnt(0)
	v_mul_f64 v[108:109], v[108:109], v[110:111]
	s_cbranch_execz .LBB51_842
	s_branch .LBB51_843
.LBB51_841:
                                        ; implicit-def: $vgpr108_vgpr109
.LBB51_842:
	ds_read_b64 v[108:109], v1
.LBB51_843:
	v_cmp_ne_u32_e32 vcc, 34, v0
	s_and_saveexec_b64 s[4:5], vcc
	s_cbranch_execz .LBB51_847
; %bb.844:
	s_mov_b32 s6, 0
	v_add_u32_e32 v110, 0x1a8, v16
	v_add3_u32 v111, v16, s6, 8
	s_mov_b64 s[6:7], 0
	v_mov_b32_e32 v112, v0
.LBB51_845:                             ; =>This Inner Loop Header: Depth=1
	scratch_load_dwordx2 v[114:115], v111, off
	ds_read_b64 v[116:117], v110
	v_add_u32_e32 v112, 1, v112
	v_cmp_lt_u32_e32 vcc, 33, v112
	v_add_u32_e32 v110, 8, v110
	v_add_u32_e32 v111, 8, v111
	s_or_b64 s[6:7], vcc, s[6:7]
	s_waitcnt vmcnt(0) lgkmcnt(0)
	v_fmac_f64_e32 v[108:109], v[114:115], v[116:117]
	s_andn2_b64 exec, exec, s[6:7]
	s_cbranch_execnz .LBB51_845
; %bb.846:
	s_or_b64 exec, exec, s[6:7]
.LBB51_847:
	s_or_b64 exec, exec, s[4:5]
	v_mov_b32_e32 v110, 0
	ds_read_b64 v[110:111], v110 offset:280
	s_waitcnt lgkmcnt(0)
	v_mul_f64 v[108:109], v[108:109], v[110:111]
	scratch_store_dwordx2 off, v[108:109], off offset:280
.LBB51_848:
	s_or_b64 exec, exec, s[2:3]
	scratch_load_dwordx2 v[108:109], off, off offset:288
	v_cmp_gt_u32_e32 vcc, 36, v0
	s_waitcnt vmcnt(0)
	ds_write_b64 v1, v[108:109]
	s_waitcnt lgkmcnt(0)
	; wave barrier
	s_and_saveexec_b64 s[2:3], vcc
	s_cbranch_execz .LBB51_858
; %bb.849:
	s_and_b64 vcc, exec, s[0:1]
	s_cbranch_vccnz .LBB51_851
; %bb.850:
	scratch_load_dwordx2 v[108:109], v17, off
	ds_read_b64 v[110:111], v1
	s_waitcnt vmcnt(0) lgkmcnt(0)
	v_mul_f64 v[108:109], v[108:109], v[110:111]
	s_cbranch_execz .LBB51_852
	s_branch .LBB51_853
.LBB51_851:
                                        ; implicit-def: $vgpr108_vgpr109
.LBB51_852:
	ds_read_b64 v[108:109], v1
.LBB51_853:
	v_cmp_ne_u32_e32 vcc, 35, v0
	s_and_saveexec_b64 s[4:5], vcc
	s_cbranch_execz .LBB51_857
; %bb.854:
	s_mov_b32 s6, 0
	v_add_u32_e32 v110, 0x1a8, v16
	v_add3_u32 v111, v16, s6, 8
	s_mov_b64 s[6:7], 0
	v_mov_b32_e32 v112, v0
.LBB51_855:                             ; =>This Inner Loop Header: Depth=1
	scratch_load_dwordx2 v[114:115], v111, off
	ds_read_b64 v[116:117], v110
	v_add_u32_e32 v112, 1, v112
	v_cmp_lt_u32_e32 vcc, 34, v112
	v_add_u32_e32 v110, 8, v110
	v_add_u32_e32 v111, 8, v111
	s_or_b64 s[6:7], vcc, s[6:7]
	s_waitcnt vmcnt(0) lgkmcnt(0)
	v_fmac_f64_e32 v[108:109], v[114:115], v[116:117]
	s_andn2_b64 exec, exec, s[6:7]
	s_cbranch_execnz .LBB51_855
; %bb.856:
	s_or_b64 exec, exec, s[6:7]
.LBB51_857:
	s_or_b64 exec, exec, s[4:5]
	v_mov_b32_e32 v110, 0
	ds_read_b64 v[110:111], v110 offset:288
	s_waitcnt lgkmcnt(0)
	v_mul_f64 v[108:109], v[108:109], v[110:111]
	scratch_store_dwordx2 off, v[108:109], off offset:288
.LBB51_858:
	s_or_b64 exec, exec, s[2:3]
	scratch_load_dwordx2 v[108:109], off, off offset:296
	v_cmp_gt_u32_e32 vcc, 37, v0
	s_waitcnt vmcnt(0)
	ds_write_b64 v1, v[108:109]
	s_waitcnt lgkmcnt(0)
	; wave barrier
	s_and_saveexec_b64 s[2:3], vcc
	s_cbranch_execz .LBB51_868
; %bb.859:
	s_and_b64 vcc, exec, s[0:1]
	s_cbranch_vccnz .LBB51_861
; %bb.860:
	scratch_load_dwordx2 v[108:109], v17, off
	ds_read_b64 v[110:111], v1
	s_waitcnt vmcnt(0) lgkmcnt(0)
	v_mul_f64 v[108:109], v[108:109], v[110:111]
	s_cbranch_execz .LBB51_862
	s_branch .LBB51_863
.LBB51_861:
                                        ; implicit-def: $vgpr108_vgpr109
.LBB51_862:
	ds_read_b64 v[108:109], v1
.LBB51_863:
	v_cmp_ne_u32_e32 vcc, 36, v0
	s_and_saveexec_b64 s[4:5], vcc
	s_cbranch_execz .LBB51_867
; %bb.864:
	s_mov_b32 s6, 0
	v_add_u32_e32 v110, 0x1a8, v16
	v_add3_u32 v111, v16, s6, 8
	s_mov_b64 s[6:7], 0
	v_mov_b32_e32 v112, v0
.LBB51_865:                             ; =>This Inner Loop Header: Depth=1
	scratch_load_dwordx2 v[114:115], v111, off
	ds_read_b64 v[116:117], v110
	v_add_u32_e32 v112, 1, v112
	v_cmp_lt_u32_e32 vcc, 35, v112
	v_add_u32_e32 v110, 8, v110
	v_add_u32_e32 v111, 8, v111
	s_or_b64 s[6:7], vcc, s[6:7]
	s_waitcnt vmcnt(0) lgkmcnt(0)
	v_fmac_f64_e32 v[108:109], v[114:115], v[116:117]
	s_andn2_b64 exec, exec, s[6:7]
	s_cbranch_execnz .LBB51_865
; %bb.866:
	s_or_b64 exec, exec, s[6:7]
.LBB51_867:
	s_or_b64 exec, exec, s[4:5]
	v_mov_b32_e32 v110, 0
	ds_read_b64 v[110:111], v110 offset:296
	s_waitcnt lgkmcnt(0)
	v_mul_f64 v[108:109], v[108:109], v[110:111]
	scratch_store_dwordx2 off, v[108:109], off offset:296
.LBB51_868:
	s_or_b64 exec, exec, s[2:3]
	scratch_load_dwordx2 v[108:109], off, off offset:304
	v_cmp_gt_u32_e32 vcc, 38, v0
	s_waitcnt vmcnt(0)
	ds_write_b64 v1, v[108:109]
	s_waitcnt lgkmcnt(0)
	; wave barrier
	s_and_saveexec_b64 s[2:3], vcc
	s_cbranch_execz .LBB51_878
; %bb.869:
	s_and_b64 vcc, exec, s[0:1]
	s_cbranch_vccnz .LBB51_871
; %bb.870:
	scratch_load_dwordx2 v[108:109], v17, off
	ds_read_b64 v[110:111], v1
	s_waitcnt vmcnt(0) lgkmcnt(0)
	v_mul_f64 v[108:109], v[108:109], v[110:111]
	s_cbranch_execz .LBB51_872
	s_branch .LBB51_873
.LBB51_871:
                                        ; implicit-def: $vgpr108_vgpr109
.LBB51_872:
	ds_read_b64 v[108:109], v1
.LBB51_873:
	v_cmp_ne_u32_e32 vcc, 37, v0
	s_and_saveexec_b64 s[4:5], vcc
	s_cbranch_execz .LBB51_877
; %bb.874:
	s_mov_b32 s6, 0
	v_add_u32_e32 v110, 0x1a8, v16
	v_add3_u32 v111, v16, s6, 8
	s_mov_b64 s[6:7], 0
	v_mov_b32_e32 v112, v0
.LBB51_875:                             ; =>This Inner Loop Header: Depth=1
	scratch_load_dwordx2 v[114:115], v111, off
	ds_read_b64 v[116:117], v110
	v_add_u32_e32 v112, 1, v112
	v_cmp_lt_u32_e32 vcc, 36, v112
	v_add_u32_e32 v110, 8, v110
	v_add_u32_e32 v111, 8, v111
	s_or_b64 s[6:7], vcc, s[6:7]
	s_waitcnt vmcnt(0) lgkmcnt(0)
	v_fmac_f64_e32 v[108:109], v[114:115], v[116:117]
	s_andn2_b64 exec, exec, s[6:7]
	s_cbranch_execnz .LBB51_875
; %bb.876:
	s_or_b64 exec, exec, s[6:7]
.LBB51_877:
	s_or_b64 exec, exec, s[4:5]
	v_mov_b32_e32 v110, 0
	ds_read_b64 v[110:111], v110 offset:304
	s_waitcnt lgkmcnt(0)
	v_mul_f64 v[108:109], v[108:109], v[110:111]
	scratch_store_dwordx2 off, v[108:109], off offset:304
.LBB51_878:
	s_or_b64 exec, exec, s[2:3]
	scratch_load_dwordx2 v[108:109], off, off offset:312
	v_cmp_gt_u32_e32 vcc, 39, v0
	s_waitcnt vmcnt(0)
	ds_write_b64 v1, v[108:109]
	s_waitcnt lgkmcnt(0)
	; wave barrier
	s_and_saveexec_b64 s[2:3], vcc
	s_cbranch_execz .LBB51_888
; %bb.879:
	s_and_b64 vcc, exec, s[0:1]
	s_cbranch_vccnz .LBB51_881
; %bb.880:
	scratch_load_dwordx2 v[108:109], v17, off
	ds_read_b64 v[110:111], v1
	s_waitcnt vmcnt(0) lgkmcnt(0)
	v_mul_f64 v[108:109], v[108:109], v[110:111]
	s_cbranch_execz .LBB51_882
	s_branch .LBB51_883
.LBB51_881:
                                        ; implicit-def: $vgpr108_vgpr109
.LBB51_882:
	ds_read_b64 v[108:109], v1
.LBB51_883:
	v_cmp_ne_u32_e32 vcc, 38, v0
	s_and_saveexec_b64 s[4:5], vcc
	s_cbranch_execz .LBB51_887
; %bb.884:
	s_mov_b32 s6, 0
	v_add_u32_e32 v110, 0x1a8, v16
	v_add3_u32 v111, v16, s6, 8
	s_mov_b64 s[6:7], 0
	v_mov_b32_e32 v112, v0
.LBB51_885:                             ; =>This Inner Loop Header: Depth=1
	scratch_load_dwordx2 v[114:115], v111, off
	ds_read_b64 v[116:117], v110
	v_add_u32_e32 v112, 1, v112
	v_cmp_lt_u32_e32 vcc, 37, v112
	v_add_u32_e32 v110, 8, v110
	v_add_u32_e32 v111, 8, v111
	s_or_b64 s[6:7], vcc, s[6:7]
	s_waitcnt vmcnt(0) lgkmcnt(0)
	v_fmac_f64_e32 v[108:109], v[114:115], v[116:117]
	s_andn2_b64 exec, exec, s[6:7]
	s_cbranch_execnz .LBB51_885
; %bb.886:
	s_or_b64 exec, exec, s[6:7]
.LBB51_887:
	s_or_b64 exec, exec, s[4:5]
	v_mov_b32_e32 v110, 0
	ds_read_b64 v[110:111], v110 offset:312
	s_waitcnt lgkmcnt(0)
	v_mul_f64 v[108:109], v[108:109], v[110:111]
	scratch_store_dwordx2 off, v[108:109], off offset:312
.LBB51_888:
	s_or_b64 exec, exec, s[2:3]
	scratch_load_dwordx2 v[108:109], off, off offset:320
	v_cmp_gt_u32_e32 vcc, 40, v0
	s_waitcnt vmcnt(0)
	ds_write_b64 v1, v[108:109]
	s_waitcnt lgkmcnt(0)
	; wave barrier
	s_and_saveexec_b64 s[2:3], vcc
	s_cbranch_execz .LBB51_898
; %bb.889:
	s_and_b64 vcc, exec, s[0:1]
	s_cbranch_vccnz .LBB51_891
; %bb.890:
	scratch_load_dwordx2 v[108:109], v17, off
	ds_read_b64 v[110:111], v1
	s_waitcnt vmcnt(0) lgkmcnt(0)
	v_mul_f64 v[108:109], v[108:109], v[110:111]
	s_cbranch_execz .LBB51_892
	s_branch .LBB51_893
.LBB51_891:
                                        ; implicit-def: $vgpr108_vgpr109
.LBB51_892:
	ds_read_b64 v[108:109], v1
.LBB51_893:
	v_cmp_ne_u32_e32 vcc, 39, v0
	s_and_saveexec_b64 s[4:5], vcc
	s_cbranch_execz .LBB51_897
; %bb.894:
	s_mov_b32 s6, 0
	v_add_u32_e32 v110, 0x1a8, v16
	v_add3_u32 v111, v16, s6, 8
	s_mov_b64 s[6:7], 0
	v_mov_b32_e32 v112, v0
.LBB51_895:                             ; =>This Inner Loop Header: Depth=1
	scratch_load_dwordx2 v[114:115], v111, off
	ds_read_b64 v[116:117], v110
	v_add_u32_e32 v112, 1, v112
	v_cmp_lt_u32_e32 vcc, 38, v112
	v_add_u32_e32 v110, 8, v110
	v_add_u32_e32 v111, 8, v111
	s_or_b64 s[6:7], vcc, s[6:7]
	s_waitcnt vmcnt(0) lgkmcnt(0)
	v_fmac_f64_e32 v[108:109], v[114:115], v[116:117]
	s_andn2_b64 exec, exec, s[6:7]
	s_cbranch_execnz .LBB51_895
; %bb.896:
	s_or_b64 exec, exec, s[6:7]
.LBB51_897:
	s_or_b64 exec, exec, s[4:5]
	v_mov_b32_e32 v110, 0
	ds_read_b64 v[110:111], v110 offset:320
	s_waitcnt lgkmcnt(0)
	v_mul_f64 v[108:109], v[108:109], v[110:111]
	scratch_store_dwordx2 off, v[108:109], off offset:320
.LBB51_898:
	s_or_b64 exec, exec, s[2:3]
	scratch_load_dwordx2 v[108:109], off, off offset:328
	v_cmp_gt_u32_e32 vcc, 41, v0
	s_waitcnt vmcnt(0)
	ds_write_b64 v1, v[108:109]
	s_waitcnt lgkmcnt(0)
	; wave barrier
	s_and_saveexec_b64 s[2:3], vcc
	s_cbranch_execz .LBB51_908
; %bb.899:
	s_and_b64 vcc, exec, s[0:1]
	s_cbranch_vccnz .LBB51_901
; %bb.900:
	scratch_load_dwordx2 v[108:109], v17, off
	ds_read_b64 v[110:111], v1
	s_waitcnt vmcnt(0) lgkmcnt(0)
	v_mul_f64 v[108:109], v[108:109], v[110:111]
	s_cbranch_execz .LBB51_902
	s_branch .LBB51_903
.LBB51_901:
                                        ; implicit-def: $vgpr108_vgpr109
.LBB51_902:
	ds_read_b64 v[108:109], v1
.LBB51_903:
	v_cmp_ne_u32_e32 vcc, 40, v0
	s_and_saveexec_b64 s[4:5], vcc
	s_cbranch_execz .LBB51_907
; %bb.904:
	s_mov_b32 s6, 0
	v_add_u32_e32 v110, 0x1a8, v16
	v_add3_u32 v111, v16, s6, 8
	s_mov_b64 s[6:7], 0
	v_mov_b32_e32 v112, v0
.LBB51_905:                             ; =>This Inner Loop Header: Depth=1
	scratch_load_dwordx2 v[114:115], v111, off
	ds_read_b64 v[116:117], v110
	v_add_u32_e32 v112, 1, v112
	v_cmp_lt_u32_e32 vcc, 39, v112
	v_add_u32_e32 v110, 8, v110
	v_add_u32_e32 v111, 8, v111
	s_or_b64 s[6:7], vcc, s[6:7]
	s_waitcnt vmcnt(0) lgkmcnt(0)
	v_fmac_f64_e32 v[108:109], v[114:115], v[116:117]
	s_andn2_b64 exec, exec, s[6:7]
	s_cbranch_execnz .LBB51_905
; %bb.906:
	s_or_b64 exec, exec, s[6:7]
.LBB51_907:
	s_or_b64 exec, exec, s[4:5]
	v_mov_b32_e32 v110, 0
	ds_read_b64 v[110:111], v110 offset:328
	s_waitcnt lgkmcnt(0)
	v_mul_f64 v[108:109], v[108:109], v[110:111]
	scratch_store_dwordx2 off, v[108:109], off offset:328
.LBB51_908:
	s_or_b64 exec, exec, s[2:3]
	scratch_load_dwordx2 v[108:109], off, off offset:336
	v_cmp_gt_u32_e32 vcc, 42, v0
	s_waitcnt vmcnt(0)
	ds_write_b64 v1, v[108:109]
	s_waitcnt lgkmcnt(0)
	; wave barrier
	s_and_saveexec_b64 s[2:3], vcc
	s_cbranch_execz .LBB51_918
; %bb.909:
	s_and_b64 vcc, exec, s[0:1]
	s_cbranch_vccnz .LBB51_911
; %bb.910:
	scratch_load_dwordx2 v[108:109], v17, off
	ds_read_b64 v[110:111], v1
	s_waitcnt vmcnt(0) lgkmcnt(0)
	v_mul_f64 v[108:109], v[108:109], v[110:111]
	s_cbranch_execz .LBB51_912
	s_branch .LBB51_913
.LBB51_911:
                                        ; implicit-def: $vgpr108_vgpr109
.LBB51_912:
	ds_read_b64 v[108:109], v1
.LBB51_913:
	v_cmp_ne_u32_e32 vcc, 41, v0
	s_and_saveexec_b64 s[4:5], vcc
	s_cbranch_execz .LBB51_917
; %bb.914:
	s_mov_b32 s6, 0
	v_add_u32_e32 v110, 0x1a8, v16
	v_add3_u32 v111, v16, s6, 8
	s_mov_b64 s[6:7], 0
	v_mov_b32_e32 v112, v0
.LBB51_915:                             ; =>This Inner Loop Header: Depth=1
	scratch_load_dwordx2 v[114:115], v111, off
	ds_read_b64 v[116:117], v110
	v_add_u32_e32 v112, 1, v112
	v_cmp_lt_u32_e32 vcc, 40, v112
	v_add_u32_e32 v110, 8, v110
	v_add_u32_e32 v111, 8, v111
	s_or_b64 s[6:7], vcc, s[6:7]
	s_waitcnt vmcnt(0) lgkmcnt(0)
	v_fmac_f64_e32 v[108:109], v[114:115], v[116:117]
	s_andn2_b64 exec, exec, s[6:7]
	s_cbranch_execnz .LBB51_915
; %bb.916:
	s_or_b64 exec, exec, s[6:7]
.LBB51_917:
	s_or_b64 exec, exec, s[4:5]
	v_mov_b32_e32 v110, 0
	ds_read_b64 v[110:111], v110 offset:336
	s_waitcnt lgkmcnt(0)
	v_mul_f64 v[108:109], v[108:109], v[110:111]
	scratch_store_dwordx2 off, v[108:109], off offset:336
.LBB51_918:
	s_or_b64 exec, exec, s[2:3]
	scratch_load_dwordx2 v[108:109], off, off offset:344
	v_cmp_gt_u32_e32 vcc, 43, v0
	s_waitcnt vmcnt(0)
	ds_write_b64 v1, v[108:109]
	s_waitcnt lgkmcnt(0)
	; wave barrier
	s_and_saveexec_b64 s[2:3], vcc
	s_cbranch_execz .LBB51_928
; %bb.919:
	s_and_b64 vcc, exec, s[0:1]
	s_cbranch_vccnz .LBB51_921
; %bb.920:
	scratch_load_dwordx2 v[108:109], v17, off
	ds_read_b64 v[110:111], v1
	s_waitcnt vmcnt(0) lgkmcnt(0)
	v_mul_f64 v[108:109], v[108:109], v[110:111]
	s_cbranch_execz .LBB51_922
	s_branch .LBB51_923
.LBB51_921:
                                        ; implicit-def: $vgpr108_vgpr109
.LBB51_922:
	ds_read_b64 v[108:109], v1
.LBB51_923:
	v_cmp_ne_u32_e32 vcc, 42, v0
	s_and_saveexec_b64 s[4:5], vcc
	s_cbranch_execz .LBB51_927
; %bb.924:
	s_mov_b32 s6, 0
	v_add_u32_e32 v110, 0x1a8, v16
	v_add3_u32 v111, v16, s6, 8
	s_mov_b64 s[6:7], 0
	v_mov_b32_e32 v112, v0
.LBB51_925:                             ; =>This Inner Loop Header: Depth=1
	scratch_load_dwordx2 v[114:115], v111, off
	ds_read_b64 v[116:117], v110
	v_add_u32_e32 v112, 1, v112
	v_cmp_lt_u32_e32 vcc, 41, v112
	v_add_u32_e32 v110, 8, v110
	v_add_u32_e32 v111, 8, v111
	s_or_b64 s[6:7], vcc, s[6:7]
	s_waitcnt vmcnt(0) lgkmcnt(0)
	v_fmac_f64_e32 v[108:109], v[114:115], v[116:117]
	s_andn2_b64 exec, exec, s[6:7]
	s_cbranch_execnz .LBB51_925
; %bb.926:
	s_or_b64 exec, exec, s[6:7]
.LBB51_927:
	s_or_b64 exec, exec, s[4:5]
	v_mov_b32_e32 v110, 0
	ds_read_b64 v[110:111], v110 offset:344
	s_waitcnt lgkmcnt(0)
	v_mul_f64 v[108:109], v[108:109], v[110:111]
	scratch_store_dwordx2 off, v[108:109], off offset:344
.LBB51_928:
	s_or_b64 exec, exec, s[2:3]
	scratch_load_dwordx2 v[108:109], off, off offset:352
	v_cmp_gt_u32_e32 vcc, 44, v0
	s_waitcnt vmcnt(0)
	ds_write_b64 v1, v[108:109]
	s_waitcnt lgkmcnt(0)
	; wave barrier
	s_and_saveexec_b64 s[2:3], vcc
	s_cbranch_execz .LBB51_938
; %bb.929:
	s_and_b64 vcc, exec, s[0:1]
	s_cbranch_vccnz .LBB51_931
; %bb.930:
	scratch_load_dwordx2 v[108:109], v17, off
	ds_read_b64 v[110:111], v1
	s_waitcnt vmcnt(0) lgkmcnt(0)
	v_mul_f64 v[108:109], v[108:109], v[110:111]
	s_cbranch_execz .LBB51_932
	s_branch .LBB51_933
.LBB51_931:
                                        ; implicit-def: $vgpr108_vgpr109
.LBB51_932:
	ds_read_b64 v[108:109], v1
.LBB51_933:
	v_cmp_ne_u32_e32 vcc, 43, v0
	s_and_saveexec_b64 s[4:5], vcc
	s_cbranch_execz .LBB51_937
; %bb.934:
	s_mov_b32 s6, 0
	v_add_u32_e32 v110, 0x1a8, v16
	v_add3_u32 v111, v16, s6, 8
	s_mov_b64 s[6:7], 0
	v_mov_b32_e32 v112, v0
.LBB51_935:                             ; =>This Inner Loop Header: Depth=1
	scratch_load_dwordx2 v[114:115], v111, off
	ds_read_b64 v[116:117], v110
	v_add_u32_e32 v112, 1, v112
	v_cmp_lt_u32_e32 vcc, 42, v112
	v_add_u32_e32 v110, 8, v110
	v_add_u32_e32 v111, 8, v111
	s_or_b64 s[6:7], vcc, s[6:7]
	s_waitcnt vmcnt(0) lgkmcnt(0)
	v_fmac_f64_e32 v[108:109], v[114:115], v[116:117]
	s_andn2_b64 exec, exec, s[6:7]
	s_cbranch_execnz .LBB51_935
; %bb.936:
	s_or_b64 exec, exec, s[6:7]
.LBB51_937:
	s_or_b64 exec, exec, s[4:5]
	v_mov_b32_e32 v110, 0
	ds_read_b64 v[110:111], v110 offset:352
	s_waitcnt lgkmcnt(0)
	v_mul_f64 v[108:109], v[108:109], v[110:111]
	scratch_store_dwordx2 off, v[108:109], off offset:352
.LBB51_938:
	s_or_b64 exec, exec, s[2:3]
	scratch_load_dwordx2 v[108:109], off, off offset:360
	v_cmp_gt_u32_e32 vcc, 45, v0
	s_waitcnt vmcnt(0)
	ds_write_b64 v1, v[108:109]
	s_waitcnt lgkmcnt(0)
	; wave barrier
	s_and_saveexec_b64 s[2:3], vcc
	s_cbranch_execz .LBB51_948
; %bb.939:
	s_and_b64 vcc, exec, s[0:1]
	s_cbranch_vccnz .LBB51_941
; %bb.940:
	scratch_load_dwordx2 v[108:109], v17, off
	ds_read_b64 v[110:111], v1
	s_waitcnt vmcnt(0) lgkmcnt(0)
	v_mul_f64 v[108:109], v[108:109], v[110:111]
	s_cbranch_execz .LBB51_942
	s_branch .LBB51_943
.LBB51_941:
                                        ; implicit-def: $vgpr108_vgpr109
.LBB51_942:
	ds_read_b64 v[108:109], v1
.LBB51_943:
	v_cmp_ne_u32_e32 vcc, 44, v0
	s_and_saveexec_b64 s[4:5], vcc
	s_cbranch_execz .LBB51_947
; %bb.944:
	s_mov_b32 s6, 0
	v_add_u32_e32 v110, 0x1a8, v16
	v_add3_u32 v111, v16, s6, 8
	s_mov_b64 s[6:7], 0
	v_mov_b32_e32 v112, v0
.LBB51_945:                             ; =>This Inner Loop Header: Depth=1
	scratch_load_dwordx2 v[114:115], v111, off
	ds_read_b64 v[116:117], v110
	v_add_u32_e32 v112, 1, v112
	v_cmp_lt_u32_e32 vcc, 43, v112
	v_add_u32_e32 v110, 8, v110
	v_add_u32_e32 v111, 8, v111
	s_or_b64 s[6:7], vcc, s[6:7]
	s_waitcnt vmcnt(0) lgkmcnt(0)
	v_fmac_f64_e32 v[108:109], v[114:115], v[116:117]
	s_andn2_b64 exec, exec, s[6:7]
	s_cbranch_execnz .LBB51_945
; %bb.946:
	s_or_b64 exec, exec, s[6:7]
.LBB51_947:
	s_or_b64 exec, exec, s[4:5]
	v_mov_b32_e32 v110, 0
	ds_read_b64 v[110:111], v110 offset:360
	s_waitcnt lgkmcnt(0)
	v_mul_f64 v[108:109], v[108:109], v[110:111]
	scratch_store_dwordx2 off, v[108:109], off offset:360
.LBB51_948:
	s_or_b64 exec, exec, s[2:3]
	scratch_load_dwordx2 v[108:109], off, off offset:368
	v_cmp_gt_u32_e32 vcc, 46, v0
	s_waitcnt vmcnt(0)
	ds_write_b64 v1, v[108:109]
	s_waitcnt lgkmcnt(0)
	; wave barrier
	s_and_saveexec_b64 s[2:3], vcc
	s_cbranch_execz .LBB51_958
; %bb.949:
	s_and_b64 vcc, exec, s[0:1]
	s_cbranch_vccnz .LBB51_951
; %bb.950:
	scratch_load_dwordx2 v[108:109], v17, off
	ds_read_b64 v[110:111], v1
	s_waitcnt vmcnt(0) lgkmcnt(0)
	v_mul_f64 v[108:109], v[108:109], v[110:111]
	s_cbranch_execz .LBB51_952
	s_branch .LBB51_953
.LBB51_951:
                                        ; implicit-def: $vgpr108_vgpr109
.LBB51_952:
	ds_read_b64 v[108:109], v1
.LBB51_953:
	v_cmp_ne_u32_e32 vcc, 45, v0
	s_and_saveexec_b64 s[4:5], vcc
	s_cbranch_execz .LBB51_957
; %bb.954:
	s_mov_b32 s6, 0
	v_add_u32_e32 v110, 0x1a8, v16
	v_add3_u32 v111, v16, s6, 8
	s_mov_b64 s[6:7], 0
	v_mov_b32_e32 v112, v0
.LBB51_955:                             ; =>This Inner Loop Header: Depth=1
	scratch_load_dwordx2 v[114:115], v111, off
	ds_read_b64 v[116:117], v110
	v_add_u32_e32 v112, 1, v112
	v_cmp_lt_u32_e32 vcc, 44, v112
	v_add_u32_e32 v110, 8, v110
	v_add_u32_e32 v111, 8, v111
	s_or_b64 s[6:7], vcc, s[6:7]
	s_waitcnt vmcnt(0) lgkmcnt(0)
	v_fmac_f64_e32 v[108:109], v[114:115], v[116:117]
	s_andn2_b64 exec, exec, s[6:7]
	s_cbranch_execnz .LBB51_955
; %bb.956:
	s_or_b64 exec, exec, s[6:7]
.LBB51_957:
	s_or_b64 exec, exec, s[4:5]
	v_mov_b32_e32 v110, 0
	ds_read_b64 v[110:111], v110 offset:368
	s_waitcnt lgkmcnt(0)
	v_mul_f64 v[108:109], v[108:109], v[110:111]
	scratch_store_dwordx2 off, v[108:109], off offset:368
.LBB51_958:
	s_or_b64 exec, exec, s[2:3]
	scratch_load_dwordx2 v[108:109], off, off offset:376
	v_cmp_gt_u32_e32 vcc, 47, v0
	s_waitcnt vmcnt(0)
	ds_write_b64 v1, v[108:109]
	s_waitcnt lgkmcnt(0)
	; wave barrier
	s_and_saveexec_b64 s[2:3], vcc
	s_cbranch_execz .LBB51_968
; %bb.959:
	s_and_b64 vcc, exec, s[0:1]
	s_cbranch_vccnz .LBB51_961
; %bb.960:
	scratch_load_dwordx2 v[108:109], v17, off
	ds_read_b64 v[110:111], v1
	s_waitcnt vmcnt(0) lgkmcnt(0)
	v_mul_f64 v[108:109], v[108:109], v[110:111]
	s_cbranch_execz .LBB51_962
	s_branch .LBB51_963
.LBB51_961:
                                        ; implicit-def: $vgpr108_vgpr109
.LBB51_962:
	ds_read_b64 v[108:109], v1
.LBB51_963:
	v_cmp_ne_u32_e32 vcc, 46, v0
	s_and_saveexec_b64 s[4:5], vcc
	s_cbranch_execz .LBB51_967
; %bb.964:
	s_mov_b32 s6, 0
	v_add_u32_e32 v110, 0x1a8, v16
	v_add3_u32 v111, v16, s6, 8
	s_mov_b64 s[6:7], 0
	v_mov_b32_e32 v112, v0
.LBB51_965:                             ; =>This Inner Loop Header: Depth=1
	scratch_load_dwordx2 v[114:115], v111, off
	ds_read_b64 v[116:117], v110
	v_add_u32_e32 v112, 1, v112
	v_cmp_lt_u32_e32 vcc, 45, v112
	v_add_u32_e32 v110, 8, v110
	v_add_u32_e32 v111, 8, v111
	s_or_b64 s[6:7], vcc, s[6:7]
	s_waitcnt vmcnt(0) lgkmcnt(0)
	v_fmac_f64_e32 v[108:109], v[114:115], v[116:117]
	s_andn2_b64 exec, exec, s[6:7]
	s_cbranch_execnz .LBB51_965
; %bb.966:
	s_or_b64 exec, exec, s[6:7]
.LBB51_967:
	s_or_b64 exec, exec, s[4:5]
	v_mov_b32_e32 v110, 0
	ds_read_b64 v[110:111], v110 offset:376
	s_waitcnt lgkmcnt(0)
	v_mul_f64 v[108:109], v[108:109], v[110:111]
	scratch_store_dwordx2 off, v[108:109], off offset:376
.LBB51_968:
	s_or_b64 exec, exec, s[2:3]
	scratch_load_dwordx2 v[108:109], off, off offset:384
	v_cmp_gt_u32_e32 vcc, 48, v0
	s_waitcnt vmcnt(0)
	ds_write_b64 v1, v[108:109]
	s_waitcnt lgkmcnt(0)
	; wave barrier
	s_and_saveexec_b64 s[2:3], vcc
	s_cbranch_execz .LBB51_978
; %bb.969:
	s_and_b64 vcc, exec, s[0:1]
	s_cbranch_vccnz .LBB51_971
; %bb.970:
	scratch_load_dwordx2 v[108:109], v17, off
	ds_read_b64 v[110:111], v1
	s_waitcnt vmcnt(0) lgkmcnt(0)
	v_mul_f64 v[108:109], v[108:109], v[110:111]
	s_cbranch_execz .LBB51_972
	s_branch .LBB51_973
.LBB51_971:
                                        ; implicit-def: $vgpr108_vgpr109
.LBB51_972:
	ds_read_b64 v[108:109], v1
.LBB51_973:
	v_cmp_ne_u32_e32 vcc, 47, v0
	s_and_saveexec_b64 s[4:5], vcc
	s_cbranch_execz .LBB51_977
; %bb.974:
	s_mov_b32 s6, 0
	v_add_u32_e32 v110, 0x1a8, v16
	v_add3_u32 v111, v16, s6, 8
	s_mov_b64 s[6:7], 0
	v_mov_b32_e32 v112, v0
.LBB51_975:                             ; =>This Inner Loop Header: Depth=1
	scratch_load_dwordx2 v[114:115], v111, off
	ds_read_b64 v[116:117], v110
	v_add_u32_e32 v112, 1, v112
	v_cmp_lt_u32_e32 vcc, 46, v112
	v_add_u32_e32 v110, 8, v110
	v_add_u32_e32 v111, 8, v111
	s_or_b64 s[6:7], vcc, s[6:7]
	s_waitcnt vmcnt(0) lgkmcnt(0)
	v_fmac_f64_e32 v[108:109], v[114:115], v[116:117]
	s_andn2_b64 exec, exec, s[6:7]
	s_cbranch_execnz .LBB51_975
; %bb.976:
	s_or_b64 exec, exec, s[6:7]
.LBB51_977:
	s_or_b64 exec, exec, s[4:5]
	v_mov_b32_e32 v110, 0
	ds_read_b64 v[110:111], v110 offset:384
	s_waitcnt lgkmcnt(0)
	v_mul_f64 v[108:109], v[108:109], v[110:111]
	scratch_store_dwordx2 off, v[108:109], off offset:384
.LBB51_978:
	s_or_b64 exec, exec, s[2:3]
	scratch_load_dwordx2 v[108:109], off, off offset:392
	v_cmp_gt_u32_e32 vcc, 49, v0
	s_waitcnt vmcnt(0)
	ds_write_b64 v1, v[108:109]
	s_waitcnt lgkmcnt(0)
	; wave barrier
	s_and_saveexec_b64 s[2:3], vcc
	s_cbranch_execz .LBB51_988
; %bb.979:
	s_and_b64 vcc, exec, s[0:1]
	s_cbranch_vccnz .LBB51_981
; %bb.980:
	scratch_load_dwordx2 v[108:109], v17, off
	ds_read_b64 v[110:111], v1
	s_waitcnt vmcnt(0) lgkmcnt(0)
	v_mul_f64 v[108:109], v[108:109], v[110:111]
	s_cbranch_execz .LBB51_982
	s_branch .LBB51_983
.LBB51_981:
                                        ; implicit-def: $vgpr108_vgpr109
.LBB51_982:
	ds_read_b64 v[108:109], v1
.LBB51_983:
	v_cmp_ne_u32_e32 vcc, 48, v0
	s_and_saveexec_b64 s[4:5], vcc
	s_cbranch_execz .LBB51_987
; %bb.984:
	s_mov_b32 s6, 0
	v_add_u32_e32 v110, 0x1a8, v16
	v_add3_u32 v111, v16, s6, 8
	s_mov_b64 s[6:7], 0
	v_mov_b32_e32 v112, v0
.LBB51_985:                             ; =>This Inner Loop Header: Depth=1
	scratch_load_dwordx2 v[114:115], v111, off
	ds_read_b64 v[116:117], v110
	v_add_u32_e32 v112, 1, v112
	v_cmp_lt_u32_e32 vcc, 47, v112
	v_add_u32_e32 v110, 8, v110
	v_add_u32_e32 v111, 8, v111
	s_or_b64 s[6:7], vcc, s[6:7]
	s_waitcnt vmcnt(0) lgkmcnt(0)
	v_fmac_f64_e32 v[108:109], v[114:115], v[116:117]
	s_andn2_b64 exec, exec, s[6:7]
	s_cbranch_execnz .LBB51_985
; %bb.986:
	s_or_b64 exec, exec, s[6:7]
.LBB51_987:
	s_or_b64 exec, exec, s[4:5]
	v_mov_b32_e32 v110, 0
	ds_read_b64 v[110:111], v110 offset:392
	s_waitcnt lgkmcnt(0)
	v_mul_f64 v[108:109], v[108:109], v[110:111]
	scratch_store_dwordx2 off, v[108:109], off offset:392
.LBB51_988:
	s_or_b64 exec, exec, s[2:3]
	scratch_load_dwordx2 v[108:109], off, off offset:400
	v_cmp_gt_u32_e64 s[2:3], 50, v0
	s_waitcnt vmcnt(0)
	ds_write_b64 v1, v[108:109]
	s_waitcnt lgkmcnt(0)
	; wave barrier
	s_and_saveexec_b64 s[4:5], s[2:3]
	s_cbranch_execz .LBB51_998
; %bb.989:
	s_and_b64 vcc, exec, s[0:1]
	s_cbranch_vccnz .LBB51_991
; %bb.990:
	scratch_load_dwordx2 v[108:109], v17, off
	ds_read_b64 v[110:111], v1
	s_waitcnt vmcnt(0) lgkmcnt(0)
	v_mul_f64 v[108:109], v[108:109], v[110:111]
	s_cbranch_execz .LBB51_992
	s_branch .LBB51_993
.LBB51_991:
                                        ; implicit-def: $vgpr108_vgpr109
.LBB51_992:
	ds_read_b64 v[108:109], v1
.LBB51_993:
	v_cmp_ne_u32_e32 vcc, 49, v0
	s_and_saveexec_b64 s[6:7], vcc
	s_cbranch_execz .LBB51_997
; %bb.994:
	s_mov_b32 s8, 0
	v_add_u32_e32 v110, 0x1a8, v16
	v_add3_u32 v111, v16, s8, 8
	s_mov_b64 s[8:9], 0
	v_mov_b32_e32 v112, v0
.LBB51_995:                             ; =>This Inner Loop Header: Depth=1
	scratch_load_dwordx2 v[114:115], v111, off
	ds_read_b64 v[116:117], v110
	v_add_u32_e32 v112, 1, v112
	v_cmp_lt_u32_e32 vcc, 48, v112
	v_add_u32_e32 v110, 8, v110
	v_add_u32_e32 v111, 8, v111
	s_or_b64 s[8:9], vcc, s[8:9]
	s_waitcnt vmcnt(0) lgkmcnt(0)
	v_fmac_f64_e32 v[108:109], v[114:115], v[116:117]
	s_andn2_b64 exec, exec, s[8:9]
	s_cbranch_execnz .LBB51_995
; %bb.996:
	s_or_b64 exec, exec, s[8:9]
.LBB51_997:
	s_or_b64 exec, exec, s[6:7]
	v_mov_b32_e32 v110, 0
	ds_read_b64 v[110:111], v110 offset:400
	s_waitcnt lgkmcnt(0)
	v_mul_f64 v[108:109], v[108:109], v[110:111]
	scratch_store_dwordx2 off, v[108:109], off offset:400
.LBB51_998:
	s_or_b64 exec, exec, s[4:5]
	scratch_load_dwordx2 v[108:109], off, off offset:408
	v_cmp_ne_u32_e32 vcc, 51, v0
	s_waitcnt vmcnt(0)
	ds_write_b64 v1, v[108:109]
	s_waitcnt lgkmcnt(0)
	; wave barrier
	s_and_saveexec_b64 s[4:5], vcc
	s_cbranch_execz .LBB51_1008
; %bb.999:
	s_and_b64 vcc, exec, s[0:1]
	s_cbranch_vccnz .LBB51_1001
; %bb.1000:
	scratch_load_dwordx2 v[108:109], v17, off
	ds_read_b64 v[110:111], v1
	s_waitcnt vmcnt(0) lgkmcnt(0)
	v_mul_f64 v[108:109], v[108:109], v[110:111]
	s_cbranch_execz .LBB51_1002
	s_branch .LBB51_1003
.LBB51_1001:
                                        ; implicit-def: $vgpr108_vgpr109
.LBB51_1002:
	ds_read_b64 v[108:109], v1
.LBB51_1003:
	s_and_saveexec_b64 s[0:1], s[2:3]
	s_cbranch_execz .LBB51_1007
; %bb.1004:
	s_mov_b32 s2, 0
	v_add_u32_e32 v1, 0x1a8, v16
	v_add3_u32 v16, v16, s2, 8
	s_mov_b64 s[2:3], 0
.LBB51_1005:                            ; =>This Inner Loop Header: Depth=1
	scratch_load_dwordx2 v[110:111], v16, off
	ds_read_b64 v[112:113], v1
	v_add_u32_e32 v0, 1, v0
	v_cmp_lt_u32_e32 vcc, 49, v0
	v_add_u32_e32 v1, 8, v1
	v_add_u32_e32 v16, 8, v16
	s_or_b64 s[2:3], vcc, s[2:3]
	s_waitcnt vmcnt(0) lgkmcnt(0)
	v_fmac_f64_e32 v[108:109], v[110:111], v[112:113]
	s_andn2_b64 exec, exec, s[2:3]
	s_cbranch_execnz .LBB51_1005
; %bb.1006:
	s_or_b64 exec, exec, s[2:3]
.LBB51_1007:
	s_or_b64 exec, exec, s[0:1]
	v_mov_b32_e32 v0, 0
	ds_read_b64 v[0:1], v0 offset:408
	s_waitcnt lgkmcnt(0)
	v_mul_f64 v[0:1], v[108:109], v[0:1]
	scratch_store_dwordx2 off, v[0:1], off offset:408
.LBB51_1008:
	s_or_b64 exec, exec, s[4:5]
.LBB51_1009:
	scratch_load_dwordx4 v[108:111], off, off
	s_waitcnt vmcnt(0)
	global_store_dwordx2 v[2:3], v[108:109], off
	global_store_dwordx2 v[4:5], v[110:111], off
	scratch_load_dwordx4 v[0:3], off, off offset:16
	s_waitcnt vmcnt(0)
	global_store_dwordx2 v[6:7], v[0:1], off
	global_store_dwordx2 v[8:9], v[2:3], off
	scratch_load_dwordx4 v[0:3], off, off offset:32
	;; [unrolled: 4-line block ×25, first 2 shown]
	s_waitcnt vmcnt(0)
	global_store_dwordx2 v[90:91], v[0:1], off
	global_store_dwordx2 v[94:95], v[2:3], off
.LBB51_1010:
	s_endpgm
	.section	.rodata,"a",@progbits
	.p2align	6, 0x0
	.amdhsa_kernel _ZN9rocsolver6v33100L18trti2_kernel_smallILi52EdPdEEv13rocblas_fill_17rocblas_diagonal_T1_iil
		.amdhsa_group_segment_fixed_size 832
		.amdhsa_private_segment_fixed_size 432
		.amdhsa_kernarg_size 32
		.amdhsa_user_sgpr_count 2
		.amdhsa_user_sgpr_dispatch_ptr 0
		.amdhsa_user_sgpr_queue_ptr 0
		.amdhsa_user_sgpr_kernarg_segment_ptr 1
		.amdhsa_user_sgpr_dispatch_id 0
		.amdhsa_user_sgpr_kernarg_preload_length 0
		.amdhsa_user_sgpr_kernarg_preload_offset 0
		.amdhsa_user_sgpr_private_segment_size 0
		.amdhsa_uses_dynamic_stack 0
		.amdhsa_enable_private_segment 1
		.amdhsa_system_sgpr_workgroup_id_x 1
		.amdhsa_system_sgpr_workgroup_id_y 0
		.amdhsa_system_sgpr_workgroup_id_z 0
		.amdhsa_system_sgpr_workgroup_info 0
		.amdhsa_system_vgpr_workitem_id 0
		.amdhsa_next_free_vgpr 118
		.amdhsa_next_free_sgpr 37
		.amdhsa_accum_offset 120
		.amdhsa_reserve_vcc 1
		.amdhsa_float_round_mode_32 0
		.amdhsa_float_round_mode_16_64 0
		.amdhsa_float_denorm_mode_32 3
		.amdhsa_float_denorm_mode_16_64 3
		.amdhsa_dx10_clamp 1
		.amdhsa_ieee_mode 1
		.amdhsa_fp16_overflow 0
		.amdhsa_tg_split 0
		.amdhsa_exception_fp_ieee_invalid_op 0
		.amdhsa_exception_fp_denorm_src 0
		.amdhsa_exception_fp_ieee_div_zero 0
		.amdhsa_exception_fp_ieee_overflow 0
		.amdhsa_exception_fp_ieee_underflow 0
		.amdhsa_exception_fp_ieee_inexact 0
		.amdhsa_exception_int_div_zero 0
	.end_amdhsa_kernel
	.section	.text._ZN9rocsolver6v33100L18trti2_kernel_smallILi52EdPdEEv13rocblas_fill_17rocblas_diagonal_T1_iil,"axG",@progbits,_ZN9rocsolver6v33100L18trti2_kernel_smallILi52EdPdEEv13rocblas_fill_17rocblas_diagonal_T1_iil,comdat
.Lfunc_end51:
	.size	_ZN9rocsolver6v33100L18trti2_kernel_smallILi52EdPdEEv13rocblas_fill_17rocblas_diagonal_T1_iil, .Lfunc_end51-_ZN9rocsolver6v33100L18trti2_kernel_smallILi52EdPdEEv13rocblas_fill_17rocblas_diagonal_T1_iil
                                        ; -- End function
	.set _ZN9rocsolver6v33100L18trti2_kernel_smallILi52EdPdEEv13rocblas_fill_17rocblas_diagonal_T1_iil.num_vgpr, 118
	.set _ZN9rocsolver6v33100L18trti2_kernel_smallILi52EdPdEEv13rocblas_fill_17rocblas_diagonal_T1_iil.num_agpr, 0
	.set _ZN9rocsolver6v33100L18trti2_kernel_smallILi52EdPdEEv13rocblas_fill_17rocblas_diagonal_T1_iil.numbered_sgpr, 37
	.set _ZN9rocsolver6v33100L18trti2_kernel_smallILi52EdPdEEv13rocblas_fill_17rocblas_diagonal_T1_iil.num_named_barrier, 0
	.set _ZN9rocsolver6v33100L18trti2_kernel_smallILi52EdPdEEv13rocblas_fill_17rocblas_diagonal_T1_iil.private_seg_size, 432
	.set _ZN9rocsolver6v33100L18trti2_kernel_smallILi52EdPdEEv13rocblas_fill_17rocblas_diagonal_T1_iil.uses_vcc, 1
	.set _ZN9rocsolver6v33100L18trti2_kernel_smallILi52EdPdEEv13rocblas_fill_17rocblas_diagonal_T1_iil.uses_flat_scratch, 0
	.set _ZN9rocsolver6v33100L18trti2_kernel_smallILi52EdPdEEv13rocblas_fill_17rocblas_diagonal_T1_iil.has_dyn_sized_stack, 0
	.set _ZN9rocsolver6v33100L18trti2_kernel_smallILi52EdPdEEv13rocblas_fill_17rocblas_diagonal_T1_iil.has_recursion, 0
	.set _ZN9rocsolver6v33100L18trti2_kernel_smallILi52EdPdEEv13rocblas_fill_17rocblas_diagonal_T1_iil.has_indirect_call, 0
	.section	.AMDGPU.csdata,"",@progbits
; Kernel info:
; codeLenInByte = 24788
; TotalNumSgprs: 43
; NumVgprs: 118
; NumAgprs: 0
; TotalNumVgprs: 118
; ScratchSize: 432
; MemoryBound: 0
; FloatMode: 240
; IeeeMode: 1
; LDSByteSize: 832 bytes/workgroup (compile time only)
; SGPRBlocks: 5
; VGPRBlocks: 14
; NumSGPRsForWavesPerEU: 43
; NumVGPRsForWavesPerEU: 118
; AccumOffset: 120
; Occupancy: 4
; WaveLimiterHint : 0
; COMPUTE_PGM_RSRC2:SCRATCH_EN: 1
; COMPUTE_PGM_RSRC2:USER_SGPR: 2
; COMPUTE_PGM_RSRC2:TRAP_HANDLER: 0
; COMPUTE_PGM_RSRC2:TGID_X_EN: 1
; COMPUTE_PGM_RSRC2:TGID_Y_EN: 0
; COMPUTE_PGM_RSRC2:TGID_Z_EN: 0
; COMPUTE_PGM_RSRC2:TIDIG_COMP_CNT: 0
; COMPUTE_PGM_RSRC3_GFX90A:ACCUM_OFFSET: 29
; COMPUTE_PGM_RSRC3_GFX90A:TG_SPLIT: 0
	.section	.text._ZN9rocsolver6v33100L18trti2_kernel_smallILi53EdPdEEv13rocblas_fill_17rocblas_diagonal_T1_iil,"axG",@progbits,_ZN9rocsolver6v33100L18trti2_kernel_smallILi53EdPdEEv13rocblas_fill_17rocblas_diagonal_T1_iil,comdat
	.globl	_ZN9rocsolver6v33100L18trti2_kernel_smallILi53EdPdEEv13rocblas_fill_17rocblas_diagonal_T1_iil ; -- Begin function _ZN9rocsolver6v33100L18trti2_kernel_smallILi53EdPdEEv13rocblas_fill_17rocblas_diagonal_T1_iil
	.p2align	8
	.type	_ZN9rocsolver6v33100L18trti2_kernel_smallILi53EdPdEEv13rocblas_fill_17rocblas_diagonal_T1_iil,@function
_ZN9rocsolver6v33100L18trti2_kernel_smallILi53EdPdEEv13rocblas_fill_17rocblas_diagonal_T1_iil: ; @_ZN9rocsolver6v33100L18trti2_kernel_smallILi53EdPdEEv13rocblas_fill_17rocblas_diagonal_T1_iil
; %bb.0:
	v_cmp_gt_u32_e32 vcc, 53, v0
	s_and_saveexec_b64 s[4:5], vcc
	s_cbranch_execz .LBB52_1030
; %bb.1:
	s_load_dwordx8 s[4:11], s[0:1], 0x0
	s_ashr_i32 s3, s2, 31
	v_lshlrev_b32_e32 v10, 3, v0
	v_mov_b32_e32 v11, 0
	s_waitcnt lgkmcnt(0)
	s_ashr_i32 s1, s8, 31
	s_mov_b32 s0, s8
	s_mul_hi_u32 s8, s10, s2
	s_mul_i32 s3, s10, s3
	s_add_i32 s3, s8, s3
	s_mul_i32 s8, s11, s2
	s_add_i32 s3, s3, s8
	s_mul_i32 s2, s10, s2
	s_lshl_b64 s[2:3], s[2:3], 3
	s_add_u32 s2, s6, s2
	s_addc_u32 s3, s7, s3
	s_lshl_b64 s[0:1], s[0:1], 3
	s_add_u32 s0, s2, s0
	s_addc_u32 s1, s3, s1
	v_lshl_add_u64 v[2:3], s[0:1], 0, v[10:11]
	s_ashr_i32 s3, s9, 31
	s_mov_b32 s2, s9
	v_lshl_add_u64 v[4:5], s[2:3], 3, v[2:3]
	global_load_dwordx2 v[6:7], v10, s[0:1]
	global_load_dwordx2 v[8:9], v[4:5], off
	s_add_i32 s2, s9, s9
	s_cmpk_lg_i32 s5, 0x84
	s_cselect_b64 s[6:7], -1, 0
	s_cmpk_eq_i32 s5, 0x84
	s_waitcnt vmcnt(0)
	scratch_store_dwordx4 off, v[6:9], off
	s_nop 1
	v_add_u32_e32 v8, s2, v0
	v_add_u32_e32 v12, s9, v8
	v_ashrrev_i32_e32 v9, 31, v8
	v_ashrrev_i32_e32 v13, 31, v12
	v_lshl_add_u64 v[6:7], v[8:9], 3, s[0:1]
	v_lshl_add_u64 v[8:9], v[12:13], 3, s[0:1]
	global_load_dwordx2 v[14:15], v[6:7], off
	global_load_dwordx2 v[16:17], v[8:9], off
	s_waitcnt vmcnt(0)
	scratch_store_dwordx4 off, v[14:17], off offset:16
	s_nop 1
	v_add_u32_e32 v14, s9, v12
	v_add_u32_e32 v16, s9, v14
	v_ashrrev_i32_e32 v15, 31, v14
	v_ashrrev_i32_e32 v17, 31, v16
	v_lshl_add_u64 v[12:13], v[14:15], 3, s[0:1]
	v_lshl_add_u64 v[14:15], v[16:17], 3, s[0:1]
	global_load_dwordx2 v[18:19], v[12:13], off
	global_load_dwordx2 v[20:21], v[14:15], off
	s_waitcnt vmcnt(0)
	scratch_store_dwordx4 off, v[18:21], off offset:32
	;; [unrolled: 11-line block ×23, first 2 shown]
	s_nop 1
	v_add_u32_e32 v102, s9, v100
	v_ashrrev_i32_e32 v103, 31, v102
	v_lshl_add_u64 v[100:101], v[102:103], 3, s[0:1]
	v_add_u32_e32 v102, s9, v102
	v_ashrrev_i32_e32 v103, 31, v102
	v_lshl_add_u64 v[104:105], v[102:103], 3, s[0:1]
	global_load_dwordx2 v[106:107], v[100:101], off
	global_load_dwordx2 v[108:109], v[104:105], off
	v_add_u32_e32 v102, s9, v102
	v_ashrrev_i32_e32 v103, 31, v102
	s_waitcnt vmcnt(0)
	scratch_store_dwordx4 off, v[106:109], off offset:384
	s_nop 1
	v_lshl_add_u64 v[106:107], v[102:103], 3, s[0:1]
	v_add_u32_e32 v102, s9, v102
	v_ashrrev_i32_e32 v103, 31, v102
	v_lshl_add_u64 v[108:109], v[102:103], 3, s[0:1]
	global_load_dwordx2 v[110:111], v[106:107], off
	global_load_dwordx2 v[112:113], v[108:109], off
	v_add_u32_e32 v102, s9, v102
	v_ashrrev_i32_e32 v103, 31, v102
	v_lshl_add_u64 v[102:103], v[102:103], 3, s[0:1]
	s_waitcnt vmcnt(0)
	scratch_store_dwordx4 off, v[110:113], off offset:400
	global_load_dwordx2 v[110:111], v[102:103], off
	s_waitcnt vmcnt(0)
	scratch_store_dwordx2 off, v[110:111], off offset:416
	v_mov_b64_e32 v[110:111], -1.0
	s_cbranch_scc1 .LBB52_3
; %bb.2:
	scratch_load_dwordx2 v[110:111], v10, off
	s_waitcnt vmcnt(0)
	v_div_scale_f64 v[112:113], s[0:1], v[110:111], v[110:111], 1.0
	v_rcp_f64_e32 v[114:115], v[112:113]
	v_div_scale_f64 v[116:117], vcc, 1.0, v[110:111], 1.0
	v_fma_f64 v[118:119], -v[112:113], v[114:115], 1.0
	v_fmac_f64_e32 v[114:115], v[114:115], v[118:119]
	v_fma_f64 v[118:119], -v[112:113], v[114:115], 1.0
	v_fmac_f64_e32 v[114:115], v[114:115], v[118:119]
	v_mul_f64 v[118:119], v[116:117], v[114:115]
	v_fma_f64 v[112:113], -v[112:113], v[118:119], v[116:117]
	v_div_fmas_f64 v[112:113], v[112:113], v[114:115], v[118:119]
	v_div_fixup_f64 v[110:111], v[112:113], v[110:111], 1.0
	scratch_store_dwordx2 v10, v[110:111], off
	v_xor_b32_e32 v111, 0x80000000, v111
.LBB52_3:
	s_cmpk_eq_i32 s4, 0x79
	v_add_u32_e32 v1, 0x1b0, v10
	v_mov_b32_e32 v11, v10
	s_mov_b64 s[0:1], -1
	ds_write_b64 v10, v[110:111]
	s_cbranch_scc1 .LBB52_517
; %bb.4:
	scratch_load_dwordx2 v[110:111], off, off offset:408
	s_movk_i32 s8, 0x50
	s_movk_i32 s9, 0x60
	;; [unrolled: 1-line block ×21, first 2 shown]
	v_cmp_eq_u32_e64 s[0:1], 52, v0
	s_waitcnt vmcnt(0)
	ds_write_b64 v1, v[110:111]
	s_waitcnt lgkmcnt(0)
	; wave barrier
	s_and_saveexec_b64 s[2:3], s[0:1]
	s_cbranch_execz .LBB52_10
; %bb.5:
	s_and_b64 vcc, exec, s[6:7]
	s_cbranch_vccz .LBB52_7
; %bb.6:
	scratch_load_dwordx2 v[110:111], v11, off
	ds_read_b64 v[112:113], v1
	s_waitcnt vmcnt(0) lgkmcnt(0)
	v_mul_f64 v[110:111], v[110:111], v[112:113]
	s_cbranch_execz .LBB52_8
	s_branch .LBB52_9
.LBB52_7:
                                        ; implicit-def: $vgpr110_vgpr111
.LBB52_8:
	ds_read_b64 v[110:111], v1
.LBB52_9:
	v_mov_b32_e32 v112, 0
	ds_read_b64 v[112:113], v112 offset:408
	s_waitcnt lgkmcnt(0)
	v_mul_f64 v[110:111], v[110:111], v[112:113]
	scratch_store_dwordx2 off, v[110:111], off offset:408
.LBB52_10:
	s_or_b64 exec, exec, s[2:3]
	scratch_load_dwordx2 v[110:111], off, off offset:400
	s_mov_b32 s10, 16
	s_mov_b32 s11, 32
	;; [unrolled: 1-line block ×6, first 2 shown]
	v_cmp_lt_u32_e64 s[4:5], 50, v0
	s_waitcnt vmcnt(0)
	ds_write_b64 v1, v[110:111]
	s_waitcnt lgkmcnt(0)
	; wave barrier
	s_and_saveexec_b64 s[2:3], s[4:5]
	s_cbranch_execz .LBB52_16
; %bb.11:
	s_andn2_b64 vcc, exec, s[6:7]
	s_cbranch_vccnz .LBB52_13
; %bb.12:
	scratch_load_dwordx2 v[110:111], v11, off
	ds_read_b64 v[112:113], v1
	s_waitcnt vmcnt(0) lgkmcnt(0)
	v_mul_f64 v[110:111], v[110:111], v[112:113]
	s_cbranch_execz .LBB52_14
	s_branch .LBB52_15
.LBB52_13:
                                        ; implicit-def: $vgpr110_vgpr111
.LBB52_14:
	ds_read_b64 v[110:111], v1
.LBB52_15:
	scratch_load_dwordx2 v[116:117], off, off offset:408
	v_mov_b32_e32 v112, 0
	ds_read2_b64 v[112:115], v112 offset0:50 offset1:105
	s_waitcnt vmcnt(0) lgkmcnt(0)
	v_fma_f64 v[114:115], v[116:117], v[114:115], v[110:111]
	v_cndmask_b32_e64 v111, v111, v115, s[0:1]
	v_cndmask_b32_e64 v110, v110, v114, s[0:1]
	v_mul_f64 v[110:111], v[110:111], v[112:113]
	scratch_store_dwordx2 off, v[110:111], off offset:400
.LBB52_16:
	s_or_b64 exec, exec, s[2:3]
	scratch_load_dwordx2 v[110:111], off, off offset:392
	v_cmp_lt_u32_e64 s[2:3], 49, v0
	s_waitcnt vmcnt(0)
	ds_write_b64 v1, v[110:111]
	s_waitcnt lgkmcnt(0)
	; wave barrier
	s_and_saveexec_b64 s[0:1], s[2:3]
	s_cbranch_execz .LBB52_26
; %bb.17:
	s_andn2_b64 vcc, exec, s[6:7]
	s_cbranch_vccnz .LBB52_19
; %bb.18:
	scratch_load_dwordx2 v[110:111], v11, off
	ds_read_b64 v[112:113], v1
	s_waitcnt vmcnt(0) lgkmcnt(0)
	v_mul_f64 v[110:111], v[110:111], v[112:113]
	s_cbranch_execz .LBB52_20
	s_branch .LBB52_21
.LBB52_19:
                                        ; implicit-def: $vgpr110_vgpr111
.LBB52_20:
	ds_read_b64 v[110:111], v1
.LBB52_21:
	s_and_saveexec_b64 s[8:9], s[4:5]
	s_cbranch_execz .LBB52_25
; %bb.22:
	v_subrev_u32_e32 v112, 50, v0
	s_movk_i32 s36, 0x340
	s_mov_b64 s[4:5], 0
.LBB52_23:                              ; =>This Inner Loop Header: Depth=1
	scratch_load_dwordx2 v[114:115], off, s35
	v_mov_b32_e32 v113, s36
	ds_read_b64 v[116:117], v113
	v_add_u32_e32 v112, -1, v112
	s_add_i32 s36, s36, 8
	s_add_i32 s35, s35, 8
	v_cmp_eq_u32_e32 vcc, 0, v112
	s_or_b64 s[4:5], vcc, s[4:5]
	s_waitcnt vmcnt(0) lgkmcnt(0)
	v_fmac_f64_e32 v[110:111], v[114:115], v[116:117]
	s_andn2_b64 exec, exec, s[4:5]
	s_cbranch_execnz .LBB52_23
; %bb.24:
	s_or_b64 exec, exec, s[4:5]
.LBB52_25:
	s_or_b64 exec, exec, s[8:9]
	v_mov_b32_e32 v112, 0
	ds_read_b64 v[112:113], v112 offset:392
	s_waitcnt lgkmcnt(0)
	v_mul_f64 v[110:111], v[110:111], v[112:113]
	scratch_store_dwordx2 off, v[110:111], off offset:392
.LBB52_26:
	s_or_b64 exec, exec, s[0:1]
	scratch_load_dwordx2 v[110:111], off, off offset:384
	v_cmp_lt_u32_e64 s[0:1], 48, v0
	s_waitcnt vmcnt(0)
	ds_write_b64 v1, v[110:111]
	s_waitcnt lgkmcnt(0)
	; wave barrier
	s_and_saveexec_b64 s[4:5], s[0:1]
	s_cbranch_execz .LBB52_36
; %bb.27:
	s_andn2_b64 vcc, exec, s[6:7]
	s_cbranch_vccnz .LBB52_29
; %bb.28:
	scratch_load_dwordx2 v[110:111], v11, off
	ds_read_b64 v[112:113], v1
	s_waitcnt vmcnt(0) lgkmcnt(0)
	v_mul_f64 v[110:111], v[110:111], v[112:113]
	s_cbranch_execz .LBB52_30
	s_branch .LBB52_31
.LBB52_29:
                                        ; implicit-def: $vgpr110_vgpr111
.LBB52_30:
	ds_read_b64 v[110:111], v1
.LBB52_31:
	s_and_saveexec_b64 s[8:9], s[2:3]
	s_cbranch_execz .LBB52_35
; %bb.32:
	s_movk_i32 s35, 0x188
	v_subrev_u32_e32 v112, 49, v0
	s_movk_i32 s36, 0x338
	s_mov_b64 s[2:3], 0
.LBB52_33:                              ; =>This Inner Loop Header: Depth=1
	scratch_load_dwordx2 v[114:115], off, s35
	v_mov_b32_e32 v113, s36
	ds_read_b64 v[116:117], v113
	v_add_u32_e32 v112, -1, v112
	s_add_i32 s36, s36, 8
	s_add_i32 s35, s35, 8
	v_cmp_eq_u32_e32 vcc, 0, v112
	s_or_b64 s[2:3], vcc, s[2:3]
	s_waitcnt vmcnt(0) lgkmcnt(0)
	v_fmac_f64_e32 v[110:111], v[114:115], v[116:117]
	s_andn2_b64 exec, exec, s[2:3]
	s_cbranch_execnz .LBB52_33
; %bb.34:
	s_or_b64 exec, exec, s[2:3]
.LBB52_35:
	s_or_b64 exec, exec, s[8:9]
	v_mov_b32_e32 v112, 0
	ds_read_b64 v[112:113], v112 offset:384
	s_waitcnt lgkmcnt(0)
	v_mul_f64 v[110:111], v[110:111], v[112:113]
	scratch_store_dwordx2 off, v[110:111], off offset:384
.LBB52_36:
	s_or_b64 exec, exec, s[4:5]
	scratch_load_dwordx2 v[110:111], off, off offset:376
	v_cmp_lt_u32_e64 s[2:3], 47, v0
	s_waitcnt vmcnt(0)
	ds_write_b64 v1, v[110:111]
	s_waitcnt lgkmcnt(0)
	; wave barrier
	s_and_saveexec_b64 s[4:5], s[2:3]
	s_cbranch_execz .LBB52_46
; %bb.37:
	s_andn2_b64 vcc, exec, s[6:7]
	s_cbranch_vccnz .LBB52_39
; %bb.38:
	scratch_load_dwordx2 v[110:111], v11, off
	ds_read_b64 v[112:113], v1
	s_waitcnt vmcnt(0) lgkmcnt(0)
	v_mul_f64 v[110:111], v[110:111], v[112:113]
	s_cbranch_execz .LBB52_40
	s_branch .LBB52_41
.LBB52_39:
                                        ; implicit-def: $vgpr110_vgpr111
.LBB52_40:
	ds_read_b64 v[110:111], v1
.LBB52_41:
	s_and_saveexec_b64 s[8:9], s[0:1]
	s_cbranch_execz .LBB52_45
; %bb.42:
	v_subrev_u32_e32 v112, 48, v0
	s_movk_i32 s35, 0x330
	s_mov_b64 s[0:1], 0
.LBB52_43:                              ; =>This Inner Loop Header: Depth=1
	scratch_load_dwordx2 v[114:115], off, s34
	v_mov_b32_e32 v113, s35
	ds_read_b64 v[116:117], v113
	v_add_u32_e32 v112, -1, v112
	s_add_i32 s35, s35, 8
	s_add_i32 s34, s34, 8
	v_cmp_eq_u32_e32 vcc, 0, v112
	s_or_b64 s[0:1], vcc, s[0:1]
	s_waitcnt vmcnt(0) lgkmcnt(0)
	v_fmac_f64_e32 v[110:111], v[114:115], v[116:117]
	s_andn2_b64 exec, exec, s[0:1]
	s_cbranch_execnz .LBB52_43
; %bb.44:
	s_or_b64 exec, exec, s[0:1]
.LBB52_45:
	s_or_b64 exec, exec, s[8:9]
	v_mov_b32_e32 v112, 0
	ds_read_b64 v[112:113], v112 offset:376
	s_waitcnt lgkmcnt(0)
	v_mul_f64 v[110:111], v[110:111], v[112:113]
	scratch_store_dwordx2 off, v[110:111], off offset:376
.LBB52_46:
	s_or_b64 exec, exec, s[4:5]
	scratch_load_dwordx2 v[110:111], off, off offset:368
	v_cmp_lt_u32_e64 s[0:1], 46, v0
	s_waitcnt vmcnt(0)
	ds_write_b64 v1, v[110:111]
	s_waitcnt lgkmcnt(0)
	; wave barrier
	s_and_saveexec_b64 s[4:5], s[0:1]
	s_cbranch_execz .LBB52_56
; %bb.47:
	s_andn2_b64 vcc, exec, s[6:7]
	s_cbranch_vccnz .LBB52_49
; %bb.48:
	scratch_load_dwordx2 v[110:111], v11, off
	ds_read_b64 v[112:113], v1
	s_waitcnt vmcnt(0) lgkmcnt(0)
	v_mul_f64 v[110:111], v[110:111], v[112:113]
	s_cbranch_execz .LBB52_50
	s_branch .LBB52_51
.LBB52_49:
                                        ; implicit-def: $vgpr110_vgpr111
.LBB52_50:
	ds_read_b64 v[110:111], v1
.LBB52_51:
	s_and_saveexec_b64 s[8:9], s[2:3]
	s_cbranch_execz .LBB52_55
; %bb.52:
	s_movk_i32 s34, 0x178
	v_subrev_u32_e32 v112, 47, v0
	s_movk_i32 s35, 0x328
	s_mov_b64 s[2:3], 0
.LBB52_53:                              ; =>This Inner Loop Header: Depth=1
	scratch_load_dwordx2 v[114:115], off, s34
	v_mov_b32_e32 v113, s35
	ds_read_b64 v[116:117], v113
	v_add_u32_e32 v112, -1, v112
	s_add_i32 s35, s35, 8
	s_add_i32 s34, s34, 8
	v_cmp_eq_u32_e32 vcc, 0, v112
	s_or_b64 s[2:3], vcc, s[2:3]
	s_waitcnt vmcnt(0) lgkmcnt(0)
	v_fmac_f64_e32 v[110:111], v[114:115], v[116:117]
	s_andn2_b64 exec, exec, s[2:3]
	s_cbranch_execnz .LBB52_53
; %bb.54:
	s_or_b64 exec, exec, s[2:3]
.LBB52_55:
	s_or_b64 exec, exec, s[8:9]
	v_mov_b32_e32 v112, 0
	ds_read_b64 v[112:113], v112 offset:368
	s_waitcnt lgkmcnt(0)
	v_mul_f64 v[110:111], v[110:111], v[112:113]
	scratch_store_dwordx2 off, v[110:111], off offset:368
.LBB52_56:
	s_or_b64 exec, exec, s[4:5]
	scratch_load_dwordx2 v[110:111], off, off offset:360
	v_cmp_lt_u32_e64 s[2:3], 45, v0
	s_waitcnt vmcnt(0)
	ds_write_b64 v1, v[110:111]
	s_waitcnt lgkmcnt(0)
	; wave barrier
	s_and_saveexec_b64 s[4:5], s[2:3]
	s_cbranch_execz .LBB52_66
; %bb.57:
	s_andn2_b64 vcc, exec, s[6:7]
	s_cbranch_vccnz .LBB52_59
; %bb.58:
	scratch_load_dwordx2 v[110:111], v11, off
	ds_read_b64 v[112:113], v1
	s_waitcnt vmcnt(0) lgkmcnt(0)
	v_mul_f64 v[110:111], v[110:111], v[112:113]
	s_cbranch_execz .LBB52_60
	s_branch .LBB52_61
.LBB52_59:
                                        ; implicit-def: $vgpr110_vgpr111
.LBB52_60:
	ds_read_b64 v[110:111], v1
.LBB52_61:
	s_and_saveexec_b64 s[8:9], s[0:1]
	s_cbranch_execz .LBB52_65
; %bb.62:
	v_subrev_u32_e32 v112, 46, v0
	s_movk_i32 s34, 0x320
	s_mov_b64 s[0:1], 0
.LBB52_63:                              ; =>This Inner Loop Header: Depth=1
	scratch_load_dwordx2 v[114:115], off, s33
	v_mov_b32_e32 v113, s34
	ds_read_b64 v[116:117], v113
	v_add_u32_e32 v112, -1, v112
	s_add_i32 s34, s34, 8
	s_add_i32 s33, s33, 8
	v_cmp_eq_u32_e32 vcc, 0, v112
	s_or_b64 s[0:1], vcc, s[0:1]
	s_waitcnt vmcnt(0) lgkmcnt(0)
	v_fmac_f64_e32 v[110:111], v[114:115], v[116:117]
	s_andn2_b64 exec, exec, s[0:1]
	s_cbranch_execnz .LBB52_63
; %bb.64:
	s_or_b64 exec, exec, s[0:1]
.LBB52_65:
	s_or_b64 exec, exec, s[8:9]
	v_mov_b32_e32 v112, 0
	ds_read_b64 v[112:113], v112 offset:360
	s_waitcnt lgkmcnt(0)
	v_mul_f64 v[110:111], v[110:111], v[112:113]
	scratch_store_dwordx2 off, v[110:111], off offset:360
.LBB52_66:
	s_or_b64 exec, exec, s[4:5]
	scratch_load_dwordx2 v[110:111], off, off offset:352
	v_cmp_lt_u32_e64 s[0:1], 44, v0
	s_waitcnt vmcnt(0)
	ds_write_b64 v1, v[110:111]
	s_waitcnt lgkmcnt(0)
	; wave barrier
	s_and_saveexec_b64 s[4:5], s[0:1]
	s_cbranch_execz .LBB52_76
; %bb.67:
	s_andn2_b64 vcc, exec, s[6:7]
	s_cbranch_vccnz .LBB52_69
; %bb.68:
	scratch_load_dwordx2 v[110:111], v11, off
	ds_read_b64 v[112:113], v1
	s_waitcnt vmcnt(0) lgkmcnt(0)
	v_mul_f64 v[110:111], v[110:111], v[112:113]
	s_cbranch_execz .LBB52_70
	s_branch .LBB52_71
.LBB52_69:
                                        ; implicit-def: $vgpr110_vgpr111
.LBB52_70:
	ds_read_b64 v[110:111], v1
.LBB52_71:
	s_and_saveexec_b64 s[8:9], s[2:3]
	s_cbranch_execz .LBB52_75
; %bb.72:
	s_movk_i32 s33, 0x168
	v_subrev_u32_e32 v112, 45, v0
	s_movk_i32 s34, 0x318
	s_mov_b64 s[2:3], 0
.LBB52_73:                              ; =>This Inner Loop Header: Depth=1
	scratch_load_dwordx2 v[114:115], off, s33
	v_mov_b32_e32 v113, s34
	ds_read_b64 v[116:117], v113
	v_add_u32_e32 v112, -1, v112
	s_add_i32 s34, s34, 8
	s_add_i32 s33, s33, 8
	v_cmp_eq_u32_e32 vcc, 0, v112
	s_or_b64 s[2:3], vcc, s[2:3]
	s_waitcnt vmcnt(0) lgkmcnt(0)
	v_fmac_f64_e32 v[110:111], v[114:115], v[116:117]
	s_andn2_b64 exec, exec, s[2:3]
	s_cbranch_execnz .LBB52_73
; %bb.74:
	s_or_b64 exec, exec, s[2:3]
.LBB52_75:
	s_or_b64 exec, exec, s[8:9]
	v_mov_b32_e32 v112, 0
	ds_read_b64 v[112:113], v112 offset:352
	s_waitcnt lgkmcnt(0)
	v_mul_f64 v[110:111], v[110:111], v[112:113]
	scratch_store_dwordx2 off, v[110:111], off offset:352
.LBB52_76:
	s_or_b64 exec, exec, s[4:5]
	scratch_load_dwordx2 v[110:111], off, off offset:344
	v_cmp_lt_u32_e64 s[2:3], 43, v0
	s_waitcnt vmcnt(0)
	ds_write_b64 v1, v[110:111]
	s_waitcnt lgkmcnt(0)
	; wave barrier
	s_and_saveexec_b64 s[4:5], s[2:3]
	s_cbranch_execz .LBB52_86
; %bb.77:
	s_andn2_b64 vcc, exec, s[6:7]
	s_cbranch_vccnz .LBB52_79
; %bb.78:
	scratch_load_dwordx2 v[110:111], v11, off
	ds_read_b64 v[112:113], v1
	s_waitcnt vmcnt(0) lgkmcnt(0)
	v_mul_f64 v[110:111], v[110:111], v[112:113]
	s_cbranch_execz .LBB52_80
	s_branch .LBB52_81
.LBB52_79:
                                        ; implicit-def: $vgpr110_vgpr111
.LBB52_80:
	ds_read_b64 v[110:111], v1
.LBB52_81:
	s_and_saveexec_b64 s[8:9], s[0:1]
	s_cbranch_execz .LBB52_85
; %bb.82:
	v_subrev_u32_e32 v112, 44, v0
	s_movk_i32 s33, 0x310
	s_mov_b64 s[0:1], 0
.LBB52_83:                              ; =>This Inner Loop Header: Depth=1
	scratch_load_dwordx2 v[114:115], off, s31
	v_mov_b32_e32 v113, s33
	ds_read_b64 v[116:117], v113
	v_add_u32_e32 v112, -1, v112
	s_add_i32 s33, s33, 8
	s_add_i32 s31, s31, 8
	v_cmp_eq_u32_e32 vcc, 0, v112
	s_or_b64 s[0:1], vcc, s[0:1]
	s_waitcnt vmcnt(0) lgkmcnt(0)
	v_fmac_f64_e32 v[110:111], v[114:115], v[116:117]
	s_andn2_b64 exec, exec, s[0:1]
	s_cbranch_execnz .LBB52_83
; %bb.84:
	s_or_b64 exec, exec, s[0:1]
.LBB52_85:
	s_or_b64 exec, exec, s[8:9]
	v_mov_b32_e32 v112, 0
	ds_read_b64 v[112:113], v112 offset:344
	s_waitcnt lgkmcnt(0)
	v_mul_f64 v[110:111], v[110:111], v[112:113]
	scratch_store_dwordx2 off, v[110:111], off offset:344
.LBB52_86:
	s_or_b64 exec, exec, s[4:5]
	scratch_load_dwordx2 v[110:111], off, off offset:336
	v_cmp_lt_u32_e64 s[0:1], 42, v0
	s_waitcnt vmcnt(0)
	ds_write_b64 v1, v[110:111]
	s_waitcnt lgkmcnt(0)
	; wave barrier
	s_and_saveexec_b64 s[4:5], s[0:1]
	s_cbranch_execz .LBB52_96
; %bb.87:
	s_andn2_b64 vcc, exec, s[6:7]
	s_cbranch_vccnz .LBB52_89
; %bb.88:
	scratch_load_dwordx2 v[110:111], v11, off
	ds_read_b64 v[112:113], v1
	s_waitcnt vmcnt(0) lgkmcnt(0)
	v_mul_f64 v[110:111], v[110:111], v[112:113]
	s_cbranch_execz .LBB52_90
	s_branch .LBB52_91
.LBB52_89:
                                        ; implicit-def: $vgpr110_vgpr111
.LBB52_90:
	ds_read_b64 v[110:111], v1
.LBB52_91:
	s_and_saveexec_b64 s[8:9], s[2:3]
	s_cbranch_execz .LBB52_95
; %bb.92:
	s_movk_i32 s31, 0x158
	v_subrev_u32_e32 v112, 43, v0
	s_movk_i32 s33, 0x308
	s_mov_b64 s[2:3], 0
.LBB52_93:                              ; =>This Inner Loop Header: Depth=1
	scratch_load_dwordx2 v[114:115], off, s31
	v_mov_b32_e32 v113, s33
	ds_read_b64 v[116:117], v113
	v_add_u32_e32 v112, -1, v112
	s_add_i32 s33, s33, 8
	s_add_i32 s31, s31, 8
	v_cmp_eq_u32_e32 vcc, 0, v112
	s_or_b64 s[2:3], vcc, s[2:3]
	s_waitcnt vmcnt(0) lgkmcnt(0)
	v_fmac_f64_e32 v[110:111], v[114:115], v[116:117]
	s_andn2_b64 exec, exec, s[2:3]
	s_cbranch_execnz .LBB52_93
; %bb.94:
	s_or_b64 exec, exec, s[2:3]
.LBB52_95:
	s_or_b64 exec, exec, s[8:9]
	v_mov_b32_e32 v112, 0
	ds_read_b64 v[112:113], v112 offset:336
	s_waitcnt lgkmcnt(0)
	v_mul_f64 v[110:111], v[110:111], v[112:113]
	scratch_store_dwordx2 off, v[110:111], off offset:336
.LBB52_96:
	s_or_b64 exec, exec, s[4:5]
	scratch_load_dwordx2 v[110:111], off, off offset:328
	v_cmp_lt_u32_e64 s[2:3], 41, v0
	s_waitcnt vmcnt(0)
	ds_write_b64 v1, v[110:111]
	s_waitcnt lgkmcnt(0)
	; wave barrier
	s_and_saveexec_b64 s[4:5], s[2:3]
	s_cbranch_execz .LBB52_106
; %bb.97:
	s_andn2_b64 vcc, exec, s[6:7]
	s_cbranch_vccnz .LBB52_99
; %bb.98:
	scratch_load_dwordx2 v[110:111], v11, off
	ds_read_b64 v[112:113], v1
	s_waitcnt vmcnt(0) lgkmcnt(0)
	v_mul_f64 v[110:111], v[110:111], v[112:113]
	s_cbranch_execz .LBB52_100
	s_branch .LBB52_101
.LBB52_99:
                                        ; implicit-def: $vgpr110_vgpr111
.LBB52_100:
	ds_read_b64 v[110:111], v1
.LBB52_101:
	s_and_saveexec_b64 s[8:9], s[0:1]
	s_cbranch_execz .LBB52_105
; %bb.102:
	v_subrev_u32_e32 v112, 42, v0
	s_movk_i32 s31, 0x300
	s_mov_b64 s[0:1], 0
.LBB52_103:                             ; =>This Inner Loop Header: Depth=1
	scratch_load_dwordx2 v[114:115], off, s30
	v_mov_b32_e32 v113, s31
	ds_read_b64 v[116:117], v113
	v_add_u32_e32 v112, -1, v112
	s_add_i32 s31, s31, 8
	s_add_i32 s30, s30, 8
	v_cmp_eq_u32_e32 vcc, 0, v112
	s_or_b64 s[0:1], vcc, s[0:1]
	s_waitcnt vmcnt(0) lgkmcnt(0)
	v_fmac_f64_e32 v[110:111], v[114:115], v[116:117]
	s_andn2_b64 exec, exec, s[0:1]
	s_cbranch_execnz .LBB52_103
; %bb.104:
	s_or_b64 exec, exec, s[0:1]
.LBB52_105:
	s_or_b64 exec, exec, s[8:9]
	v_mov_b32_e32 v112, 0
	ds_read_b64 v[112:113], v112 offset:328
	s_waitcnt lgkmcnt(0)
	v_mul_f64 v[110:111], v[110:111], v[112:113]
	scratch_store_dwordx2 off, v[110:111], off offset:328
.LBB52_106:
	s_or_b64 exec, exec, s[4:5]
	scratch_load_dwordx2 v[110:111], off, off offset:320
	v_cmp_lt_u32_e64 s[0:1], 40, v0
	s_waitcnt vmcnt(0)
	ds_write_b64 v1, v[110:111]
	s_waitcnt lgkmcnt(0)
	; wave barrier
	s_and_saveexec_b64 s[4:5], s[0:1]
	s_cbranch_execz .LBB52_116
; %bb.107:
	s_andn2_b64 vcc, exec, s[6:7]
	s_cbranch_vccnz .LBB52_109
; %bb.108:
	scratch_load_dwordx2 v[110:111], v11, off
	ds_read_b64 v[112:113], v1
	s_waitcnt vmcnt(0) lgkmcnt(0)
	v_mul_f64 v[110:111], v[110:111], v[112:113]
	s_cbranch_execz .LBB52_110
	s_branch .LBB52_111
.LBB52_109:
                                        ; implicit-def: $vgpr110_vgpr111
.LBB52_110:
	ds_read_b64 v[110:111], v1
.LBB52_111:
	s_and_saveexec_b64 s[8:9], s[2:3]
	s_cbranch_execz .LBB52_115
; %bb.112:
	s_movk_i32 s30, 0x148
	v_subrev_u32_e32 v112, 41, v0
	s_movk_i32 s31, 0x2f8
	s_mov_b64 s[2:3], 0
.LBB52_113:                             ; =>This Inner Loop Header: Depth=1
	scratch_load_dwordx2 v[114:115], off, s30
	v_mov_b32_e32 v113, s31
	ds_read_b64 v[116:117], v113
	v_add_u32_e32 v112, -1, v112
	s_add_i32 s31, s31, 8
	s_add_i32 s30, s30, 8
	v_cmp_eq_u32_e32 vcc, 0, v112
	s_or_b64 s[2:3], vcc, s[2:3]
	s_waitcnt vmcnt(0) lgkmcnt(0)
	v_fmac_f64_e32 v[110:111], v[114:115], v[116:117]
	s_andn2_b64 exec, exec, s[2:3]
	s_cbranch_execnz .LBB52_113
; %bb.114:
	s_or_b64 exec, exec, s[2:3]
.LBB52_115:
	s_or_b64 exec, exec, s[8:9]
	v_mov_b32_e32 v112, 0
	ds_read_b64 v[112:113], v112 offset:320
	s_waitcnt lgkmcnt(0)
	v_mul_f64 v[110:111], v[110:111], v[112:113]
	scratch_store_dwordx2 off, v[110:111], off offset:320
.LBB52_116:
	s_or_b64 exec, exec, s[4:5]
	scratch_load_dwordx2 v[110:111], off, off offset:312
	v_cmp_lt_u32_e64 s[2:3], 39, v0
	s_waitcnt vmcnt(0)
	ds_write_b64 v1, v[110:111]
	s_waitcnt lgkmcnt(0)
	; wave barrier
	s_and_saveexec_b64 s[4:5], s[2:3]
	s_cbranch_execz .LBB52_126
; %bb.117:
	s_andn2_b64 vcc, exec, s[6:7]
	s_cbranch_vccnz .LBB52_119
; %bb.118:
	scratch_load_dwordx2 v[110:111], v11, off
	ds_read_b64 v[112:113], v1
	s_waitcnt vmcnt(0) lgkmcnt(0)
	v_mul_f64 v[110:111], v[110:111], v[112:113]
	s_cbranch_execz .LBB52_120
	s_branch .LBB52_121
.LBB52_119:
                                        ; implicit-def: $vgpr110_vgpr111
.LBB52_120:
	ds_read_b64 v[110:111], v1
.LBB52_121:
	s_and_saveexec_b64 s[8:9], s[0:1]
	s_cbranch_execz .LBB52_125
; %bb.122:
	v_subrev_u32_e32 v112, 40, v0
	s_movk_i32 s30, 0x2f0
	s_mov_b64 s[0:1], 0
.LBB52_123:                             ; =>This Inner Loop Header: Depth=1
	scratch_load_dwordx2 v[114:115], off, s29
	v_mov_b32_e32 v113, s30
	ds_read_b64 v[116:117], v113
	v_add_u32_e32 v112, -1, v112
	s_add_i32 s30, s30, 8
	s_add_i32 s29, s29, 8
	v_cmp_eq_u32_e32 vcc, 0, v112
	s_or_b64 s[0:1], vcc, s[0:1]
	s_waitcnt vmcnt(0) lgkmcnt(0)
	v_fmac_f64_e32 v[110:111], v[114:115], v[116:117]
	s_andn2_b64 exec, exec, s[0:1]
	s_cbranch_execnz .LBB52_123
; %bb.124:
	s_or_b64 exec, exec, s[0:1]
.LBB52_125:
	s_or_b64 exec, exec, s[8:9]
	v_mov_b32_e32 v112, 0
	ds_read_b64 v[112:113], v112 offset:312
	s_waitcnt lgkmcnt(0)
	v_mul_f64 v[110:111], v[110:111], v[112:113]
	scratch_store_dwordx2 off, v[110:111], off offset:312
.LBB52_126:
	s_or_b64 exec, exec, s[4:5]
	scratch_load_dwordx2 v[110:111], off, off offset:304
	v_cmp_lt_u32_e64 s[0:1], 38, v0
	s_waitcnt vmcnt(0)
	ds_write_b64 v1, v[110:111]
	s_waitcnt lgkmcnt(0)
	; wave barrier
	s_and_saveexec_b64 s[4:5], s[0:1]
	s_cbranch_execz .LBB52_136
; %bb.127:
	s_andn2_b64 vcc, exec, s[6:7]
	s_cbranch_vccnz .LBB52_129
; %bb.128:
	scratch_load_dwordx2 v[110:111], v11, off
	ds_read_b64 v[112:113], v1
	s_waitcnt vmcnt(0) lgkmcnt(0)
	v_mul_f64 v[110:111], v[110:111], v[112:113]
	s_cbranch_execz .LBB52_130
	s_branch .LBB52_131
.LBB52_129:
                                        ; implicit-def: $vgpr110_vgpr111
.LBB52_130:
	ds_read_b64 v[110:111], v1
.LBB52_131:
	s_and_saveexec_b64 s[8:9], s[2:3]
	s_cbranch_execz .LBB52_135
; %bb.132:
	s_movk_i32 s29, 0x138
	v_subrev_u32_e32 v112, 39, v0
	s_movk_i32 s30, 0x2e8
	s_mov_b64 s[2:3], 0
.LBB52_133:                             ; =>This Inner Loop Header: Depth=1
	scratch_load_dwordx2 v[114:115], off, s29
	v_mov_b32_e32 v113, s30
	ds_read_b64 v[116:117], v113
	v_add_u32_e32 v112, -1, v112
	s_add_i32 s30, s30, 8
	s_add_i32 s29, s29, 8
	v_cmp_eq_u32_e32 vcc, 0, v112
	s_or_b64 s[2:3], vcc, s[2:3]
	s_waitcnt vmcnt(0) lgkmcnt(0)
	v_fmac_f64_e32 v[110:111], v[114:115], v[116:117]
	s_andn2_b64 exec, exec, s[2:3]
	s_cbranch_execnz .LBB52_133
; %bb.134:
	s_or_b64 exec, exec, s[2:3]
.LBB52_135:
	s_or_b64 exec, exec, s[8:9]
	v_mov_b32_e32 v112, 0
	ds_read_b64 v[112:113], v112 offset:304
	s_waitcnt lgkmcnt(0)
	v_mul_f64 v[110:111], v[110:111], v[112:113]
	scratch_store_dwordx2 off, v[110:111], off offset:304
.LBB52_136:
	s_or_b64 exec, exec, s[4:5]
	scratch_load_dwordx2 v[110:111], off, off offset:296
	v_cmp_lt_u32_e64 s[2:3], 37, v0
	s_waitcnt vmcnt(0)
	ds_write_b64 v1, v[110:111]
	s_waitcnt lgkmcnt(0)
	; wave barrier
	s_and_saveexec_b64 s[4:5], s[2:3]
	s_cbranch_execz .LBB52_146
; %bb.137:
	s_andn2_b64 vcc, exec, s[6:7]
	s_cbranch_vccnz .LBB52_139
; %bb.138:
	scratch_load_dwordx2 v[110:111], v11, off
	ds_read_b64 v[112:113], v1
	s_waitcnt vmcnt(0) lgkmcnt(0)
	v_mul_f64 v[110:111], v[110:111], v[112:113]
	s_cbranch_execz .LBB52_140
	s_branch .LBB52_141
.LBB52_139:
                                        ; implicit-def: $vgpr110_vgpr111
.LBB52_140:
	ds_read_b64 v[110:111], v1
.LBB52_141:
	s_and_saveexec_b64 s[8:9], s[0:1]
	s_cbranch_execz .LBB52_145
; %bb.142:
	v_subrev_u32_e32 v112, 38, v0
	s_movk_i32 s29, 0x2e0
	s_mov_b64 s[0:1], 0
.LBB52_143:                             ; =>This Inner Loop Header: Depth=1
	scratch_load_dwordx2 v[114:115], off, s28
	v_mov_b32_e32 v113, s29
	ds_read_b64 v[116:117], v113
	v_add_u32_e32 v112, -1, v112
	s_add_i32 s29, s29, 8
	s_add_i32 s28, s28, 8
	v_cmp_eq_u32_e32 vcc, 0, v112
	s_or_b64 s[0:1], vcc, s[0:1]
	s_waitcnt vmcnt(0) lgkmcnt(0)
	v_fmac_f64_e32 v[110:111], v[114:115], v[116:117]
	s_andn2_b64 exec, exec, s[0:1]
	s_cbranch_execnz .LBB52_143
; %bb.144:
	s_or_b64 exec, exec, s[0:1]
.LBB52_145:
	s_or_b64 exec, exec, s[8:9]
	v_mov_b32_e32 v112, 0
	ds_read_b64 v[112:113], v112 offset:296
	s_waitcnt lgkmcnt(0)
	v_mul_f64 v[110:111], v[110:111], v[112:113]
	scratch_store_dwordx2 off, v[110:111], off offset:296
.LBB52_146:
	s_or_b64 exec, exec, s[4:5]
	scratch_load_dwordx2 v[110:111], off, off offset:288
	v_cmp_lt_u32_e64 s[0:1], 36, v0
	s_waitcnt vmcnt(0)
	ds_write_b64 v1, v[110:111]
	s_waitcnt lgkmcnt(0)
	; wave barrier
	s_and_saveexec_b64 s[4:5], s[0:1]
	s_cbranch_execz .LBB52_156
; %bb.147:
	s_andn2_b64 vcc, exec, s[6:7]
	s_cbranch_vccnz .LBB52_149
; %bb.148:
	scratch_load_dwordx2 v[110:111], v11, off
	ds_read_b64 v[112:113], v1
	s_waitcnt vmcnt(0) lgkmcnt(0)
	v_mul_f64 v[110:111], v[110:111], v[112:113]
	s_cbranch_execz .LBB52_150
	s_branch .LBB52_151
.LBB52_149:
                                        ; implicit-def: $vgpr110_vgpr111
.LBB52_150:
	ds_read_b64 v[110:111], v1
.LBB52_151:
	s_and_saveexec_b64 s[8:9], s[2:3]
	s_cbranch_execz .LBB52_155
; %bb.152:
	s_movk_i32 s28, 0x128
	v_subrev_u32_e32 v112, 37, v0
	s_movk_i32 s29, 0x2d8
	s_mov_b64 s[2:3], 0
.LBB52_153:                             ; =>This Inner Loop Header: Depth=1
	scratch_load_dwordx2 v[114:115], off, s28
	v_mov_b32_e32 v113, s29
	ds_read_b64 v[116:117], v113
	v_add_u32_e32 v112, -1, v112
	s_add_i32 s29, s29, 8
	s_add_i32 s28, s28, 8
	v_cmp_eq_u32_e32 vcc, 0, v112
	s_or_b64 s[2:3], vcc, s[2:3]
	s_waitcnt vmcnt(0) lgkmcnt(0)
	v_fmac_f64_e32 v[110:111], v[114:115], v[116:117]
	s_andn2_b64 exec, exec, s[2:3]
	s_cbranch_execnz .LBB52_153
; %bb.154:
	s_or_b64 exec, exec, s[2:3]
.LBB52_155:
	s_or_b64 exec, exec, s[8:9]
	v_mov_b32_e32 v112, 0
	ds_read_b64 v[112:113], v112 offset:288
	s_waitcnt lgkmcnt(0)
	v_mul_f64 v[110:111], v[110:111], v[112:113]
	scratch_store_dwordx2 off, v[110:111], off offset:288
.LBB52_156:
	s_or_b64 exec, exec, s[4:5]
	scratch_load_dwordx2 v[110:111], off, off offset:280
	v_cmp_lt_u32_e64 s[2:3], 35, v0
	s_waitcnt vmcnt(0)
	ds_write_b64 v1, v[110:111]
	s_waitcnt lgkmcnt(0)
	; wave barrier
	s_and_saveexec_b64 s[4:5], s[2:3]
	s_cbranch_execz .LBB52_166
; %bb.157:
	s_andn2_b64 vcc, exec, s[6:7]
	s_cbranch_vccnz .LBB52_159
; %bb.158:
	scratch_load_dwordx2 v[110:111], v11, off
	ds_read_b64 v[112:113], v1
	s_waitcnt vmcnt(0) lgkmcnt(0)
	v_mul_f64 v[110:111], v[110:111], v[112:113]
	s_cbranch_execz .LBB52_160
	s_branch .LBB52_161
.LBB52_159:
                                        ; implicit-def: $vgpr110_vgpr111
.LBB52_160:
	ds_read_b64 v[110:111], v1
.LBB52_161:
	s_and_saveexec_b64 s[8:9], s[0:1]
	s_cbranch_execz .LBB52_165
; %bb.162:
	v_subrev_u32_e32 v112, 36, v0
	s_movk_i32 s28, 0x2d0
	s_mov_b64 s[0:1], 0
.LBB52_163:                             ; =>This Inner Loop Header: Depth=1
	scratch_load_dwordx2 v[114:115], off, s27
	v_mov_b32_e32 v113, s28
	ds_read_b64 v[116:117], v113
	v_add_u32_e32 v112, -1, v112
	s_add_i32 s28, s28, 8
	s_add_i32 s27, s27, 8
	v_cmp_eq_u32_e32 vcc, 0, v112
	s_or_b64 s[0:1], vcc, s[0:1]
	s_waitcnt vmcnt(0) lgkmcnt(0)
	v_fmac_f64_e32 v[110:111], v[114:115], v[116:117]
	s_andn2_b64 exec, exec, s[0:1]
	s_cbranch_execnz .LBB52_163
; %bb.164:
	s_or_b64 exec, exec, s[0:1]
.LBB52_165:
	s_or_b64 exec, exec, s[8:9]
	v_mov_b32_e32 v112, 0
	ds_read_b64 v[112:113], v112 offset:280
	s_waitcnt lgkmcnt(0)
	v_mul_f64 v[110:111], v[110:111], v[112:113]
	scratch_store_dwordx2 off, v[110:111], off offset:280
.LBB52_166:
	s_or_b64 exec, exec, s[4:5]
	scratch_load_dwordx2 v[110:111], off, off offset:272
	v_cmp_lt_u32_e64 s[0:1], 34, v0
	s_waitcnt vmcnt(0)
	ds_write_b64 v1, v[110:111]
	s_waitcnt lgkmcnt(0)
	; wave barrier
	s_and_saveexec_b64 s[4:5], s[0:1]
	s_cbranch_execz .LBB52_176
; %bb.167:
	s_andn2_b64 vcc, exec, s[6:7]
	s_cbranch_vccnz .LBB52_169
; %bb.168:
	scratch_load_dwordx2 v[110:111], v11, off
	ds_read_b64 v[112:113], v1
	s_waitcnt vmcnt(0) lgkmcnt(0)
	v_mul_f64 v[110:111], v[110:111], v[112:113]
	s_cbranch_execz .LBB52_170
	s_branch .LBB52_171
.LBB52_169:
                                        ; implicit-def: $vgpr110_vgpr111
.LBB52_170:
	ds_read_b64 v[110:111], v1
.LBB52_171:
	s_and_saveexec_b64 s[8:9], s[2:3]
	s_cbranch_execz .LBB52_175
; %bb.172:
	s_movk_i32 s27, 0x118
	v_subrev_u32_e32 v112, 35, v0
	s_movk_i32 s28, 0x2c8
	s_mov_b64 s[2:3], 0
.LBB52_173:                             ; =>This Inner Loop Header: Depth=1
	scratch_load_dwordx2 v[114:115], off, s27
	v_mov_b32_e32 v113, s28
	ds_read_b64 v[116:117], v113
	v_add_u32_e32 v112, -1, v112
	s_add_i32 s28, s28, 8
	s_add_i32 s27, s27, 8
	v_cmp_eq_u32_e32 vcc, 0, v112
	s_or_b64 s[2:3], vcc, s[2:3]
	s_waitcnt vmcnt(0) lgkmcnt(0)
	v_fmac_f64_e32 v[110:111], v[114:115], v[116:117]
	s_andn2_b64 exec, exec, s[2:3]
	s_cbranch_execnz .LBB52_173
; %bb.174:
	s_or_b64 exec, exec, s[2:3]
.LBB52_175:
	s_or_b64 exec, exec, s[8:9]
	v_mov_b32_e32 v112, 0
	ds_read_b64 v[112:113], v112 offset:272
	s_waitcnt lgkmcnt(0)
	v_mul_f64 v[110:111], v[110:111], v[112:113]
	scratch_store_dwordx2 off, v[110:111], off offset:272
.LBB52_176:
	s_or_b64 exec, exec, s[4:5]
	scratch_load_dwordx2 v[110:111], off, off offset:264
	v_cmp_lt_u32_e64 s[2:3], 33, v0
	s_waitcnt vmcnt(0)
	ds_write_b64 v1, v[110:111]
	s_waitcnt lgkmcnt(0)
	; wave barrier
	s_and_saveexec_b64 s[4:5], s[2:3]
	s_cbranch_execz .LBB52_186
; %bb.177:
	s_andn2_b64 vcc, exec, s[6:7]
	s_cbranch_vccnz .LBB52_179
; %bb.178:
	scratch_load_dwordx2 v[110:111], v11, off
	ds_read_b64 v[112:113], v1
	s_waitcnt vmcnt(0) lgkmcnt(0)
	v_mul_f64 v[110:111], v[110:111], v[112:113]
	s_cbranch_execz .LBB52_180
	s_branch .LBB52_181
.LBB52_179:
                                        ; implicit-def: $vgpr110_vgpr111
.LBB52_180:
	ds_read_b64 v[110:111], v1
.LBB52_181:
	s_and_saveexec_b64 s[8:9], s[0:1]
	s_cbranch_execz .LBB52_185
; %bb.182:
	v_subrev_u32_e32 v112, 34, v0
	s_movk_i32 s27, 0x2c0
	s_mov_b64 s[0:1], 0
.LBB52_183:                             ; =>This Inner Loop Header: Depth=1
	scratch_load_dwordx2 v[114:115], off, s26
	v_mov_b32_e32 v113, s27
	ds_read_b64 v[116:117], v113
	v_add_u32_e32 v112, -1, v112
	s_add_i32 s27, s27, 8
	s_add_i32 s26, s26, 8
	v_cmp_eq_u32_e32 vcc, 0, v112
	s_or_b64 s[0:1], vcc, s[0:1]
	s_waitcnt vmcnt(0) lgkmcnt(0)
	v_fmac_f64_e32 v[110:111], v[114:115], v[116:117]
	s_andn2_b64 exec, exec, s[0:1]
	s_cbranch_execnz .LBB52_183
; %bb.184:
	s_or_b64 exec, exec, s[0:1]
.LBB52_185:
	s_or_b64 exec, exec, s[8:9]
	v_mov_b32_e32 v112, 0
	ds_read_b64 v[112:113], v112 offset:264
	s_waitcnt lgkmcnt(0)
	v_mul_f64 v[110:111], v[110:111], v[112:113]
	scratch_store_dwordx2 off, v[110:111], off offset:264
.LBB52_186:
	s_or_b64 exec, exec, s[4:5]
	scratch_load_dwordx2 v[110:111], off, off offset:256
	v_cmp_lt_u32_e64 s[0:1], 32, v0
	s_waitcnt vmcnt(0)
	ds_write_b64 v1, v[110:111]
	s_waitcnt lgkmcnt(0)
	; wave barrier
	s_and_saveexec_b64 s[4:5], s[0:1]
	s_cbranch_execz .LBB52_196
; %bb.187:
	s_andn2_b64 vcc, exec, s[6:7]
	s_cbranch_vccnz .LBB52_189
; %bb.188:
	scratch_load_dwordx2 v[110:111], v11, off
	ds_read_b64 v[112:113], v1
	s_waitcnt vmcnt(0) lgkmcnt(0)
	v_mul_f64 v[110:111], v[110:111], v[112:113]
	s_cbranch_execz .LBB52_190
	s_branch .LBB52_191
.LBB52_189:
                                        ; implicit-def: $vgpr110_vgpr111
.LBB52_190:
	ds_read_b64 v[110:111], v1
.LBB52_191:
	s_and_saveexec_b64 s[8:9], s[2:3]
	s_cbranch_execz .LBB52_195
; %bb.192:
	s_movk_i32 s26, 0x108
	v_subrev_u32_e32 v112, 33, v0
	s_movk_i32 s27, 0x2b8
	s_mov_b64 s[2:3], 0
.LBB52_193:                             ; =>This Inner Loop Header: Depth=1
	scratch_load_dwordx2 v[114:115], off, s26
	v_mov_b32_e32 v113, s27
	ds_read_b64 v[116:117], v113
	v_add_u32_e32 v112, -1, v112
	s_add_i32 s27, s27, 8
	s_add_i32 s26, s26, 8
	v_cmp_eq_u32_e32 vcc, 0, v112
	s_or_b64 s[2:3], vcc, s[2:3]
	s_waitcnt vmcnt(0) lgkmcnt(0)
	v_fmac_f64_e32 v[110:111], v[114:115], v[116:117]
	s_andn2_b64 exec, exec, s[2:3]
	s_cbranch_execnz .LBB52_193
; %bb.194:
	s_or_b64 exec, exec, s[2:3]
.LBB52_195:
	s_or_b64 exec, exec, s[8:9]
	v_mov_b32_e32 v112, 0
	ds_read_b64 v[112:113], v112 offset:256
	s_waitcnt lgkmcnt(0)
	v_mul_f64 v[110:111], v[110:111], v[112:113]
	scratch_store_dwordx2 off, v[110:111], off offset:256
.LBB52_196:
	s_or_b64 exec, exec, s[4:5]
	scratch_load_dwordx2 v[110:111], off, off offset:248
	v_cmp_lt_u32_e64 s[2:3], 31, v0
	s_waitcnt vmcnt(0)
	ds_write_b64 v1, v[110:111]
	s_waitcnt lgkmcnt(0)
	; wave barrier
	s_and_saveexec_b64 s[4:5], s[2:3]
	s_cbranch_execz .LBB52_206
; %bb.197:
	s_andn2_b64 vcc, exec, s[6:7]
	s_cbranch_vccnz .LBB52_199
; %bb.198:
	scratch_load_dwordx2 v[110:111], v11, off
	ds_read_b64 v[112:113], v1
	s_waitcnt vmcnt(0) lgkmcnt(0)
	v_mul_f64 v[110:111], v[110:111], v[112:113]
	s_cbranch_execz .LBB52_200
	s_branch .LBB52_201
.LBB52_199:
                                        ; implicit-def: $vgpr110_vgpr111
.LBB52_200:
	ds_read_b64 v[110:111], v1
.LBB52_201:
	s_and_saveexec_b64 s[8:9], s[0:1]
	s_cbranch_execz .LBB52_205
; %bb.202:
	v_subrev_u32_e32 v112, 32, v0
	s_movk_i32 s26, 0x2b0
	s_mov_b64 s[0:1], 0
.LBB52_203:                             ; =>This Inner Loop Header: Depth=1
	scratch_load_dwordx2 v[114:115], off, s25
	v_mov_b32_e32 v113, s26
	ds_read_b64 v[116:117], v113
	v_add_u32_e32 v112, -1, v112
	s_add_i32 s26, s26, 8
	s_add_i32 s25, s25, 8
	v_cmp_eq_u32_e32 vcc, 0, v112
	s_or_b64 s[0:1], vcc, s[0:1]
	s_waitcnt vmcnt(0) lgkmcnt(0)
	v_fmac_f64_e32 v[110:111], v[114:115], v[116:117]
	s_andn2_b64 exec, exec, s[0:1]
	s_cbranch_execnz .LBB52_203
; %bb.204:
	s_or_b64 exec, exec, s[0:1]
.LBB52_205:
	s_or_b64 exec, exec, s[8:9]
	v_mov_b32_e32 v112, 0
	ds_read_b64 v[112:113], v112 offset:248
	s_waitcnt lgkmcnt(0)
	v_mul_f64 v[110:111], v[110:111], v[112:113]
	scratch_store_dwordx2 off, v[110:111], off offset:248
.LBB52_206:
	s_or_b64 exec, exec, s[4:5]
	scratch_load_dwordx2 v[110:111], off, off offset:240
	v_cmp_lt_u32_e64 s[0:1], 30, v0
	s_waitcnt vmcnt(0)
	ds_write_b64 v1, v[110:111]
	s_waitcnt lgkmcnt(0)
	; wave barrier
	s_and_saveexec_b64 s[4:5], s[0:1]
	s_cbranch_execz .LBB52_216
; %bb.207:
	s_andn2_b64 vcc, exec, s[6:7]
	s_cbranch_vccnz .LBB52_209
; %bb.208:
	scratch_load_dwordx2 v[110:111], v11, off
	ds_read_b64 v[112:113], v1
	s_waitcnt vmcnt(0) lgkmcnt(0)
	v_mul_f64 v[110:111], v[110:111], v[112:113]
	s_cbranch_execz .LBB52_210
	s_branch .LBB52_211
.LBB52_209:
                                        ; implicit-def: $vgpr110_vgpr111
.LBB52_210:
	ds_read_b64 v[110:111], v1
.LBB52_211:
	s_and_saveexec_b64 s[8:9], s[2:3]
	s_cbranch_execz .LBB52_215
; %bb.212:
	s_movk_i32 s25, 0xf8
	v_subrev_u32_e32 v112, 31, v0
	s_movk_i32 s26, 0x2a8
	s_mov_b64 s[2:3], 0
.LBB52_213:                             ; =>This Inner Loop Header: Depth=1
	scratch_load_dwordx2 v[114:115], off, s25
	v_mov_b32_e32 v113, s26
	ds_read_b64 v[116:117], v113
	v_add_u32_e32 v112, -1, v112
	s_add_i32 s26, s26, 8
	s_add_i32 s25, s25, 8
	v_cmp_eq_u32_e32 vcc, 0, v112
	s_or_b64 s[2:3], vcc, s[2:3]
	s_waitcnt vmcnt(0) lgkmcnt(0)
	v_fmac_f64_e32 v[110:111], v[114:115], v[116:117]
	s_andn2_b64 exec, exec, s[2:3]
	s_cbranch_execnz .LBB52_213
; %bb.214:
	s_or_b64 exec, exec, s[2:3]
.LBB52_215:
	s_or_b64 exec, exec, s[8:9]
	v_mov_b32_e32 v112, 0
	ds_read_b64 v[112:113], v112 offset:240
	s_waitcnt lgkmcnt(0)
	v_mul_f64 v[110:111], v[110:111], v[112:113]
	scratch_store_dwordx2 off, v[110:111], off offset:240
.LBB52_216:
	s_or_b64 exec, exec, s[4:5]
	scratch_load_dwordx2 v[110:111], off, off offset:232
	v_cmp_lt_u32_e64 s[2:3], 29, v0
	s_waitcnt vmcnt(0)
	ds_write_b64 v1, v[110:111]
	s_waitcnt lgkmcnt(0)
	; wave barrier
	s_and_saveexec_b64 s[4:5], s[2:3]
	s_cbranch_execz .LBB52_226
; %bb.217:
	s_andn2_b64 vcc, exec, s[6:7]
	s_cbranch_vccnz .LBB52_219
; %bb.218:
	scratch_load_dwordx2 v[110:111], v11, off
	ds_read_b64 v[112:113], v1
	s_waitcnt vmcnt(0) lgkmcnt(0)
	v_mul_f64 v[110:111], v[110:111], v[112:113]
	s_cbranch_execz .LBB52_220
	s_branch .LBB52_221
.LBB52_219:
                                        ; implicit-def: $vgpr110_vgpr111
.LBB52_220:
	ds_read_b64 v[110:111], v1
.LBB52_221:
	s_and_saveexec_b64 s[8:9], s[0:1]
	s_cbranch_execz .LBB52_225
; %bb.222:
	v_subrev_u32_e32 v112, 30, v0
	s_movk_i32 s25, 0x2a0
	s_mov_b64 s[0:1], 0
.LBB52_223:                             ; =>This Inner Loop Header: Depth=1
	scratch_load_dwordx2 v[114:115], off, s24
	v_mov_b32_e32 v113, s25
	ds_read_b64 v[116:117], v113
	v_add_u32_e32 v112, -1, v112
	s_add_i32 s25, s25, 8
	s_add_i32 s24, s24, 8
	v_cmp_eq_u32_e32 vcc, 0, v112
	s_or_b64 s[0:1], vcc, s[0:1]
	s_waitcnt vmcnt(0) lgkmcnt(0)
	v_fmac_f64_e32 v[110:111], v[114:115], v[116:117]
	s_andn2_b64 exec, exec, s[0:1]
	s_cbranch_execnz .LBB52_223
; %bb.224:
	s_or_b64 exec, exec, s[0:1]
.LBB52_225:
	s_or_b64 exec, exec, s[8:9]
	v_mov_b32_e32 v112, 0
	ds_read_b64 v[112:113], v112 offset:232
	s_waitcnt lgkmcnt(0)
	v_mul_f64 v[110:111], v[110:111], v[112:113]
	scratch_store_dwordx2 off, v[110:111], off offset:232
.LBB52_226:
	s_or_b64 exec, exec, s[4:5]
	scratch_load_dwordx2 v[110:111], off, off offset:224
	v_cmp_lt_u32_e64 s[0:1], 28, v0
	s_waitcnt vmcnt(0)
	ds_write_b64 v1, v[110:111]
	s_waitcnt lgkmcnt(0)
	; wave barrier
	s_and_saveexec_b64 s[4:5], s[0:1]
	s_cbranch_execz .LBB52_236
; %bb.227:
	s_andn2_b64 vcc, exec, s[6:7]
	s_cbranch_vccnz .LBB52_229
; %bb.228:
	scratch_load_dwordx2 v[110:111], v11, off
	ds_read_b64 v[112:113], v1
	s_waitcnt vmcnt(0) lgkmcnt(0)
	v_mul_f64 v[110:111], v[110:111], v[112:113]
	s_cbranch_execz .LBB52_230
	s_branch .LBB52_231
.LBB52_229:
                                        ; implicit-def: $vgpr110_vgpr111
.LBB52_230:
	ds_read_b64 v[110:111], v1
.LBB52_231:
	s_and_saveexec_b64 s[8:9], s[2:3]
	s_cbranch_execz .LBB52_235
; %bb.232:
	s_movk_i32 s24, 0xe8
	v_subrev_u32_e32 v112, 29, v0
	s_movk_i32 s25, 0x298
	s_mov_b64 s[2:3], 0
.LBB52_233:                             ; =>This Inner Loop Header: Depth=1
	scratch_load_dwordx2 v[114:115], off, s24
	v_mov_b32_e32 v113, s25
	ds_read_b64 v[116:117], v113
	v_add_u32_e32 v112, -1, v112
	s_add_i32 s25, s25, 8
	s_add_i32 s24, s24, 8
	v_cmp_eq_u32_e32 vcc, 0, v112
	s_or_b64 s[2:3], vcc, s[2:3]
	s_waitcnt vmcnt(0) lgkmcnt(0)
	v_fmac_f64_e32 v[110:111], v[114:115], v[116:117]
	s_andn2_b64 exec, exec, s[2:3]
	s_cbranch_execnz .LBB52_233
; %bb.234:
	s_or_b64 exec, exec, s[2:3]
.LBB52_235:
	s_or_b64 exec, exec, s[8:9]
	v_mov_b32_e32 v112, 0
	ds_read_b64 v[112:113], v112 offset:224
	s_waitcnt lgkmcnt(0)
	v_mul_f64 v[110:111], v[110:111], v[112:113]
	scratch_store_dwordx2 off, v[110:111], off offset:224
.LBB52_236:
	s_or_b64 exec, exec, s[4:5]
	scratch_load_dwordx2 v[110:111], off, off offset:216
	v_cmp_lt_u32_e64 s[2:3], 27, v0
	s_waitcnt vmcnt(0)
	ds_write_b64 v1, v[110:111]
	s_waitcnt lgkmcnt(0)
	; wave barrier
	s_and_saveexec_b64 s[4:5], s[2:3]
	s_cbranch_execz .LBB52_246
; %bb.237:
	s_andn2_b64 vcc, exec, s[6:7]
	s_cbranch_vccnz .LBB52_239
; %bb.238:
	scratch_load_dwordx2 v[110:111], v11, off
	ds_read_b64 v[112:113], v1
	s_waitcnt vmcnt(0) lgkmcnt(0)
	v_mul_f64 v[110:111], v[110:111], v[112:113]
	s_cbranch_execz .LBB52_240
	s_branch .LBB52_241
.LBB52_239:
                                        ; implicit-def: $vgpr110_vgpr111
.LBB52_240:
	ds_read_b64 v[110:111], v1
.LBB52_241:
	s_and_saveexec_b64 s[8:9], s[0:1]
	s_cbranch_execz .LBB52_245
; %bb.242:
	v_subrev_u32_e32 v112, 28, v0
	s_movk_i32 s24, 0x290
	s_mov_b64 s[0:1], 0
.LBB52_243:                             ; =>This Inner Loop Header: Depth=1
	scratch_load_dwordx2 v[114:115], off, s23
	v_mov_b32_e32 v113, s24
	ds_read_b64 v[116:117], v113
	v_add_u32_e32 v112, -1, v112
	s_add_i32 s24, s24, 8
	s_add_i32 s23, s23, 8
	v_cmp_eq_u32_e32 vcc, 0, v112
	s_or_b64 s[0:1], vcc, s[0:1]
	s_waitcnt vmcnt(0) lgkmcnt(0)
	v_fmac_f64_e32 v[110:111], v[114:115], v[116:117]
	s_andn2_b64 exec, exec, s[0:1]
	s_cbranch_execnz .LBB52_243
; %bb.244:
	s_or_b64 exec, exec, s[0:1]
.LBB52_245:
	s_or_b64 exec, exec, s[8:9]
	v_mov_b32_e32 v112, 0
	ds_read_b64 v[112:113], v112 offset:216
	s_waitcnt lgkmcnt(0)
	v_mul_f64 v[110:111], v[110:111], v[112:113]
	scratch_store_dwordx2 off, v[110:111], off offset:216
.LBB52_246:
	s_or_b64 exec, exec, s[4:5]
	scratch_load_dwordx2 v[110:111], off, off offset:208
	v_cmp_lt_u32_e64 s[0:1], 26, v0
	s_waitcnt vmcnt(0)
	ds_write_b64 v1, v[110:111]
	s_waitcnt lgkmcnt(0)
	; wave barrier
	s_and_saveexec_b64 s[4:5], s[0:1]
	s_cbranch_execz .LBB52_256
; %bb.247:
	s_andn2_b64 vcc, exec, s[6:7]
	s_cbranch_vccnz .LBB52_249
; %bb.248:
	scratch_load_dwordx2 v[110:111], v11, off
	ds_read_b64 v[112:113], v1
	s_waitcnt vmcnt(0) lgkmcnt(0)
	v_mul_f64 v[110:111], v[110:111], v[112:113]
	s_cbranch_execz .LBB52_250
	s_branch .LBB52_251
.LBB52_249:
                                        ; implicit-def: $vgpr110_vgpr111
.LBB52_250:
	ds_read_b64 v[110:111], v1
.LBB52_251:
	s_and_saveexec_b64 s[8:9], s[2:3]
	s_cbranch_execz .LBB52_255
; %bb.252:
	s_movk_i32 s23, 0xd8
	v_subrev_u32_e32 v112, 27, v0
	s_movk_i32 s24, 0x288
	s_mov_b64 s[2:3], 0
.LBB52_253:                             ; =>This Inner Loop Header: Depth=1
	scratch_load_dwordx2 v[114:115], off, s23
	v_mov_b32_e32 v113, s24
	ds_read_b64 v[116:117], v113
	v_add_u32_e32 v112, -1, v112
	s_add_i32 s24, s24, 8
	s_add_i32 s23, s23, 8
	v_cmp_eq_u32_e32 vcc, 0, v112
	s_or_b64 s[2:3], vcc, s[2:3]
	s_waitcnt vmcnt(0) lgkmcnt(0)
	v_fmac_f64_e32 v[110:111], v[114:115], v[116:117]
	s_andn2_b64 exec, exec, s[2:3]
	s_cbranch_execnz .LBB52_253
; %bb.254:
	s_or_b64 exec, exec, s[2:3]
.LBB52_255:
	s_or_b64 exec, exec, s[8:9]
	v_mov_b32_e32 v112, 0
	ds_read_b64 v[112:113], v112 offset:208
	s_waitcnt lgkmcnt(0)
	v_mul_f64 v[110:111], v[110:111], v[112:113]
	scratch_store_dwordx2 off, v[110:111], off offset:208
.LBB52_256:
	s_or_b64 exec, exec, s[4:5]
	scratch_load_dwordx2 v[110:111], off, off offset:200
	v_cmp_lt_u32_e64 s[2:3], 25, v0
	s_waitcnt vmcnt(0)
	ds_write_b64 v1, v[110:111]
	s_waitcnt lgkmcnt(0)
	; wave barrier
	s_and_saveexec_b64 s[4:5], s[2:3]
	s_cbranch_execz .LBB52_266
; %bb.257:
	s_andn2_b64 vcc, exec, s[6:7]
	s_cbranch_vccnz .LBB52_259
; %bb.258:
	scratch_load_dwordx2 v[110:111], v11, off
	ds_read_b64 v[112:113], v1
	s_waitcnt vmcnt(0) lgkmcnt(0)
	v_mul_f64 v[110:111], v[110:111], v[112:113]
	s_cbranch_execz .LBB52_260
	s_branch .LBB52_261
.LBB52_259:
                                        ; implicit-def: $vgpr110_vgpr111
.LBB52_260:
	ds_read_b64 v[110:111], v1
.LBB52_261:
	s_and_saveexec_b64 s[8:9], s[0:1]
	s_cbranch_execz .LBB52_265
; %bb.262:
	v_subrev_u32_e32 v112, 26, v0
	s_movk_i32 s23, 0x280
	s_mov_b64 s[0:1], 0
.LBB52_263:                             ; =>This Inner Loop Header: Depth=1
	scratch_load_dwordx2 v[114:115], off, s22
	v_mov_b32_e32 v113, s23
	ds_read_b64 v[116:117], v113
	v_add_u32_e32 v112, -1, v112
	s_add_i32 s23, s23, 8
	s_add_i32 s22, s22, 8
	v_cmp_eq_u32_e32 vcc, 0, v112
	s_or_b64 s[0:1], vcc, s[0:1]
	s_waitcnt vmcnt(0) lgkmcnt(0)
	v_fmac_f64_e32 v[110:111], v[114:115], v[116:117]
	s_andn2_b64 exec, exec, s[0:1]
	s_cbranch_execnz .LBB52_263
; %bb.264:
	s_or_b64 exec, exec, s[0:1]
.LBB52_265:
	s_or_b64 exec, exec, s[8:9]
	v_mov_b32_e32 v112, 0
	ds_read_b64 v[112:113], v112 offset:200
	s_waitcnt lgkmcnt(0)
	v_mul_f64 v[110:111], v[110:111], v[112:113]
	scratch_store_dwordx2 off, v[110:111], off offset:200
.LBB52_266:
	s_or_b64 exec, exec, s[4:5]
	scratch_load_dwordx2 v[110:111], off, off offset:192
	v_cmp_lt_u32_e64 s[0:1], 24, v0
	s_waitcnt vmcnt(0)
	ds_write_b64 v1, v[110:111]
	s_waitcnt lgkmcnt(0)
	; wave barrier
	s_and_saveexec_b64 s[4:5], s[0:1]
	s_cbranch_execz .LBB52_276
; %bb.267:
	s_andn2_b64 vcc, exec, s[6:7]
	s_cbranch_vccnz .LBB52_269
; %bb.268:
	scratch_load_dwordx2 v[110:111], v11, off
	ds_read_b64 v[112:113], v1
	s_waitcnt vmcnt(0) lgkmcnt(0)
	v_mul_f64 v[110:111], v[110:111], v[112:113]
	s_cbranch_execz .LBB52_270
	s_branch .LBB52_271
.LBB52_269:
                                        ; implicit-def: $vgpr110_vgpr111
.LBB52_270:
	ds_read_b64 v[110:111], v1
.LBB52_271:
	s_and_saveexec_b64 s[8:9], s[2:3]
	s_cbranch_execz .LBB52_275
; %bb.272:
	s_movk_i32 s22, 0xc8
	v_subrev_u32_e32 v112, 25, v0
	s_movk_i32 s23, 0x278
	s_mov_b64 s[2:3], 0
.LBB52_273:                             ; =>This Inner Loop Header: Depth=1
	scratch_load_dwordx2 v[114:115], off, s22
	v_mov_b32_e32 v113, s23
	ds_read_b64 v[116:117], v113
	v_add_u32_e32 v112, -1, v112
	s_add_i32 s23, s23, 8
	s_add_i32 s22, s22, 8
	v_cmp_eq_u32_e32 vcc, 0, v112
	s_or_b64 s[2:3], vcc, s[2:3]
	s_waitcnt vmcnt(0) lgkmcnt(0)
	v_fmac_f64_e32 v[110:111], v[114:115], v[116:117]
	s_andn2_b64 exec, exec, s[2:3]
	s_cbranch_execnz .LBB52_273
; %bb.274:
	s_or_b64 exec, exec, s[2:3]
.LBB52_275:
	s_or_b64 exec, exec, s[8:9]
	v_mov_b32_e32 v112, 0
	ds_read_b64 v[112:113], v112 offset:192
	s_waitcnt lgkmcnt(0)
	v_mul_f64 v[110:111], v[110:111], v[112:113]
	scratch_store_dwordx2 off, v[110:111], off offset:192
.LBB52_276:
	s_or_b64 exec, exec, s[4:5]
	scratch_load_dwordx2 v[110:111], off, off offset:184
	v_cmp_lt_u32_e64 s[2:3], 23, v0
	s_waitcnt vmcnt(0)
	ds_write_b64 v1, v[110:111]
	s_waitcnt lgkmcnt(0)
	; wave barrier
	s_and_saveexec_b64 s[4:5], s[2:3]
	s_cbranch_execz .LBB52_286
; %bb.277:
	s_andn2_b64 vcc, exec, s[6:7]
	s_cbranch_vccnz .LBB52_279
; %bb.278:
	scratch_load_dwordx2 v[110:111], v11, off
	ds_read_b64 v[112:113], v1
	s_waitcnt vmcnt(0) lgkmcnt(0)
	v_mul_f64 v[110:111], v[110:111], v[112:113]
	s_cbranch_execz .LBB52_280
	s_branch .LBB52_281
.LBB52_279:
                                        ; implicit-def: $vgpr110_vgpr111
.LBB52_280:
	ds_read_b64 v[110:111], v1
.LBB52_281:
	s_and_saveexec_b64 s[8:9], s[0:1]
	s_cbranch_execz .LBB52_285
; %bb.282:
	v_subrev_u32_e32 v112, 24, v0
	s_movk_i32 s22, 0x270
	s_mov_b64 s[0:1], 0
.LBB52_283:                             ; =>This Inner Loop Header: Depth=1
	scratch_load_dwordx2 v[114:115], off, s21
	v_mov_b32_e32 v113, s22
	ds_read_b64 v[116:117], v113
	v_add_u32_e32 v112, -1, v112
	s_add_i32 s22, s22, 8
	s_add_i32 s21, s21, 8
	v_cmp_eq_u32_e32 vcc, 0, v112
	s_or_b64 s[0:1], vcc, s[0:1]
	s_waitcnt vmcnt(0) lgkmcnt(0)
	v_fmac_f64_e32 v[110:111], v[114:115], v[116:117]
	s_andn2_b64 exec, exec, s[0:1]
	s_cbranch_execnz .LBB52_283
; %bb.284:
	s_or_b64 exec, exec, s[0:1]
.LBB52_285:
	s_or_b64 exec, exec, s[8:9]
	v_mov_b32_e32 v112, 0
	ds_read_b64 v[112:113], v112 offset:184
	s_waitcnt lgkmcnt(0)
	v_mul_f64 v[110:111], v[110:111], v[112:113]
	scratch_store_dwordx2 off, v[110:111], off offset:184
.LBB52_286:
	s_or_b64 exec, exec, s[4:5]
	scratch_load_dwordx2 v[110:111], off, off offset:176
	v_cmp_lt_u32_e64 s[0:1], 22, v0
	s_waitcnt vmcnt(0)
	ds_write_b64 v1, v[110:111]
	s_waitcnt lgkmcnt(0)
	; wave barrier
	s_and_saveexec_b64 s[4:5], s[0:1]
	s_cbranch_execz .LBB52_296
; %bb.287:
	s_andn2_b64 vcc, exec, s[6:7]
	s_cbranch_vccnz .LBB52_289
; %bb.288:
	scratch_load_dwordx2 v[110:111], v11, off
	ds_read_b64 v[112:113], v1
	s_waitcnt vmcnt(0) lgkmcnt(0)
	v_mul_f64 v[110:111], v[110:111], v[112:113]
	s_cbranch_execz .LBB52_290
	s_branch .LBB52_291
.LBB52_289:
                                        ; implicit-def: $vgpr110_vgpr111
.LBB52_290:
	ds_read_b64 v[110:111], v1
.LBB52_291:
	s_and_saveexec_b64 s[8:9], s[2:3]
	s_cbranch_execz .LBB52_295
; %bb.292:
	s_movk_i32 s21, 0xb8
	v_subrev_u32_e32 v112, 23, v0
	s_movk_i32 s22, 0x268
	s_mov_b64 s[2:3], 0
.LBB52_293:                             ; =>This Inner Loop Header: Depth=1
	scratch_load_dwordx2 v[114:115], off, s21
	v_mov_b32_e32 v113, s22
	ds_read_b64 v[116:117], v113
	v_add_u32_e32 v112, -1, v112
	s_add_i32 s22, s22, 8
	s_add_i32 s21, s21, 8
	v_cmp_eq_u32_e32 vcc, 0, v112
	s_or_b64 s[2:3], vcc, s[2:3]
	s_waitcnt vmcnt(0) lgkmcnt(0)
	v_fmac_f64_e32 v[110:111], v[114:115], v[116:117]
	s_andn2_b64 exec, exec, s[2:3]
	s_cbranch_execnz .LBB52_293
; %bb.294:
	s_or_b64 exec, exec, s[2:3]
.LBB52_295:
	s_or_b64 exec, exec, s[8:9]
	v_mov_b32_e32 v112, 0
	ds_read_b64 v[112:113], v112 offset:176
	s_waitcnt lgkmcnt(0)
	v_mul_f64 v[110:111], v[110:111], v[112:113]
	scratch_store_dwordx2 off, v[110:111], off offset:176
.LBB52_296:
	s_or_b64 exec, exec, s[4:5]
	scratch_load_dwordx2 v[110:111], off, off offset:168
	v_cmp_lt_u32_e64 s[2:3], 21, v0
	s_waitcnt vmcnt(0)
	ds_write_b64 v1, v[110:111]
	s_waitcnt lgkmcnt(0)
	; wave barrier
	s_and_saveexec_b64 s[4:5], s[2:3]
	s_cbranch_execz .LBB52_306
; %bb.297:
	s_andn2_b64 vcc, exec, s[6:7]
	s_cbranch_vccnz .LBB52_299
; %bb.298:
	scratch_load_dwordx2 v[110:111], v11, off
	ds_read_b64 v[112:113], v1
	s_waitcnt vmcnt(0) lgkmcnt(0)
	v_mul_f64 v[110:111], v[110:111], v[112:113]
	s_cbranch_execz .LBB52_300
	s_branch .LBB52_301
.LBB52_299:
                                        ; implicit-def: $vgpr110_vgpr111
.LBB52_300:
	ds_read_b64 v[110:111], v1
.LBB52_301:
	s_and_saveexec_b64 s[8:9], s[0:1]
	s_cbranch_execz .LBB52_305
; %bb.302:
	v_subrev_u32_e32 v112, 22, v0
	s_movk_i32 s21, 0x260
	s_mov_b64 s[0:1], 0
.LBB52_303:                             ; =>This Inner Loop Header: Depth=1
	scratch_load_dwordx2 v[114:115], off, s20
	v_mov_b32_e32 v113, s21
	ds_read_b64 v[116:117], v113
	v_add_u32_e32 v112, -1, v112
	s_add_i32 s21, s21, 8
	s_add_i32 s20, s20, 8
	v_cmp_eq_u32_e32 vcc, 0, v112
	s_or_b64 s[0:1], vcc, s[0:1]
	s_waitcnt vmcnt(0) lgkmcnt(0)
	v_fmac_f64_e32 v[110:111], v[114:115], v[116:117]
	s_andn2_b64 exec, exec, s[0:1]
	s_cbranch_execnz .LBB52_303
; %bb.304:
	s_or_b64 exec, exec, s[0:1]
.LBB52_305:
	s_or_b64 exec, exec, s[8:9]
	v_mov_b32_e32 v112, 0
	ds_read_b64 v[112:113], v112 offset:168
	s_waitcnt lgkmcnt(0)
	v_mul_f64 v[110:111], v[110:111], v[112:113]
	scratch_store_dwordx2 off, v[110:111], off offset:168
.LBB52_306:
	s_or_b64 exec, exec, s[4:5]
	scratch_load_dwordx2 v[110:111], off, off offset:160
	v_cmp_lt_u32_e64 s[0:1], 20, v0
	s_waitcnt vmcnt(0)
	ds_write_b64 v1, v[110:111]
	s_waitcnt lgkmcnt(0)
	; wave barrier
	s_and_saveexec_b64 s[4:5], s[0:1]
	s_cbranch_execz .LBB52_316
; %bb.307:
	s_andn2_b64 vcc, exec, s[6:7]
	s_cbranch_vccnz .LBB52_309
; %bb.308:
	scratch_load_dwordx2 v[110:111], v11, off
	ds_read_b64 v[112:113], v1
	s_waitcnt vmcnt(0) lgkmcnt(0)
	v_mul_f64 v[110:111], v[110:111], v[112:113]
	s_cbranch_execz .LBB52_310
	s_branch .LBB52_311
.LBB52_309:
                                        ; implicit-def: $vgpr110_vgpr111
.LBB52_310:
	ds_read_b64 v[110:111], v1
.LBB52_311:
	s_and_saveexec_b64 s[8:9], s[2:3]
	s_cbranch_execz .LBB52_315
; %bb.312:
	s_movk_i32 s20, 0xa8
	v_subrev_u32_e32 v112, 21, v0
	s_movk_i32 s21, 0x258
	s_mov_b64 s[2:3], 0
.LBB52_313:                             ; =>This Inner Loop Header: Depth=1
	scratch_load_dwordx2 v[114:115], off, s20
	v_mov_b32_e32 v113, s21
	ds_read_b64 v[116:117], v113
	v_add_u32_e32 v112, -1, v112
	s_add_i32 s21, s21, 8
	s_add_i32 s20, s20, 8
	v_cmp_eq_u32_e32 vcc, 0, v112
	s_or_b64 s[2:3], vcc, s[2:3]
	s_waitcnt vmcnt(0) lgkmcnt(0)
	v_fmac_f64_e32 v[110:111], v[114:115], v[116:117]
	s_andn2_b64 exec, exec, s[2:3]
	s_cbranch_execnz .LBB52_313
; %bb.314:
	s_or_b64 exec, exec, s[2:3]
.LBB52_315:
	s_or_b64 exec, exec, s[8:9]
	v_mov_b32_e32 v112, 0
	ds_read_b64 v[112:113], v112 offset:160
	s_waitcnt lgkmcnt(0)
	v_mul_f64 v[110:111], v[110:111], v[112:113]
	scratch_store_dwordx2 off, v[110:111], off offset:160
.LBB52_316:
	s_or_b64 exec, exec, s[4:5]
	scratch_load_dwordx2 v[110:111], off, off offset:152
	v_cmp_lt_u32_e64 s[2:3], 19, v0
	s_waitcnt vmcnt(0)
	ds_write_b64 v1, v[110:111]
	s_waitcnt lgkmcnt(0)
	; wave barrier
	s_and_saveexec_b64 s[4:5], s[2:3]
	s_cbranch_execz .LBB52_326
; %bb.317:
	s_andn2_b64 vcc, exec, s[6:7]
	s_cbranch_vccnz .LBB52_319
; %bb.318:
	scratch_load_dwordx2 v[110:111], v11, off
	ds_read_b64 v[112:113], v1
	s_waitcnt vmcnt(0) lgkmcnt(0)
	v_mul_f64 v[110:111], v[110:111], v[112:113]
	s_cbranch_execz .LBB52_320
	s_branch .LBB52_321
.LBB52_319:
                                        ; implicit-def: $vgpr110_vgpr111
.LBB52_320:
	ds_read_b64 v[110:111], v1
.LBB52_321:
	s_and_saveexec_b64 s[8:9], s[0:1]
	s_cbranch_execz .LBB52_325
; %bb.322:
	v_subrev_u32_e32 v112, 20, v0
	s_movk_i32 s20, 0x250
	s_mov_b64 s[0:1], 0
.LBB52_323:                             ; =>This Inner Loop Header: Depth=1
	scratch_load_dwordx2 v[114:115], off, s19
	v_mov_b32_e32 v113, s20
	ds_read_b64 v[116:117], v113
	v_add_u32_e32 v112, -1, v112
	s_add_i32 s20, s20, 8
	s_add_i32 s19, s19, 8
	v_cmp_eq_u32_e32 vcc, 0, v112
	s_or_b64 s[0:1], vcc, s[0:1]
	s_waitcnt vmcnt(0) lgkmcnt(0)
	v_fmac_f64_e32 v[110:111], v[114:115], v[116:117]
	s_andn2_b64 exec, exec, s[0:1]
	s_cbranch_execnz .LBB52_323
; %bb.324:
	s_or_b64 exec, exec, s[0:1]
.LBB52_325:
	s_or_b64 exec, exec, s[8:9]
	v_mov_b32_e32 v112, 0
	ds_read_b64 v[112:113], v112 offset:152
	s_waitcnt lgkmcnt(0)
	v_mul_f64 v[110:111], v[110:111], v[112:113]
	scratch_store_dwordx2 off, v[110:111], off offset:152
.LBB52_326:
	s_or_b64 exec, exec, s[4:5]
	scratch_load_dwordx2 v[110:111], off, off offset:144
	v_cmp_lt_u32_e64 s[0:1], 18, v0
	s_waitcnt vmcnt(0)
	ds_write_b64 v1, v[110:111]
	s_waitcnt lgkmcnt(0)
	; wave barrier
	s_and_saveexec_b64 s[4:5], s[0:1]
	s_cbranch_execz .LBB52_336
; %bb.327:
	s_andn2_b64 vcc, exec, s[6:7]
	s_cbranch_vccnz .LBB52_329
; %bb.328:
	scratch_load_dwordx2 v[110:111], v11, off
	ds_read_b64 v[112:113], v1
	s_waitcnt vmcnt(0) lgkmcnt(0)
	v_mul_f64 v[110:111], v[110:111], v[112:113]
	s_cbranch_execz .LBB52_330
	s_branch .LBB52_331
.LBB52_329:
                                        ; implicit-def: $vgpr110_vgpr111
.LBB52_330:
	ds_read_b64 v[110:111], v1
.LBB52_331:
	s_and_saveexec_b64 s[8:9], s[2:3]
	s_cbranch_execz .LBB52_335
; %bb.332:
	s_movk_i32 s19, 0x98
	v_subrev_u32_e32 v112, 19, v0
	s_movk_i32 s20, 0x248
	s_mov_b64 s[2:3], 0
.LBB52_333:                             ; =>This Inner Loop Header: Depth=1
	scratch_load_dwordx2 v[114:115], off, s19
	v_mov_b32_e32 v113, s20
	ds_read_b64 v[116:117], v113
	v_add_u32_e32 v112, -1, v112
	s_add_i32 s20, s20, 8
	s_add_i32 s19, s19, 8
	v_cmp_eq_u32_e32 vcc, 0, v112
	s_or_b64 s[2:3], vcc, s[2:3]
	s_waitcnt vmcnt(0) lgkmcnt(0)
	v_fmac_f64_e32 v[110:111], v[114:115], v[116:117]
	s_andn2_b64 exec, exec, s[2:3]
	s_cbranch_execnz .LBB52_333
; %bb.334:
	s_or_b64 exec, exec, s[2:3]
.LBB52_335:
	s_or_b64 exec, exec, s[8:9]
	v_mov_b32_e32 v112, 0
	ds_read_b64 v[112:113], v112 offset:144
	s_waitcnt lgkmcnt(0)
	v_mul_f64 v[110:111], v[110:111], v[112:113]
	scratch_store_dwordx2 off, v[110:111], off offset:144
.LBB52_336:
	s_or_b64 exec, exec, s[4:5]
	scratch_load_dwordx2 v[110:111], off, off offset:136
	v_cmp_lt_u32_e64 s[2:3], 17, v0
	s_waitcnt vmcnt(0)
	ds_write_b64 v1, v[110:111]
	s_waitcnt lgkmcnt(0)
	; wave barrier
	s_and_saveexec_b64 s[4:5], s[2:3]
	s_cbranch_execz .LBB52_346
; %bb.337:
	s_andn2_b64 vcc, exec, s[6:7]
	s_cbranch_vccnz .LBB52_339
; %bb.338:
	scratch_load_dwordx2 v[110:111], v11, off
	ds_read_b64 v[112:113], v1
	s_waitcnt vmcnt(0) lgkmcnt(0)
	v_mul_f64 v[110:111], v[110:111], v[112:113]
	s_cbranch_execz .LBB52_340
	s_branch .LBB52_341
.LBB52_339:
                                        ; implicit-def: $vgpr110_vgpr111
.LBB52_340:
	ds_read_b64 v[110:111], v1
.LBB52_341:
	s_and_saveexec_b64 s[8:9], s[0:1]
	s_cbranch_execz .LBB52_345
; %bb.342:
	v_subrev_u32_e32 v112, 18, v0
	s_movk_i32 s19, 0x240
	s_mov_b64 s[0:1], 0
.LBB52_343:                             ; =>This Inner Loop Header: Depth=1
	scratch_load_dwordx2 v[114:115], off, s18
	v_mov_b32_e32 v113, s19
	ds_read_b64 v[116:117], v113
	v_add_u32_e32 v112, -1, v112
	s_add_i32 s19, s19, 8
	s_add_i32 s18, s18, 8
	v_cmp_eq_u32_e32 vcc, 0, v112
	s_or_b64 s[0:1], vcc, s[0:1]
	s_waitcnt vmcnt(0) lgkmcnt(0)
	v_fmac_f64_e32 v[110:111], v[114:115], v[116:117]
	s_andn2_b64 exec, exec, s[0:1]
	s_cbranch_execnz .LBB52_343
; %bb.344:
	s_or_b64 exec, exec, s[0:1]
.LBB52_345:
	s_or_b64 exec, exec, s[8:9]
	v_mov_b32_e32 v112, 0
	ds_read_b64 v[112:113], v112 offset:136
	s_waitcnt lgkmcnt(0)
	v_mul_f64 v[110:111], v[110:111], v[112:113]
	scratch_store_dwordx2 off, v[110:111], off offset:136
.LBB52_346:
	s_or_b64 exec, exec, s[4:5]
	scratch_load_dwordx2 v[110:111], off, off offset:128
	v_cmp_lt_u32_e64 s[0:1], 16, v0
	s_waitcnt vmcnt(0)
	ds_write_b64 v1, v[110:111]
	s_waitcnt lgkmcnt(0)
	; wave barrier
	s_and_saveexec_b64 s[4:5], s[0:1]
	s_cbranch_execz .LBB52_356
; %bb.347:
	s_andn2_b64 vcc, exec, s[6:7]
	s_cbranch_vccnz .LBB52_349
; %bb.348:
	scratch_load_dwordx2 v[110:111], v11, off
	ds_read_b64 v[112:113], v1
	s_waitcnt vmcnt(0) lgkmcnt(0)
	v_mul_f64 v[110:111], v[110:111], v[112:113]
	s_cbranch_execz .LBB52_350
	s_branch .LBB52_351
.LBB52_349:
                                        ; implicit-def: $vgpr110_vgpr111
.LBB52_350:
	ds_read_b64 v[110:111], v1
.LBB52_351:
	s_and_saveexec_b64 s[8:9], s[2:3]
	s_cbranch_execz .LBB52_355
; %bb.352:
	s_movk_i32 s18, 0x88
	v_subrev_u32_e32 v112, 17, v0
	s_movk_i32 s19, 0x238
	s_mov_b64 s[2:3], 0
.LBB52_353:                             ; =>This Inner Loop Header: Depth=1
	scratch_load_dwordx2 v[114:115], off, s18
	v_mov_b32_e32 v113, s19
	ds_read_b64 v[116:117], v113
	v_add_u32_e32 v112, -1, v112
	s_add_i32 s19, s19, 8
	s_add_i32 s18, s18, 8
	v_cmp_eq_u32_e32 vcc, 0, v112
	s_or_b64 s[2:3], vcc, s[2:3]
	s_waitcnt vmcnt(0) lgkmcnt(0)
	v_fmac_f64_e32 v[110:111], v[114:115], v[116:117]
	s_andn2_b64 exec, exec, s[2:3]
	s_cbranch_execnz .LBB52_353
; %bb.354:
	s_or_b64 exec, exec, s[2:3]
.LBB52_355:
	s_or_b64 exec, exec, s[8:9]
	v_mov_b32_e32 v112, 0
	ds_read_b64 v[112:113], v112 offset:128
	s_waitcnt lgkmcnt(0)
	v_mul_f64 v[110:111], v[110:111], v[112:113]
	scratch_store_dwordx2 off, v[110:111], off offset:128
.LBB52_356:
	s_or_b64 exec, exec, s[4:5]
	scratch_load_dwordx2 v[110:111], off, off offset:120
	v_cmp_lt_u32_e64 s[2:3], 15, v0
	s_waitcnt vmcnt(0)
	ds_write_b64 v1, v[110:111]
	s_waitcnt lgkmcnt(0)
	; wave barrier
	s_and_saveexec_b64 s[4:5], s[2:3]
	s_cbranch_execz .LBB52_366
; %bb.357:
	s_andn2_b64 vcc, exec, s[6:7]
	s_cbranch_vccnz .LBB52_359
; %bb.358:
	scratch_load_dwordx2 v[110:111], v11, off
	ds_read_b64 v[112:113], v1
	s_waitcnt vmcnt(0) lgkmcnt(0)
	v_mul_f64 v[110:111], v[110:111], v[112:113]
	s_cbranch_execz .LBB52_360
	s_branch .LBB52_361
.LBB52_359:
                                        ; implicit-def: $vgpr110_vgpr111
.LBB52_360:
	ds_read_b64 v[110:111], v1
.LBB52_361:
	s_and_saveexec_b64 s[8:9], s[0:1]
	s_cbranch_execz .LBB52_365
; %bb.362:
	v_add_u32_e32 v112, -16, v0
	s_movk_i32 s18, 0x230
	s_mov_b64 s[0:1], 0
.LBB52_363:                             ; =>This Inner Loop Header: Depth=1
	scratch_load_dwordx2 v[114:115], off, s17
	v_mov_b32_e32 v113, s18
	ds_read_b64 v[116:117], v113
	v_add_u32_e32 v112, -1, v112
	s_add_i32 s18, s18, 8
	s_add_i32 s17, s17, 8
	v_cmp_eq_u32_e32 vcc, 0, v112
	s_or_b64 s[0:1], vcc, s[0:1]
	s_waitcnt vmcnt(0) lgkmcnt(0)
	v_fmac_f64_e32 v[110:111], v[114:115], v[116:117]
	s_andn2_b64 exec, exec, s[0:1]
	s_cbranch_execnz .LBB52_363
; %bb.364:
	s_or_b64 exec, exec, s[0:1]
.LBB52_365:
	s_or_b64 exec, exec, s[8:9]
	v_mov_b32_e32 v112, 0
	ds_read_b64 v[112:113], v112 offset:120
	s_waitcnt lgkmcnt(0)
	v_mul_f64 v[110:111], v[110:111], v[112:113]
	scratch_store_dwordx2 off, v[110:111], off offset:120
.LBB52_366:
	s_or_b64 exec, exec, s[4:5]
	scratch_load_dwordx2 v[110:111], off, off offset:112
	v_cmp_lt_u32_e64 s[0:1], 14, v0
	s_waitcnt vmcnt(0)
	ds_write_b64 v1, v[110:111]
	s_waitcnt lgkmcnt(0)
	; wave barrier
	s_and_saveexec_b64 s[4:5], s[0:1]
	s_cbranch_execz .LBB52_376
; %bb.367:
	s_andn2_b64 vcc, exec, s[6:7]
	s_cbranch_vccnz .LBB52_369
; %bb.368:
	scratch_load_dwordx2 v[110:111], v11, off
	ds_read_b64 v[112:113], v1
	s_waitcnt vmcnt(0) lgkmcnt(0)
	v_mul_f64 v[110:111], v[110:111], v[112:113]
	s_cbranch_execz .LBB52_370
	s_branch .LBB52_371
.LBB52_369:
                                        ; implicit-def: $vgpr110_vgpr111
.LBB52_370:
	ds_read_b64 v[110:111], v1
.LBB52_371:
	s_and_saveexec_b64 s[8:9], s[2:3]
	s_cbranch_execz .LBB52_375
; %bb.372:
	s_movk_i32 s17, 0x78
	v_add_u32_e32 v112, -15, v0
	s_movk_i32 s18, 0x228
	s_mov_b64 s[2:3], 0
.LBB52_373:                             ; =>This Inner Loop Header: Depth=1
	scratch_load_dwordx2 v[114:115], off, s17
	v_mov_b32_e32 v113, s18
	ds_read_b64 v[116:117], v113
	v_add_u32_e32 v112, -1, v112
	s_add_i32 s18, s18, 8
	s_add_i32 s17, s17, 8
	v_cmp_eq_u32_e32 vcc, 0, v112
	s_or_b64 s[2:3], vcc, s[2:3]
	s_waitcnt vmcnt(0) lgkmcnt(0)
	v_fmac_f64_e32 v[110:111], v[114:115], v[116:117]
	s_andn2_b64 exec, exec, s[2:3]
	s_cbranch_execnz .LBB52_373
; %bb.374:
	s_or_b64 exec, exec, s[2:3]
.LBB52_375:
	s_or_b64 exec, exec, s[8:9]
	v_mov_b32_e32 v112, 0
	ds_read_b64 v[112:113], v112 offset:112
	s_waitcnt lgkmcnt(0)
	v_mul_f64 v[110:111], v[110:111], v[112:113]
	scratch_store_dwordx2 off, v[110:111], off offset:112
.LBB52_376:
	s_or_b64 exec, exec, s[4:5]
	scratch_load_dwordx2 v[110:111], off, off offset:104
	v_cmp_lt_u32_e64 s[2:3], 13, v0
	s_waitcnt vmcnt(0)
	ds_write_b64 v1, v[110:111]
	s_waitcnt lgkmcnt(0)
	; wave barrier
	s_and_saveexec_b64 s[4:5], s[2:3]
	s_cbranch_execz .LBB52_386
; %bb.377:
	s_andn2_b64 vcc, exec, s[6:7]
	s_cbranch_vccnz .LBB52_379
; %bb.378:
	scratch_load_dwordx2 v[110:111], v11, off
	ds_read_b64 v[112:113], v1
	s_waitcnt vmcnt(0) lgkmcnt(0)
	v_mul_f64 v[110:111], v[110:111], v[112:113]
	s_cbranch_execz .LBB52_380
	s_branch .LBB52_381
.LBB52_379:
                                        ; implicit-def: $vgpr110_vgpr111
.LBB52_380:
	ds_read_b64 v[110:111], v1
.LBB52_381:
	s_and_saveexec_b64 s[8:9], s[0:1]
	s_cbranch_execz .LBB52_385
; %bb.382:
	v_add_u32_e32 v112, -14, v0
	s_movk_i32 s17, 0x220
	s_mov_b64 s[0:1], 0
.LBB52_383:                             ; =>This Inner Loop Header: Depth=1
	scratch_load_dwordx2 v[114:115], off, s16
	v_mov_b32_e32 v113, s17
	ds_read_b64 v[116:117], v113
	v_add_u32_e32 v112, -1, v112
	s_add_i32 s17, s17, 8
	s_add_i32 s16, s16, 8
	v_cmp_eq_u32_e32 vcc, 0, v112
	s_or_b64 s[0:1], vcc, s[0:1]
	s_waitcnt vmcnt(0) lgkmcnt(0)
	v_fmac_f64_e32 v[110:111], v[114:115], v[116:117]
	s_andn2_b64 exec, exec, s[0:1]
	s_cbranch_execnz .LBB52_383
; %bb.384:
	s_or_b64 exec, exec, s[0:1]
.LBB52_385:
	s_or_b64 exec, exec, s[8:9]
	v_mov_b32_e32 v112, 0
	ds_read_b64 v[112:113], v112 offset:104
	s_waitcnt lgkmcnt(0)
	v_mul_f64 v[110:111], v[110:111], v[112:113]
	scratch_store_dwordx2 off, v[110:111], off offset:104
.LBB52_386:
	s_or_b64 exec, exec, s[4:5]
	scratch_load_dwordx2 v[110:111], off, off offset:96
	v_cmp_lt_u32_e64 s[0:1], 12, v0
	s_waitcnt vmcnt(0)
	ds_write_b64 v1, v[110:111]
	s_waitcnt lgkmcnt(0)
	; wave barrier
	s_and_saveexec_b64 s[4:5], s[0:1]
	s_cbranch_execz .LBB52_396
; %bb.387:
	s_andn2_b64 vcc, exec, s[6:7]
	s_cbranch_vccnz .LBB52_389
; %bb.388:
	scratch_load_dwordx2 v[110:111], v11, off
	ds_read_b64 v[112:113], v1
	s_waitcnt vmcnt(0) lgkmcnt(0)
	v_mul_f64 v[110:111], v[110:111], v[112:113]
	s_cbranch_execz .LBB52_390
	s_branch .LBB52_391
.LBB52_389:
                                        ; implicit-def: $vgpr110_vgpr111
.LBB52_390:
	ds_read_b64 v[110:111], v1
.LBB52_391:
	s_and_saveexec_b64 s[8:9], s[2:3]
	s_cbranch_execz .LBB52_395
; %bb.392:
	s_movk_i32 s16, 0x68
	v_add_u32_e32 v112, -13, v0
	s_movk_i32 s17, 0x218
	s_mov_b64 s[2:3], 0
.LBB52_393:                             ; =>This Inner Loop Header: Depth=1
	scratch_load_dwordx2 v[114:115], off, s16
	v_mov_b32_e32 v113, s17
	ds_read_b64 v[116:117], v113
	v_add_u32_e32 v112, -1, v112
	s_add_i32 s17, s17, 8
	s_add_i32 s16, s16, 8
	v_cmp_eq_u32_e32 vcc, 0, v112
	s_or_b64 s[2:3], vcc, s[2:3]
	s_waitcnt vmcnt(0) lgkmcnt(0)
	v_fmac_f64_e32 v[110:111], v[114:115], v[116:117]
	s_andn2_b64 exec, exec, s[2:3]
	s_cbranch_execnz .LBB52_393
; %bb.394:
	s_or_b64 exec, exec, s[2:3]
.LBB52_395:
	s_or_b64 exec, exec, s[8:9]
	v_mov_b32_e32 v112, 0
	ds_read_b64 v[112:113], v112 offset:96
	s_waitcnt lgkmcnt(0)
	v_mul_f64 v[110:111], v[110:111], v[112:113]
	scratch_store_dwordx2 off, v[110:111], off offset:96
.LBB52_396:
	s_or_b64 exec, exec, s[4:5]
	scratch_load_dwordx2 v[110:111], off, off offset:88
	v_cmp_lt_u32_e64 s[2:3], 11, v0
	s_waitcnt vmcnt(0)
	ds_write_b64 v1, v[110:111]
	s_waitcnt lgkmcnt(0)
	; wave barrier
	s_and_saveexec_b64 s[4:5], s[2:3]
	s_cbranch_execz .LBB52_406
; %bb.397:
	s_andn2_b64 vcc, exec, s[6:7]
	s_cbranch_vccnz .LBB52_399
; %bb.398:
	scratch_load_dwordx2 v[110:111], v11, off
	ds_read_b64 v[112:113], v1
	s_waitcnt vmcnt(0) lgkmcnt(0)
	v_mul_f64 v[110:111], v[110:111], v[112:113]
	s_cbranch_execz .LBB52_400
	s_branch .LBB52_401
.LBB52_399:
                                        ; implicit-def: $vgpr110_vgpr111
.LBB52_400:
	ds_read_b64 v[110:111], v1
.LBB52_401:
	s_and_saveexec_b64 s[8:9], s[0:1]
	s_cbranch_execz .LBB52_405
; %bb.402:
	v_add_u32_e32 v112, -12, v0
	s_movk_i32 s16, 0x210
	s_mov_b64 s[0:1], 0
.LBB52_403:                             ; =>This Inner Loop Header: Depth=1
	scratch_load_dwordx2 v[114:115], off, s15
	v_mov_b32_e32 v113, s16
	ds_read_b64 v[116:117], v113
	v_add_u32_e32 v112, -1, v112
	s_add_i32 s16, s16, 8
	s_add_i32 s15, s15, 8
	v_cmp_eq_u32_e32 vcc, 0, v112
	s_or_b64 s[0:1], vcc, s[0:1]
	s_waitcnt vmcnt(0) lgkmcnt(0)
	v_fmac_f64_e32 v[110:111], v[114:115], v[116:117]
	s_andn2_b64 exec, exec, s[0:1]
	s_cbranch_execnz .LBB52_403
; %bb.404:
	s_or_b64 exec, exec, s[0:1]
.LBB52_405:
	s_or_b64 exec, exec, s[8:9]
	v_mov_b32_e32 v112, 0
	ds_read_b64 v[112:113], v112 offset:88
	s_waitcnt lgkmcnt(0)
	v_mul_f64 v[110:111], v[110:111], v[112:113]
	scratch_store_dwordx2 off, v[110:111], off offset:88
.LBB52_406:
	s_or_b64 exec, exec, s[4:5]
	scratch_load_dwordx2 v[110:111], off, off offset:80
	v_cmp_lt_u32_e64 s[0:1], 10, v0
	s_waitcnt vmcnt(0)
	ds_write_b64 v1, v[110:111]
	s_waitcnt lgkmcnt(0)
	; wave barrier
	s_and_saveexec_b64 s[4:5], s[0:1]
	s_cbranch_execz .LBB52_416
; %bb.407:
	s_andn2_b64 vcc, exec, s[6:7]
	s_cbranch_vccnz .LBB52_409
; %bb.408:
	scratch_load_dwordx2 v[110:111], v11, off
	ds_read_b64 v[112:113], v1
	s_waitcnt vmcnt(0) lgkmcnt(0)
	v_mul_f64 v[110:111], v[110:111], v[112:113]
	s_cbranch_execz .LBB52_410
	s_branch .LBB52_411
.LBB52_409:
                                        ; implicit-def: $vgpr110_vgpr111
.LBB52_410:
	ds_read_b64 v[110:111], v1
.LBB52_411:
	s_and_saveexec_b64 s[8:9], s[2:3]
	s_cbranch_execz .LBB52_415
; %bb.412:
	s_movk_i32 s15, 0x58
	v_add_u32_e32 v112, -11, v0
	s_movk_i32 s16, 0x208
	s_mov_b64 s[2:3], 0
.LBB52_413:                             ; =>This Inner Loop Header: Depth=1
	scratch_load_dwordx2 v[114:115], off, s15
	v_mov_b32_e32 v113, s16
	ds_read_b64 v[116:117], v113
	v_add_u32_e32 v112, -1, v112
	s_add_i32 s16, s16, 8
	s_add_i32 s15, s15, 8
	v_cmp_eq_u32_e32 vcc, 0, v112
	s_or_b64 s[2:3], vcc, s[2:3]
	s_waitcnt vmcnt(0) lgkmcnt(0)
	v_fmac_f64_e32 v[110:111], v[114:115], v[116:117]
	s_andn2_b64 exec, exec, s[2:3]
	s_cbranch_execnz .LBB52_413
; %bb.414:
	s_or_b64 exec, exec, s[2:3]
.LBB52_415:
	s_or_b64 exec, exec, s[8:9]
	v_mov_b32_e32 v112, 0
	ds_read_b64 v[112:113], v112 offset:80
	s_waitcnt lgkmcnt(0)
	v_mul_f64 v[110:111], v[110:111], v[112:113]
	scratch_store_dwordx2 off, v[110:111], off offset:80
.LBB52_416:
	s_or_b64 exec, exec, s[4:5]
	scratch_load_dwordx2 v[110:111], off, off offset:72
	v_cmp_lt_u32_e64 s[2:3], 9, v0
	s_waitcnt vmcnt(0)
	ds_write_b64 v1, v[110:111]
	s_waitcnt lgkmcnt(0)
	; wave barrier
	s_and_saveexec_b64 s[4:5], s[2:3]
	s_cbranch_execz .LBB52_426
; %bb.417:
	s_andn2_b64 vcc, exec, s[6:7]
	s_cbranch_vccnz .LBB52_419
; %bb.418:
	scratch_load_dwordx2 v[110:111], v11, off
	ds_read_b64 v[112:113], v1
	s_waitcnt vmcnt(0) lgkmcnt(0)
	v_mul_f64 v[110:111], v[110:111], v[112:113]
	s_cbranch_execz .LBB52_420
	s_branch .LBB52_421
.LBB52_419:
                                        ; implicit-def: $vgpr110_vgpr111
.LBB52_420:
	ds_read_b64 v[110:111], v1
.LBB52_421:
	s_and_saveexec_b64 s[8:9], s[0:1]
	s_cbranch_execz .LBB52_425
; %bb.422:
	v_add_u32_e32 v112, -10, v0
	s_movk_i32 s15, 0x200
	s_mov_b64 s[0:1], 0
.LBB52_423:                             ; =>This Inner Loop Header: Depth=1
	scratch_load_dwordx2 v[114:115], off, s14
	v_mov_b32_e32 v113, s15
	ds_read_b64 v[116:117], v113
	v_add_u32_e32 v112, -1, v112
	s_add_i32 s15, s15, 8
	s_add_i32 s14, s14, 8
	v_cmp_eq_u32_e32 vcc, 0, v112
	s_or_b64 s[0:1], vcc, s[0:1]
	s_waitcnt vmcnt(0) lgkmcnt(0)
	v_fmac_f64_e32 v[110:111], v[114:115], v[116:117]
	s_andn2_b64 exec, exec, s[0:1]
	s_cbranch_execnz .LBB52_423
; %bb.424:
	s_or_b64 exec, exec, s[0:1]
.LBB52_425:
	s_or_b64 exec, exec, s[8:9]
	v_mov_b32_e32 v112, 0
	ds_read_b64 v[112:113], v112 offset:72
	s_waitcnt lgkmcnt(0)
	v_mul_f64 v[110:111], v[110:111], v[112:113]
	scratch_store_dwordx2 off, v[110:111], off offset:72
.LBB52_426:
	s_or_b64 exec, exec, s[4:5]
	scratch_load_dwordx2 v[110:111], off, off offset:64
	v_cmp_lt_u32_e64 s[0:1], 8, v0
	s_waitcnt vmcnt(0)
	ds_write_b64 v1, v[110:111]
	s_waitcnt lgkmcnt(0)
	; wave barrier
	s_and_saveexec_b64 s[4:5], s[0:1]
	s_cbranch_execz .LBB52_436
; %bb.427:
	s_andn2_b64 vcc, exec, s[6:7]
	s_cbranch_vccnz .LBB52_429
; %bb.428:
	scratch_load_dwordx2 v[110:111], v11, off
	ds_read_b64 v[112:113], v1
	s_waitcnt vmcnt(0) lgkmcnt(0)
	v_mul_f64 v[110:111], v[110:111], v[112:113]
	s_cbranch_execz .LBB52_430
	s_branch .LBB52_431
.LBB52_429:
                                        ; implicit-def: $vgpr110_vgpr111
.LBB52_430:
	ds_read_b64 v[110:111], v1
.LBB52_431:
	s_and_saveexec_b64 s[8:9], s[2:3]
	s_cbranch_execz .LBB52_435
; %bb.432:
	s_movk_i32 s14, 0x48
	v_add_u32_e32 v112, -9, v0
	s_movk_i32 s15, 0x1f8
	s_mov_b64 s[2:3], 0
.LBB52_433:                             ; =>This Inner Loop Header: Depth=1
	scratch_load_dwordx2 v[114:115], off, s14
	v_mov_b32_e32 v113, s15
	ds_read_b64 v[116:117], v113
	v_add_u32_e32 v112, -1, v112
	s_add_i32 s15, s15, 8
	s_add_i32 s14, s14, 8
	v_cmp_eq_u32_e32 vcc, 0, v112
	s_or_b64 s[2:3], vcc, s[2:3]
	s_waitcnt vmcnt(0) lgkmcnt(0)
	v_fmac_f64_e32 v[110:111], v[114:115], v[116:117]
	s_andn2_b64 exec, exec, s[2:3]
	s_cbranch_execnz .LBB52_433
; %bb.434:
	s_or_b64 exec, exec, s[2:3]
.LBB52_435:
	s_or_b64 exec, exec, s[8:9]
	v_mov_b32_e32 v112, 0
	ds_read_b64 v[112:113], v112 offset:64
	s_waitcnt lgkmcnt(0)
	v_mul_f64 v[110:111], v[110:111], v[112:113]
	scratch_store_dwordx2 off, v[110:111], off offset:64
.LBB52_436:
	s_or_b64 exec, exec, s[4:5]
	scratch_load_dwordx2 v[110:111], off, off offset:56
	v_cmp_lt_u32_e64 s[2:3], 7, v0
	s_waitcnt vmcnt(0)
	ds_write_b64 v1, v[110:111]
	s_waitcnt lgkmcnt(0)
	; wave barrier
	s_and_saveexec_b64 s[4:5], s[2:3]
	s_cbranch_execz .LBB52_446
; %bb.437:
	s_andn2_b64 vcc, exec, s[6:7]
	s_cbranch_vccnz .LBB52_439
; %bb.438:
	scratch_load_dwordx2 v[110:111], v11, off
	ds_read_b64 v[112:113], v1
	s_waitcnt vmcnt(0) lgkmcnt(0)
	v_mul_f64 v[110:111], v[110:111], v[112:113]
	s_cbranch_execz .LBB52_440
	s_branch .LBB52_441
.LBB52_439:
                                        ; implicit-def: $vgpr110_vgpr111
.LBB52_440:
	ds_read_b64 v[110:111], v1
.LBB52_441:
	s_and_saveexec_b64 s[8:9], s[0:1]
	s_cbranch_execz .LBB52_445
; %bb.442:
	v_add_u32_e32 v112, -8, v0
	s_movk_i32 s14, 0x1f0
	s_mov_b64 s[0:1], 0
.LBB52_443:                             ; =>This Inner Loop Header: Depth=1
	scratch_load_dwordx2 v[114:115], off, s13
	v_mov_b32_e32 v113, s14
	ds_read_b64 v[116:117], v113
	v_add_u32_e32 v112, -1, v112
	s_add_i32 s14, s14, 8
	s_add_i32 s13, s13, 8
	v_cmp_eq_u32_e32 vcc, 0, v112
	s_or_b64 s[0:1], vcc, s[0:1]
	s_waitcnt vmcnt(0) lgkmcnt(0)
	v_fmac_f64_e32 v[110:111], v[114:115], v[116:117]
	s_andn2_b64 exec, exec, s[0:1]
	s_cbranch_execnz .LBB52_443
; %bb.444:
	s_or_b64 exec, exec, s[0:1]
.LBB52_445:
	s_or_b64 exec, exec, s[8:9]
	v_mov_b32_e32 v112, 0
	ds_read_b64 v[112:113], v112 offset:56
	s_waitcnt lgkmcnt(0)
	v_mul_f64 v[110:111], v[110:111], v[112:113]
	scratch_store_dwordx2 off, v[110:111], off offset:56
.LBB52_446:
	s_or_b64 exec, exec, s[4:5]
	scratch_load_dwordx2 v[110:111], off, off offset:48
	v_cmp_lt_u32_e64 s[0:1], 6, v0
	s_waitcnt vmcnt(0)
	ds_write_b64 v1, v[110:111]
	s_waitcnt lgkmcnt(0)
	; wave barrier
	s_and_saveexec_b64 s[4:5], s[0:1]
	s_cbranch_execz .LBB52_456
; %bb.447:
	s_andn2_b64 vcc, exec, s[6:7]
	s_cbranch_vccnz .LBB52_449
; %bb.448:
	scratch_load_dwordx2 v[110:111], v11, off
	ds_read_b64 v[112:113], v1
	s_waitcnt vmcnt(0) lgkmcnt(0)
	v_mul_f64 v[110:111], v[110:111], v[112:113]
	s_cbranch_execz .LBB52_450
	s_branch .LBB52_451
.LBB52_449:
                                        ; implicit-def: $vgpr110_vgpr111
.LBB52_450:
	ds_read_b64 v[110:111], v1
.LBB52_451:
	s_and_saveexec_b64 s[8:9], s[2:3]
	s_cbranch_execz .LBB52_455
; %bb.452:
	s_mov_b32 s13, 56
	v_add_u32_e32 v112, -7, v0
	s_movk_i32 s14, 0x1e8
	s_mov_b64 s[2:3], 0
.LBB52_453:                             ; =>This Inner Loop Header: Depth=1
	scratch_load_dwordx2 v[114:115], off, s13
	v_mov_b32_e32 v113, s14
	ds_read_b64 v[116:117], v113
	v_add_u32_e32 v112, -1, v112
	s_add_i32 s14, s14, 8
	s_add_i32 s13, s13, 8
	v_cmp_eq_u32_e32 vcc, 0, v112
	s_or_b64 s[2:3], vcc, s[2:3]
	s_waitcnt vmcnt(0) lgkmcnt(0)
	v_fmac_f64_e32 v[110:111], v[114:115], v[116:117]
	s_andn2_b64 exec, exec, s[2:3]
	s_cbranch_execnz .LBB52_453
; %bb.454:
	s_or_b64 exec, exec, s[2:3]
.LBB52_455:
	s_or_b64 exec, exec, s[8:9]
	v_mov_b32_e32 v112, 0
	ds_read_b64 v[112:113], v112 offset:48
	s_waitcnt lgkmcnt(0)
	v_mul_f64 v[110:111], v[110:111], v[112:113]
	scratch_store_dwordx2 off, v[110:111], off offset:48
.LBB52_456:
	s_or_b64 exec, exec, s[4:5]
	scratch_load_dwordx2 v[110:111], off, off offset:40
	v_cmp_lt_u32_e64 s[2:3], 5, v0
	s_waitcnt vmcnt(0)
	ds_write_b64 v1, v[110:111]
	s_waitcnt lgkmcnt(0)
	; wave barrier
	s_and_saveexec_b64 s[4:5], s[2:3]
	s_cbranch_execz .LBB52_466
; %bb.457:
	s_andn2_b64 vcc, exec, s[6:7]
	s_cbranch_vccnz .LBB52_459
; %bb.458:
	scratch_load_dwordx2 v[110:111], v11, off
	ds_read_b64 v[112:113], v1
	s_waitcnt vmcnt(0) lgkmcnt(0)
	v_mul_f64 v[110:111], v[110:111], v[112:113]
	s_cbranch_execz .LBB52_460
	s_branch .LBB52_461
.LBB52_459:
                                        ; implicit-def: $vgpr110_vgpr111
.LBB52_460:
	ds_read_b64 v[110:111], v1
.LBB52_461:
	s_and_saveexec_b64 s[8:9], s[0:1]
	s_cbranch_execz .LBB52_465
; %bb.462:
	v_add_u32_e32 v112, -6, v0
	s_movk_i32 s13, 0x1e0
	s_mov_b64 s[0:1], 0
.LBB52_463:                             ; =>This Inner Loop Header: Depth=1
	scratch_load_dwordx2 v[114:115], off, s12
	v_mov_b32_e32 v113, s13
	ds_read_b64 v[116:117], v113
	v_add_u32_e32 v112, -1, v112
	s_add_i32 s13, s13, 8
	s_add_i32 s12, s12, 8
	v_cmp_eq_u32_e32 vcc, 0, v112
	s_or_b64 s[0:1], vcc, s[0:1]
	s_waitcnt vmcnt(0) lgkmcnt(0)
	v_fmac_f64_e32 v[110:111], v[114:115], v[116:117]
	s_andn2_b64 exec, exec, s[0:1]
	s_cbranch_execnz .LBB52_463
; %bb.464:
	s_or_b64 exec, exec, s[0:1]
.LBB52_465:
	s_or_b64 exec, exec, s[8:9]
	v_mov_b32_e32 v112, 0
	ds_read_b64 v[112:113], v112 offset:40
	s_waitcnt lgkmcnt(0)
	v_mul_f64 v[110:111], v[110:111], v[112:113]
	scratch_store_dwordx2 off, v[110:111], off offset:40
.LBB52_466:
	s_or_b64 exec, exec, s[4:5]
	scratch_load_dwordx2 v[110:111], off, off offset:32
	v_cmp_lt_u32_e64 s[0:1], 4, v0
	s_waitcnt vmcnt(0)
	ds_write_b64 v1, v[110:111]
	s_waitcnt lgkmcnt(0)
	; wave barrier
	s_and_saveexec_b64 s[4:5], s[0:1]
	s_cbranch_execz .LBB52_476
; %bb.467:
	s_andn2_b64 vcc, exec, s[6:7]
	s_cbranch_vccnz .LBB52_469
; %bb.468:
	scratch_load_dwordx2 v[110:111], v11, off
	ds_read_b64 v[112:113], v1
	s_waitcnt vmcnt(0) lgkmcnt(0)
	v_mul_f64 v[110:111], v[110:111], v[112:113]
	s_cbranch_execz .LBB52_470
	s_branch .LBB52_471
.LBB52_469:
                                        ; implicit-def: $vgpr110_vgpr111
.LBB52_470:
	ds_read_b64 v[110:111], v1
.LBB52_471:
	s_and_saveexec_b64 s[8:9], s[2:3]
	s_cbranch_execz .LBB52_475
; %bb.472:
	s_mov_b32 s12, 40
	v_add_u32_e32 v112, -5, v0
	s_movk_i32 s13, 0x1d8
	s_mov_b64 s[2:3], 0
.LBB52_473:                             ; =>This Inner Loop Header: Depth=1
	scratch_load_dwordx2 v[114:115], off, s12
	v_mov_b32_e32 v113, s13
	ds_read_b64 v[116:117], v113
	v_add_u32_e32 v112, -1, v112
	s_add_i32 s13, s13, 8
	s_add_i32 s12, s12, 8
	v_cmp_eq_u32_e32 vcc, 0, v112
	s_or_b64 s[2:3], vcc, s[2:3]
	s_waitcnt vmcnt(0) lgkmcnt(0)
	v_fmac_f64_e32 v[110:111], v[114:115], v[116:117]
	s_andn2_b64 exec, exec, s[2:3]
	s_cbranch_execnz .LBB52_473
; %bb.474:
	s_or_b64 exec, exec, s[2:3]
.LBB52_475:
	s_or_b64 exec, exec, s[8:9]
	v_mov_b32_e32 v112, 0
	ds_read_b64 v[112:113], v112 offset:32
	s_waitcnt lgkmcnt(0)
	v_mul_f64 v[110:111], v[110:111], v[112:113]
	scratch_store_dwordx2 off, v[110:111], off offset:32
.LBB52_476:
	s_or_b64 exec, exec, s[4:5]
	scratch_load_dwordx2 v[110:111], off, off offset:24
	v_cmp_lt_u32_e64 s[2:3], 3, v0
	s_waitcnt vmcnt(0)
	ds_write_b64 v1, v[110:111]
	s_waitcnt lgkmcnt(0)
	; wave barrier
	s_and_saveexec_b64 s[4:5], s[2:3]
	s_cbranch_execz .LBB52_486
; %bb.477:
	s_andn2_b64 vcc, exec, s[6:7]
	s_cbranch_vccnz .LBB52_479
; %bb.478:
	scratch_load_dwordx2 v[110:111], v11, off
	ds_read_b64 v[112:113], v1
	s_waitcnt vmcnt(0) lgkmcnt(0)
	v_mul_f64 v[110:111], v[110:111], v[112:113]
	s_cbranch_execz .LBB52_480
	s_branch .LBB52_481
.LBB52_479:
                                        ; implicit-def: $vgpr110_vgpr111
.LBB52_480:
	ds_read_b64 v[110:111], v1
.LBB52_481:
	s_and_saveexec_b64 s[8:9], s[0:1]
	s_cbranch_execz .LBB52_485
; %bb.482:
	v_add_u32_e32 v112, -4, v0
	s_movk_i32 s12, 0x1d0
	s_mov_b64 s[0:1], 0
.LBB52_483:                             ; =>This Inner Loop Header: Depth=1
	scratch_load_dwordx2 v[114:115], off, s11
	v_mov_b32_e32 v113, s12
	ds_read_b64 v[116:117], v113
	v_add_u32_e32 v112, -1, v112
	s_add_i32 s12, s12, 8
	s_add_i32 s11, s11, 8
	v_cmp_eq_u32_e32 vcc, 0, v112
	s_or_b64 s[0:1], vcc, s[0:1]
	s_waitcnt vmcnt(0) lgkmcnt(0)
	v_fmac_f64_e32 v[110:111], v[114:115], v[116:117]
	s_andn2_b64 exec, exec, s[0:1]
	s_cbranch_execnz .LBB52_483
; %bb.484:
	s_or_b64 exec, exec, s[0:1]
.LBB52_485:
	s_or_b64 exec, exec, s[8:9]
	v_mov_b32_e32 v112, 0
	ds_read_b64 v[112:113], v112 offset:24
	s_waitcnt lgkmcnt(0)
	v_mul_f64 v[110:111], v[110:111], v[112:113]
	scratch_store_dwordx2 off, v[110:111], off offset:24
.LBB52_486:
	s_or_b64 exec, exec, s[4:5]
	scratch_load_dwordx2 v[110:111], off, off offset:16
	v_cmp_lt_u32_e64 s[0:1], 2, v0
	s_waitcnt vmcnt(0)
	ds_write_b64 v1, v[110:111]
	s_waitcnt lgkmcnt(0)
	; wave barrier
	s_and_saveexec_b64 s[4:5], s[0:1]
	s_cbranch_execz .LBB52_496
; %bb.487:
	s_andn2_b64 vcc, exec, s[6:7]
	s_cbranch_vccnz .LBB52_489
; %bb.488:
	scratch_load_dwordx2 v[110:111], v11, off
	ds_read_b64 v[112:113], v1
	s_waitcnt vmcnt(0) lgkmcnt(0)
	v_mul_f64 v[110:111], v[110:111], v[112:113]
	s_cbranch_execz .LBB52_490
	s_branch .LBB52_491
.LBB52_489:
                                        ; implicit-def: $vgpr110_vgpr111
.LBB52_490:
	ds_read_b64 v[110:111], v1
.LBB52_491:
	s_and_saveexec_b64 s[8:9], s[2:3]
	s_cbranch_execz .LBB52_495
; %bb.492:
	s_mov_b32 s11, 24
	v_add_u32_e32 v112, -3, v0
	s_movk_i32 s12, 0x1c8
	s_mov_b64 s[2:3], 0
.LBB52_493:                             ; =>This Inner Loop Header: Depth=1
	scratch_load_dwordx2 v[114:115], off, s11
	v_mov_b32_e32 v113, s12
	ds_read_b64 v[116:117], v113
	v_add_u32_e32 v112, -1, v112
	s_add_i32 s12, s12, 8
	s_add_i32 s11, s11, 8
	v_cmp_eq_u32_e32 vcc, 0, v112
	s_or_b64 s[2:3], vcc, s[2:3]
	s_waitcnt vmcnt(0) lgkmcnt(0)
	v_fmac_f64_e32 v[110:111], v[114:115], v[116:117]
	s_andn2_b64 exec, exec, s[2:3]
	s_cbranch_execnz .LBB52_493
; %bb.494:
	s_or_b64 exec, exec, s[2:3]
.LBB52_495:
	s_or_b64 exec, exec, s[8:9]
	v_mov_b32_e32 v112, 0
	ds_read_b64 v[112:113], v112 offset:16
	s_waitcnt lgkmcnt(0)
	v_mul_f64 v[110:111], v[110:111], v[112:113]
	scratch_store_dwordx2 off, v[110:111], off offset:16
.LBB52_496:
	s_or_b64 exec, exec, s[4:5]
	scratch_load_dwordx2 v[110:111], off, off offset:8
	v_cmp_lt_u32_e64 s[2:3], 1, v0
	s_waitcnt vmcnt(0)
	ds_write_b64 v1, v[110:111]
	s_waitcnt lgkmcnt(0)
	; wave barrier
	s_and_saveexec_b64 s[4:5], s[2:3]
	s_cbranch_execz .LBB52_506
; %bb.497:
	s_andn2_b64 vcc, exec, s[6:7]
	s_cbranch_vccnz .LBB52_499
; %bb.498:
	scratch_load_dwordx2 v[110:111], v11, off
	ds_read_b64 v[112:113], v1
	s_waitcnt vmcnt(0) lgkmcnt(0)
	v_mul_f64 v[110:111], v[110:111], v[112:113]
	s_cbranch_execz .LBB52_500
	s_branch .LBB52_501
.LBB52_499:
                                        ; implicit-def: $vgpr110_vgpr111
.LBB52_500:
	ds_read_b64 v[110:111], v1
.LBB52_501:
	s_and_saveexec_b64 s[8:9], s[0:1]
	s_cbranch_execz .LBB52_505
; %bb.502:
	v_add_u32_e32 v112, -2, v0
	s_movk_i32 s11, 0x1c0
	s_mov_b64 s[0:1], 0
.LBB52_503:                             ; =>This Inner Loop Header: Depth=1
	scratch_load_dwordx2 v[114:115], off, s10
	v_mov_b32_e32 v113, s11
	ds_read_b64 v[116:117], v113
	v_add_u32_e32 v112, -1, v112
	s_add_i32 s11, s11, 8
	s_add_i32 s10, s10, 8
	v_cmp_eq_u32_e32 vcc, 0, v112
	s_or_b64 s[0:1], vcc, s[0:1]
	s_waitcnt vmcnt(0) lgkmcnt(0)
	v_fmac_f64_e32 v[110:111], v[114:115], v[116:117]
	s_andn2_b64 exec, exec, s[0:1]
	s_cbranch_execnz .LBB52_503
; %bb.504:
	s_or_b64 exec, exec, s[0:1]
.LBB52_505:
	s_or_b64 exec, exec, s[8:9]
	v_mov_b32_e32 v112, 0
	ds_read_b64 v[112:113], v112 offset:8
	s_waitcnt lgkmcnt(0)
	v_mul_f64 v[110:111], v[110:111], v[112:113]
	scratch_store_dwordx2 off, v[110:111], off offset:8
.LBB52_506:
	s_or_b64 exec, exec, s[4:5]
	scratch_load_dwordx2 v[110:111], off, off
	v_cmp_ne_u32_e32 vcc, 0, v0
	s_waitcnt vmcnt(0)
	ds_write_b64 v1, v[110:111]
	s_waitcnt lgkmcnt(0)
	; wave barrier
	s_and_saveexec_b64 s[0:1], vcc
	s_cbranch_execz .LBB52_516
; %bb.507:
	s_andn2_b64 vcc, exec, s[6:7]
	s_cbranch_vccnz .LBB52_509
; %bb.508:
	scratch_load_dwordx2 v[110:111], v11, off
	ds_read_b64 v[112:113], v1
	s_waitcnt vmcnt(0) lgkmcnt(0)
	v_mul_f64 v[110:111], v[110:111], v[112:113]
	s_cbranch_execz .LBB52_510
	s_branch .LBB52_511
.LBB52_509:
                                        ; implicit-def: $vgpr110_vgpr111
.LBB52_510:
	ds_read_b64 v[110:111], v1
.LBB52_511:
	s_and_saveexec_b64 s[4:5], s[2:3]
	s_cbranch_execz .LBB52_515
; %bb.512:
	s_or_b32 s8, 0, 8
	v_add_u32_e32 v112, -1, v0
	s_movk_i32 s9, 0x1b8
	s_mov_b64 s[2:3], 0
.LBB52_513:                             ; =>This Inner Loop Header: Depth=1
	scratch_load_dwordx2 v[114:115], off, s8
	v_mov_b32_e32 v113, s9
	ds_read_b64 v[116:117], v113
	v_add_u32_e32 v112, -1, v112
	s_add_i32 s9, s9, 8
	s_add_i32 s8, s8, 8
	v_cmp_eq_u32_e32 vcc, 0, v112
	s_or_b64 s[2:3], vcc, s[2:3]
	s_waitcnt vmcnt(0) lgkmcnt(0)
	v_fmac_f64_e32 v[110:111], v[114:115], v[116:117]
	s_andn2_b64 exec, exec, s[2:3]
	s_cbranch_execnz .LBB52_513
; %bb.514:
	s_or_b64 exec, exec, s[2:3]
.LBB52_515:
	s_or_b64 exec, exec, s[4:5]
	v_mov_b32_e32 v112, 0
	ds_read_b64 v[112:113], v112
	s_waitcnt lgkmcnt(0)
	v_mul_f64 v[110:111], v[110:111], v[112:113]
	scratch_store_dwordx2 off, v[110:111], off
.LBB52_516:
	s_or_b64 exec, exec, s[0:1]
	s_mov_b64 s[0:1], 0
.LBB52_517:
	s_and_b64 vcc, exec, s[0:1]
	s_cbranch_vccz .LBB52_1029
; %bb.518:
	scratch_load_dwordx2 v[110:111], off, off offset:8
	v_cmp_eq_u32_e64 s[2:3], 0, v0
	s_waitcnt vmcnt(0)
	ds_write_b64 v1, v[110:111]
	s_waitcnt lgkmcnt(0)
	; wave barrier
	s_and_saveexec_b64 s[0:1], s[2:3]
	s_cbranch_execz .LBB52_524
; %bb.519:
	s_and_b64 vcc, exec, s[6:7]
	s_cbranch_vccz .LBB52_521
; %bb.520:
	scratch_load_dwordx2 v[110:111], v11, off
	ds_read_b64 v[112:113], v1
	s_waitcnt vmcnt(0) lgkmcnt(0)
	v_mul_f64 v[110:111], v[110:111], v[112:113]
	s_cbranch_execz .LBB52_522
	s_branch .LBB52_523
.LBB52_521:
                                        ; implicit-def: $vgpr110_vgpr111
.LBB52_522:
	ds_read_b64 v[110:111], v1
.LBB52_523:
	v_mov_b32_e32 v112, 0
	ds_read_b64 v[112:113], v112 offset:8
	s_waitcnt lgkmcnt(0)
	v_mul_f64 v[110:111], v[110:111], v[112:113]
	scratch_store_dwordx2 off, v[110:111], off offset:8
.LBB52_524:
	s_or_b64 exec, exec, s[0:1]
	scratch_load_dwordx2 v[110:111], off, off offset:16
	v_cndmask_b32_e64 v112, 0, 1, s[6:7]
	v_cmp_gt_u32_e32 vcc, 2, v0
	v_cmp_ne_u32_e64 s[0:1], 1, v112
	s_waitcnt vmcnt(0)
	ds_write_b64 v1, v[110:111]
	s_waitcnt lgkmcnt(0)
	; wave barrier
	s_and_saveexec_b64 s[4:5], vcc
	s_cbranch_execz .LBB52_530
; %bb.525:
	s_and_b64 vcc, exec, s[0:1]
	s_cbranch_vccnz .LBB52_527
; %bb.526:
	scratch_load_dwordx2 v[110:111], v11, off
	ds_read_b64 v[112:113], v1
	s_waitcnt vmcnt(0) lgkmcnt(0)
	v_mul_f64 v[110:111], v[110:111], v[112:113]
	s_cbranch_execz .LBB52_528
	s_branch .LBB52_529
.LBB52_527:
                                        ; implicit-def: $vgpr110_vgpr111
.LBB52_528:
	ds_read_b64 v[110:111], v1
.LBB52_529:
	scratch_load_dwordx2 v[116:117], off, off offset:8
	v_mov_b32_e32 v112, 0
	ds_read2_b64 v[112:115], v112 offset0:2 offset1:55
	s_waitcnt vmcnt(0) lgkmcnt(0)
	v_fma_f64 v[114:115], v[116:117], v[114:115], v[110:111]
	v_cndmask_b32_e64 v111, v111, v115, s[2:3]
	v_cndmask_b32_e64 v110, v110, v114, s[2:3]
	v_mul_f64 v[110:111], v[110:111], v[112:113]
	scratch_store_dwordx2 off, v[110:111], off offset:16
.LBB52_530:
	s_or_b64 exec, exec, s[4:5]
	scratch_load_dwordx2 v[110:111], off, off offset:24
	v_cmp_gt_u32_e32 vcc, 3, v0
	s_waitcnt vmcnt(0)
	ds_write_b64 v1, v[110:111]
	s_waitcnt lgkmcnt(0)
	; wave barrier
	s_and_saveexec_b64 s[4:5], vcc
	s_cbranch_execz .LBB52_538
; %bb.531:
	s_and_b64 vcc, exec, s[0:1]
	s_cbranch_vccnz .LBB52_533
; %bb.532:
	scratch_load_dwordx2 v[110:111], v11, off
	ds_read_b64 v[112:113], v1
	s_waitcnt vmcnt(0) lgkmcnt(0)
	v_mul_f64 v[110:111], v[110:111], v[112:113]
	s_cbranch_execz .LBB52_534
	s_branch .LBB52_535
.LBB52_533:
                                        ; implicit-def: $vgpr110_vgpr111
.LBB52_534:
	ds_read_b64 v[110:111], v1
.LBB52_535:
	v_cmp_ne_u32_e32 vcc, 2, v0
	s_and_saveexec_b64 s[6:7], vcc
	s_cbranch_execz .LBB52_537
; %bb.536:
	scratch_load_dwordx2 v[112:113], v11, off offset:8
	scratch_load_dwordx2 v[114:115], off, off offset:16
	ds_read_b64 v[116:117], v1 offset:8
	v_mov_b32_e32 v118, 0
	ds_read_b64 v[118:119], v118 offset:448
	s_waitcnt vmcnt(1) lgkmcnt(1)
	v_fmac_f64_e32 v[110:111], v[112:113], v[116:117]
	s_waitcnt vmcnt(0) lgkmcnt(0)
	v_fma_f64 v[112:113], v[114:115], v[118:119], v[110:111]
	v_cndmask_b32_e64 v111, v111, v113, s[2:3]
	v_cndmask_b32_e64 v110, v110, v112, s[2:3]
.LBB52_537:
	s_or_b64 exec, exec, s[6:7]
	v_mov_b32_e32 v112, 0
	ds_read_b64 v[112:113], v112 offset:24
	s_waitcnt lgkmcnt(0)
	v_mul_f64 v[110:111], v[110:111], v[112:113]
	scratch_store_dwordx2 off, v[110:111], off offset:24
.LBB52_538:
	s_or_b64 exec, exec, s[4:5]
	scratch_load_dwordx2 v[110:111], off, off offset:32
	v_cmp_gt_u32_e32 vcc, 4, v0
	s_waitcnt vmcnt(0)
	ds_write_b64 v1, v[110:111]
	s_waitcnt lgkmcnt(0)
	; wave barrier
	s_and_saveexec_b64 s[2:3], vcc
	s_cbranch_execz .LBB52_548
; %bb.539:
	s_and_b64 vcc, exec, s[0:1]
	s_cbranch_vccnz .LBB52_541
; %bb.540:
	scratch_load_dwordx2 v[110:111], v11, off
	ds_read_b64 v[112:113], v1
	s_waitcnt vmcnt(0) lgkmcnt(0)
	v_mul_f64 v[110:111], v[110:111], v[112:113]
	s_cbranch_execz .LBB52_542
	s_branch .LBB52_543
.LBB52_541:
                                        ; implicit-def: $vgpr110_vgpr111
.LBB52_542:
	ds_read_b64 v[110:111], v1
.LBB52_543:
	v_cmp_ne_u32_e32 vcc, 3, v0
	s_and_saveexec_b64 s[4:5], vcc
	s_cbranch_execz .LBB52_547
; %bb.544:
	s_mov_b32 s6, 0
	v_add_u32_e32 v112, 0x1b8, v10
	v_add3_u32 v113, v10, s6, 8
	s_mov_b64 s[6:7], 0
	v_mov_b32_e32 v114, v0
.LBB52_545:                             ; =>This Inner Loop Header: Depth=1
	scratch_load_dwordx2 v[116:117], v113, off
	ds_read_b64 v[118:119], v112
	v_add_u32_e32 v114, 1, v114
	v_cmp_lt_u32_e32 vcc, 2, v114
	v_add_u32_e32 v112, 8, v112
	v_add_u32_e32 v113, 8, v113
	s_or_b64 s[6:7], vcc, s[6:7]
	s_waitcnt vmcnt(0) lgkmcnt(0)
	v_fmac_f64_e32 v[110:111], v[116:117], v[118:119]
	s_andn2_b64 exec, exec, s[6:7]
	s_cbranch_execnz .LBB52_545
; %bb.546:
	s_or_b64 exec, exec, s[6:7]
.LBB52_547:
	s_or_b64 exec, exec, s[4:5]
	v_mov_b32_e32 v112, 0
	ds_read_b64 v[112:113], v112 offset:32
	s_waitcnt lgkmcnt(0)
	v_mul_f64 v[110:111], v[110:111], v[112:113]
	scratch_store_dwordx2 off, v[110:111], off offset:32
.LBB52_548:
	s_or_b64 exec, exec, s[2:3]
	scratch_load_dwordx2 v[110:111], off, off offset:40
	v_cmp_gt_u32_e32 vcc, 5, v0
	s_waitcnt vmcnt(0)
	ds_write_b64 v1, v[110:111]
	s_waitcnt lgkmcnt(0)
	; wave barrier
	s_and_saveexec_b64 s[2:3], vcc
	s_cbranch_execz .LBB52_558
; %bb.549:
	s_and_b64 vcc, exec, s[0:1]
	s_cbranch_vccnz .LBB52_551
; %bb.550:
	scratch_load_dwordx2 v[110:111], v11, off
	ds_read_b64 v[112:113], v1
	s_waitcnt vmcnt(0) lgkmcnt(0)
	v_mul_f64 v[110:111], v[110:111], v[112:113]
	s_cbranch_execz .LBB52_552
	s_branch .LBB52_553
.LBB52_551:
                                        ; implicit-def: $vgpr110_vgpr111
.LBB52_552:
	ds_read_b64 v[110:111], v1
.LBB52_553:
	v_cmp_ne_u32_e32 vcc, 4, v0
	s_and_saveexec_b64 s[4:5], vcc
	s_cbranch_execz .LBB52_557
; %bb.554:
	s_mov_b32 s6, 0
	v_add_u32_e32 v112, 0x1b8, v10
	v_add3_u32 v113, v10, s6, 8
	s_mov_b64 s[6:7], 0
	v_mov_b32_e32 v114, v0
.LBB52_555:                             ; =>This Inner Loop Header: Depth=1
	scratch_load_dwordx2 v[116:117], v113, off
	ds_read_b64 v[118:119], v112
	v_add_u32_e32 v114, 1, v114
	v_cmp_lt_u32_e32 vcc, 3, v114
	v_add_u32_e32 v112, 8, v112
	v_add_u32_e32 v113, 8, v113
	s_or_b64 s[6:7], vcc, s[6:7]
	s_waitcnt vmcnt(0) lgkmcnt(0)
	v_fmac_f64_e32 v[110:111], v[116:117], v[118:119]
	s_andn2_b64 exec, exec, s[6:7]
	s_cbranch_execnz .LBB52_555
; %bb.556:
	s_or_b64 exec, exec, s[6:7]
.LBB52_557:
	s_or_b64 exec, exec, s[4:5]
	v_mov_b32_e32 v112, 0
	ds_read_b64 v[112:113], v112 offset:40
	s_waitcnt lgkmcnt(0)
	v_mul_f64 v[110:111], v[110:111], v[112:113]
	scratch_store_dwordx2 off, v[110:111], off offset:40
.LBB52_558:
	s_or_b64 exec, exec, s[2:3]
	scratch_load_dwordx2 v[110:111], off, off offset:48
	v_cmp_gt_u32_e32 vcc, 6, v0
	s_waitcnt vmcnt(0)
	ds_write_b64 v1, v[110:111]
	s_waitcnt lgkmcnt(0)
	; wave barrier
	s_and_saveexec_b64 s[2:3], vcc
	s_cbranch_execz .LBB52_568
; %bb.559:
	s_and_b64 vcc, exec, s[0:1]
	s_cbranch_vccnz .LBB52_561
; %bb.560:
	scratch_load_dwordx2 v[110:111], v11, off
	ds_read_b64 v[112:113], v1
	s_waitcnt vmcnt(0) lgkmcnt(0)
	v_mul_f64 v[110:111], v[110:111], v[112:113]
	s_cbranch_execz .LBB52_562
	s_branch .LBB52_563
.LBB52_561:
                                        ; implicit-def: $vgpr110_vgpr111
.LBB52_562:
	ds_read_b64 v[110:111], v1
.LBB52_563:
	v_cmp_ne_u32_e32 vcc, 5, v0
	s_and_saveexec_b64 s[4:5], vcc
	s_cbranch_execz .LBB52_567
; %bb.564:
	s_mov_b32 s6, 0
	v_add_u32_e32 v112, 0x1b8, v10
	v_add3_u32 v113, v10, s6, 8
	s_mov_b64 s[6:7], 0
	v_mov_b32_e32 v114, v0
.LBB52_565:                             ; =>This Inner Loop Header: Depth=1
	scratch_load_dwordx2 v[116:117], v113, off
	ds_read_b64 v[118:119], v112
	v_add_u32_e32 v114, 1, v114
	v_cmp_lt_u32_e32 vcc, 4, v114
	v_add_u32_e32 v112, 8, v112
	v_add_u32_e32 v113, 8, v113
	s_or_b64 s[6:7], vcc, s[6:7]
	s_waitcnt vmcnt(0) lgkmcnt(0)
	v_fmac_f64_e32 v[110:111], v[116:117], v[118:119]
	s_andn2_b64 exec, exec, s[6:7]
	s_cbranch_execnz .LBB52_565
; %bb.566:
	s_or_b64 exec, exec, s[6:7]
.LBB52_567:
	s_or_b64 exec, exec, s[4:5]
	v_mov_b32_e32 v112, 0
	ds_read_b64 v[112:113], v112 offset:48
	s_waitcnt lgkmcnt(0)
	v_mul_f64 v[110:111], v[110:111], v[112:113]
	scratch_store_dwordx2 off, v[110:111], off offset:48
.LBB52_568:
	s_or_b64 exec, exec, s[2:3]
	scratch_load_dwordx2 v[110:111], off, off offset:56
	v_cmp_gt_u32_e32 vcc, 7, v0
	s_waitcnt vmcnt(0)
	ds_write_b64 v1, v[110:111]
	s_waitcnt lgkmcnt(0)
	; wave barrier
	s_and_saveexec_b64 s[2:3], vcc
	s_cbranch_execz .LBB52_578
; %bb.569:
	s_and_b64 vcc, exec, s[0:1]
	s_cbranch_vccnz .LBB52_571
; %bb.570:
	scratch_load_dwordx2 v[110:111], v11, off
	ds_read_b64 v[112:113], v1
	s_waitcnt vmcnt(0) lgkmcnt(0)
	v_mul_f64 v[110:111], v[110:111], v[112:113]
	s_cbranch_execz .LBB52_572
	s_branch .LBB52_573
.LBB52_571:
                                        ; implicit-def: $vgpr110_vgpr111
.LBB52_572:
	ds_read_b64 v[110:111], v1
.LBB52_573:
	v_cmp_ne_u32_e32 vcc, 6, v0
	s_and_saveexec_b64 s[4:5], vcc
	s_cbranch_execz .LBB52_577
; %bb.574:
	s_mov_b32 s6, 0
	v_add_u32_e32 v112, 0x1b8, v10
	v_add3_u32 v113, v10, s6, 8
	s_mov_b64 s[6:7], 0
	v_mov_b32_e32 v114, v0
.LBB52_575:                             ; =>This Inner Loop Header: Depth=1
	scratch_load_dwordx2 v[116:117], v113, off
	ds_read_b64 v[118:119], v112
	v_add_u32_e32 v114, 1, v114
	v_cmp_lt_u32_e32 vcc, 5, v114
	v_add_u32_e32 v112, 8, v112
	v_add_u32_e32 v113, 8, v113
	s_or_b64 s[6:7], vcc, s[6:7]
	s_waitcnt vmcnt(0) lgkmcnt(0)
	v_fmac_f64_e32 v[110:111], v[116:117], v[118:119]
	s_andn2_b64 exec, exec, s[6:7]
	s_cbranch_execnz .LBB52_575
; %bb.576:
	s_or_b64 exec, exec, s[6:7]
.LBB52_577:
	s_or_b64 exec, exec, s[4:5]
	v_mov_b32_e32 v112, 0
	ds_read_b64 v[112:113], v112 offset:56
	s_waitcnt lgkmcnt(0)
	v_mul_f64 v[110:111], v[110:111], v[112:113]
	scratch_store_dwordx2 off, v[110:111], off offset:56
.LBB52_578:
	s_or_b64 exec, exec, s[2:3]
	scratch_load_dwordx2 v[110:111], off, off offset:64
	v_cmp_gt_u32_e32 vcc, 8, v0
	s_waitcnt vmcnt(0)
	ds_write_b64 v1, v[110:111]
	s_waitcnt lgkmcnt(0)
	; wave barrier
	s_and_saveexec_b64 s[2:3], vcc
	s_cbranch_execz .LBB52_588
; %bb.579:
	s_and_b64 vcc, exec, s[0:1]
	s_cbranch_vccnz .LBB52_581
; %bb.580:
	scratch_load_dwordx2 v[110:111], v11, off
	ds_read_b64 v[112:113], v1
	s_waitcnt vmcnt(0) lgkmcnt(0)
	v_mul_f64 v[110:111], v[110:111], v[112:113]
	s_cbranch_execz .LBB52_582
	s_branch .LBB52_583
.LBB52_581:
                                        ; implicit-def: $vgpr110_vgpr111
.LBB52_582:
	ds_read_b64 v[110:111], v1
.LBB52_583:
	v_cmp_ne_u32_e32 vcc, 7, v0
	s_and_saveexec_b64 s[4:5], vcc
	s_cbranch_execz .LBB52_587
; %bb.584:
	s_mov_b32 s6, 0
	v_add_u32_e32 v112, 0x1b8, v10
	v_add3_u32 v113, v10, s6, 8
	s_mov_b64 s[6:7], 0
	v_mov_b32_e32 v114, v0
.LBB52_585:                             ; =>This Inner Loop Header: Depth=1
	scratch_load_dwordx2 v[116:117], v113, off
	ds_read_b64 v[118:119], v112
	v_add_u32_e32 v114, 1, v114
	v_cmp_lt_u32_e32 vcc, 6, v114
	v_add_u32_e32 v112, 8, v112
	v_add_u32_e32 v113, 8, v113
	s_or_b64 s[6:7], vcc, s[6:7]
	s_waitcnt vmcnt(0) lgkmcnt(0)
	v_fmac_f64_e32 v[110:111], v[116:117], v[118:119]
	s_andn2_b64 exec, exec, s[6:7]
	s_cbranch_execnz .LBB52_585
; %bb.586:
	s_or_b64 exec, exec, s[6:7]
.LBB52_587:
	s_or_b64 exec, exec, s[4:5]
	v_mov_b32_e32 v112, 0
	ds_read_b64 v[112:113], v112 offset:64
	s_waitcnt lgkmcnt(0)
	v_mul_f64 v[110:111], v[110:111], v[112:113]
	scratch_store_dwordx2 off, v[110:111], off offset:64
.LBB52_588:
	s_or_b64 exec, exec, s[2:3]
	scratch_load_dwordx2 v[110:111], off, off offset:72
	v_cmp_gt_u32_e32 vcc, 9, v0
	s_waitcnt vmcnt(0)
	ds_write_b64 v1, v[110:111]
	s_waitcnt lgkmcnt(0)
	; wave barrier
	s_and_saveexec_b64 s[2:3], vcc
	s_cbranch_execz .LBB52_598
; %bb.589:
	s_and_b64 vcc, exec, s[0:1]
	s_cbranch_vccnz .LBB52_591
; %bb.590:
	scratch_load_dwordx2 v[110:111], v11, off
	ds_read_b64 v[112:113], v1
	s_waitcnt vmcnt(0) lgkmcnt(0)
	v_mul_f64 v[110:111], v[110:111], v[112:113]
	s_cbranch_execz .LBB52_592
	s_branch .LBB52_593
.LBB52_591:
                                        ; implicit-def: $vgpr110_vgpr111
.LBB52_592:
	ds_read_b64 v[110:111], v1
.LBB52_593:
	v_cmp_ne_u32_e32 vcc, 8, v0
	s_and_saveexec_b64 s[4:5], vcc
	s_cbranch_execz .LBB52_597
; %bb.594:
	s_mov_b32 s6, 0
	v_add_u32_e32 v112, 0x1b8, v10
	v_add3_u32 v113, v10, s6, 8
	s_mov_b64 s[6:7], 0
	v_mov_b32_e32 v114, v0
.LBB52_595:                             ; =>This Inner Loop Header: Depth=1
	scratch_load_dwordx2 v[116:117], v113, off
	ds_read_b64 v[118:119], v112
	v_add_u32_e32 v114, 1, v114
	v_cmp_lt_u32_e32 vcc, 7, v114
	v_add_u32_e32 v112, 8, v112
	v_add_u32_e32 v113, 8, v113
	s_or_b64 s[6:7], vcc, s[6:7]
	s_waitcnt vmcnt(0) lgkmcnt(0)
	v_fmac_f64_e32 v[110:111], v[116:117], v[118:119]
	s_andn2_b64 exec, exec, s[6:7]
	s_cbranch_execnz .LBB52_595
; %bb.596:
	s_or_b64 exec, exec, s[6:7]
.LBB52_597:
	s_or_b64 exec, exec, s[4:5]
	v_mov_b32_e32 v112, 0
	ds_read_b64 v[112:113], v112 offset:72
	s_waitcnt lgkmcnt(0)
	v_mul_f64 v[110:111], v[110:111], v[112:113]
	scratch_store_dwordx2 off, v[110:111], off offset:72
.LBB52_598:
	s_or_b64 exec, exec, s[2:3]
	scratch_load_dwordx2 v[110:111], off, off offset:80
	v_cmp_gt_u32_e32 vcc, 10, v0
	s_waitcnt vmcnt(0)
	ds_write_b64 v1, v[110:111]
	s_waitcnt lgkmcnt(0)
	; wave barrier
	s_and_saveexec_b64 s[2:3], vcc
	s_cbranch_execz .LBB52_608
; %bb.599:
	s_and_b64 vcc, exec, s[0:1]
	s_cbranch_vccnz .LBB52_601
; %bb.600:
	scratch_load_dwordx2 v[110:111], v11, off
	ds_read_b64 v[112:113], v1
	s_waitcnt vmcnt(0) lgkmcnt(0)
	v_mul_f64 v[110:111], v[110:111], v[112:113]
	s_cbranch_execz .LBB52_602
	s_branch .LBB52_603
.LBB52_601:
                                        ; implicit-def: $vgpr110_vgpr111
.LBB52_602:
	ds_read_b64 v[110:111], v1
.LBB52_603:
	v_cmp_ne_u32_e32 vcc, 9, v0
	s_and_saveexec_b64 s[4:5], vcc
	s_cbranch_execz .LBB52_607
; %bb.604:
	s_mov_b32 s6, 0
	v_add_u32_e32 v112, 0x1b8, v10
	v_add3_u32 v113, v10, s6, 8
	s_mov_b64 s[6:7], 0
	v_mov_b32_e32 v114, v0
.LBB52_605:                             ; =>This Inner Loop Header: Depth=1
	scratch_load_dwordx2 v[116:117], v113, off
	ds_read_b64 v[118:119], v112
	v_add_u32_e32 v114, 1, v114
	v_cmp_lt_u32_e32 vcc, 8, v114
	v_add_u32_e32 v112, 8, v112
	v_add_u32_e32 v113, 8, v113
	s_or_b64 s[6:7], vcc, s[6:7]
	s_waitcnt vmcnt(0) lgkmcnt(0)
	v_fmac_f64_e32 v[110:111], v[116:117], v[118:119]
	s_andn2_b64 exec, exec, s[6:7]
	s_cbranch_execnz .LBB52_605
; %bb.606:
	s_or_b64 exec, exec, s[6:7]
.LBB52_607:
	s_or_b64 exec, exec, s[4:5]
	v_mov_b32_e32 v112, 0
	ds_read_b64 v[112:113], v112 offset:80
	s_waitcnt lgkmcnt(0)
	v_mul_f64 v[110:111], v[110:111], v[112:113]
	scratch_store_dwordx2 off, v[110:111], off offset:80
.LBB52_608:
	s_or_b64 exec, exec, s[2:3]
	scratch_load_dwordx2 v[110:111], off, off offset:88
	v_cmp_gt_u32_e32 vcc, 11, v0
	s_waitcnt vmcnt(0)
	ds_write_b64 v1, v[110:111]
	s_waitcnt lgkmcnt(0)
	; wave barrier
	s_and_saveexec_b64 s[2:3], vcc
	s_cbranch_execz .LBB52_618
; %bb.609:
	s_and_b64 vcc, exec, s[0:1]
	s_cbranch_vccnz .LBB52_611
; %bb.610:
	scratch_load_dwordx2 v[110:111], v11, off
	ds_read_b64 v[112:113], v1
	s_waitcnt vmcnt(0) lgkmcnt(0)
	v_mul_f64 v[110:111], v[110:111], v[112:113]
	s_cbranch_execz .LBB52_612
	s_branch .LBB52_613
.LBB52_611:
                                        ; implicit-def: $vgpr110_vgpr111
.LBB52_612:
	ds_read_b64 v[110:111], v1
.LBB52_613:
	v_cmp_ne_u32_e32 vcc, 10, v0
	s_and_saveexec_b64 s[4:5], vcc
	s_cbranch_execz .LBB52_617
; %bb.614:
	s_mov_b32 s6, 0
	v_add_u32_e32 v112, 0x1b8, v10
	v_add3_u32 v113, v10, s6, 8
	s_mov_b64 s[6:7], 0
	v_mov_b32_e32 v114, v0
.LBB52_615:                             ; =>This Inner Loop Header: Depth=1
	scratch_load_dwordx2 v[116:117], v113, off
	ds_read_b64 v[118:119], v112
	v_add_u32_e32 v114, 1, v114
	v_cmp_lt_u32_e32 vcc, 9, v114
	v_add_u32_e32 v112, 8, v112
	v_add_u32_e32 v113, 8, v113
	s_or_b64 s[6:7], vcc, s[6:7]
	s_waitcnt vmcnt(0) lgkmcnt(0)
	v_fmac_f64_e32 v[110:111], v[116:117], v[118:119]
	s_andn2_b64 exec, exec, s[6:7]
	s_cbranch_execnz .LBB52_615
; %bb.616:
	s_or_b64 exec, exec, s[6:7]
.LBB52_617:
	s_or_b64 exec, exec, s[4:5]
	v_mov_b32_e32 v112, 0
	ds_read_b64 v[112:113], v112 offset:88
	s_waitcnt lgkmcnt(0)
	v_mul_f64 v[110:111], v[110:111], v[112:113]
	scratch_store_dwordx2 off, v[110:111], off offset:88
.LBB52_618:
	s_or_b64 exec, exec, s[2:3]
	scratch_load_dwordx2 v[110:111], off, off offset:96
	v_cmp_gt_u32_e32 vcc, 12, v0
	s_waitcnt vmcnt(0)
	ds_write_b64 v1, v[110:111]
	s_waitcnt lgkmcnt(0)
	; wave barrier
	s_and_saveexec_b64 s[2:3], vcc
	s_cbranch_execz .LBB52_628
; %bb.619:
	s_and_b64 vcc, exec, s[0:1]
	s_cbranch_vccnz .LBB52_621
; %bb.620:
	scratch_load_dwordx2 v[110:111], v11, off
	ds_read_b64 v[112:113], v1
	s_waitcnt vmcnt(0) lgkmcnt(0)
	v_mul_f64 v[110:111], v[110:111], v[112:113]
	s_cbranch_execz .LBB52_622
	s_branch .LBB52_623
.LBB52_621:
                                        ; implicit-def: $vgpr110_vgpr111
.LBB52_622:
	ds_read_b64 v[110:111], v1
.LBB52_623:
	v_cmp_ne_u32_e32 vcc, 11, v0
	s_and_saveexec_b64 s[4:5], vcc
	s_cbranch_execz .LBB52_627
; %bb.624:
	s_mov_b32 s6, 0
	v_add_u32_e32 v112, 0x1b8, v10
	v_add3_u32 v113, v10, s6, 8
	s_mov_b64 s[6:7], 0
	v_mov_b32_e32 v114, v0
.LBB52_625:                             ; =>This Inner Loop Header: Depth=1
	scratch_load_dwordx2 v[116:117], v113, off
	ds_read_b64 v[118:119], v112
	v_add_u32_e32 v114, 1, v114
	v_cmp_lt_u32_e32 vcc, 10, v114
	v_add_u32_e32 v112, 8, v112
	v_add_u32_e32 v113, 8, v113
	s_or_b64 s[6:7], vcc, s[6:7]
	s_waitcnt vmcnt(0) lgkmcnt(0)
	v_fmac_f64_e32 v[110:111], v[116:117], v[118:119]
	s_andn2_b64 exec, exec, s[6:7]
	s_cbranch_execnz .LBB52_625
; %bb.626:
	s_or_b64 exec, exec, s[6:7]
.LBB52_627:
	s_or_b64 exec, exec, s[4:5]
	v_mov_b32_e32 v112, 0
	ds_read_b64 v[112:113], v112 offset:96
	s_waitcnt lgkmcnt(0)
	v_mul_f64 v[110:111], v[110:111], v[112:113]
	scratch_store_dwordx2 off, v[110:111], off offset:96
.LBB52_628:
	s_or_b64 exec, exec, s[2:3]
	scratch_load_dwordx2 v[110:111], off, off offset:104
	v_cmp_gt_u32_e32 vcc, 13, v0
	s_waitcnt vmcnt(0)
	ds_write_b64 v1, v[110:111]
	s_waitcnt lgkmcnt(0)
	; wave barrier
	s_and_saveexec_b64 s[2:3], vcc
	s_cbranch_execz .LBB52_638
; %bb.629:
	s_and_b64 vcc, exec, s[0:1]
	s_cbranch_vccnz .LBB52_631
; %bb.630:
	scratch_load_dwordx2 v[110:111], v11, off
	ds_read_b64 v[112:113], v1
	s_waitcnt vmcnt(0) lgkmcnt(0)
	v_mul_f64 v[110:111], v[110:111], v[112:113]
	s_cbranch_execz .LBB52_632
	s_branch .LBB52_633
.LBB52_631:
                                        ; implicit-def: $vgpr110_vgpr111
.LBB52_632:
	ds_read_b64 v[110:111], v1
.LBB52_633:
	v_cmp_ne_u32_e32 vcc, 12, v0
	s_and_saveexec_b64 s[4:5], vcc
	s_cbranch_execz .LBB52_637
; %bb.634:
	s_mov_b32 s6, 0
	v_add_u32_e32 v112, 0x1b8, v10
	v_add3_u32 v113, v10, s6, 8
	s_mov_b64 s[6:7], 0
	v_mov_b32_e32 v114, v0
.LBB52_635:                             ; =>This Inner Loop Header: Depth=1
	scratch_load_dwordx2 v[116:117], v113, off
	ds_read_b64 v[118:119], v112
	v_add_u32_e32 v114, 1, v114
	v_cmp_lt_u32_e32 vcc, 11, v114
	v_add_u32_e32 v112, 8, v112
	v_add_u32_e32 v113, 8, v113
	s_or_b64 s[6:7], vcc, s[6:7]
	s_waitcnt vmcnt(0) lgkmcnt(0)
	v_fmac_f64_e32 v[110:111], v[116:117], v[118:119]
	s_andn2_b64 exec, exec, s[6:7]
	s_cbranch_execnz .LBB52_635
; %bb.636:
	s_or_b64 exec, exec, s[6:7]
.LBB52_637:
	s_or_b64 exec, exec, s[4:5]
	v_mov_b32_e32 v112, 0
	ds_read_b64 v[112:113], v112 offset:104
	s_waitcnt lgkmcnt(0)
	v_mul_f64 v[110:111], v[110:111], v[112:113]
	scratch_store_dwordx2 off, v[110:111], off offset:104
.LBB52_638:
	s_or_b64 exec, exec, s[2:3]
	scratch_load_dwordx2 v[110:111], off, off offset:112
	v_cmp_gt_u32_e32 vcc, 14, v0
	s_waitcnt vmcnt(0)
	ds_write_b64 v1, v[110:111]
	s_waitcnt lgkmcnt(0)
	; wave barrier
	s_and_saveexec_b64 s[2:3], vcc
	s_cbranch_execz .LBB52_648
; %bb.639:
	s_and_b64 vcc, exec, s[0:1]
	s_cbranch_vccnz .LBB52_641
; %bb.640:
	scratch_load_dwordx2 v[110:111], v11, off
	ds_read_b64 v[112:113], v1
	s_waitcnt vmcnt(0) lgkmcnt(0)
	v_mul_f64 v[110:111], v[110:111], v[112:113]
	s_cbranch_execz .LBB52_642
	s_branch .LBB52_643
.LBB52_641:
                                        ; implicit-def: $vgpr110_vgpr111
.LBB52_642:
	ds_read_b64 v[110:111], v1
.LBB52_643:
	v_cmp_ne_u32_e32 vcc, 13, v0
	s_and_saveexec_b64 s[4:5], vcc
	s_cbranch_execz .LBB52_647
; %bb.644:
	s_mov_b32 s6, 0
	v_add_u32_e32 v112, 0x1b8, v10
	v_add3_u32 v113, v10, s6, 8
	s_mov_b64 s[6:7], 0
	v_mov_b32_e32 v114, v0
.LBB52_645:                             ; =>This Inner Loop Header: Depth=1
	scratch_load_dwordx2 v[116:117], v113, off
	ds_read_b64 v[118:119], v112
	v_add_u32_e32 v114, 1, v114
	v_cmp_lt_u32_e32 vcc, 12, v114
	v_add_u32_e32 v112, 8, v112
	v_add_u32_e32 v113, 8, v113
	s_or_b64 s[6:7], vcc, s[6:7]
	s_waitcnt vmcnt(0) lgkmcnt(0)
	v_fmac_f64_e32 v[110:111], v[116:117], v[118:119]
	s_andn2_b64 exec, exec, s[6:7]
	s_cbranch_execnz .LBB52_645
; %bb.646:
	s_or_b64 exec, exec, s[6:7]
.LBB52_647:
	s_or_b64 exec, exec, s[4:5]
	v_mov_b32_e32 v112, 0
	ds_read_b64 v[112:113], v112 offset:112
	s_waitcnt lgkmcnt(0)
	v_mul_f64 v[110:111], v[110:111], v[112:113]
	scratch_store_dwordx2 off, v[110:111], off offset:112
.LBB52_648:
	s_or_b64 exec, exec, s[2:3]
	scratch_load_dwordx2 v[110:111], off, off offset:120
	v_cmp_gt_u32_e32 vcc, 15, v0
	s_waitcnt vmcnt(0)
	ds_write_b64 v1, v[110:111]
	s_waitcnt lgkmcnt(0)
	; wave barrier
	s_and_saveexec_b64 s[2:3], vcc
	s_cbranch_execz .LBB52_658
; %bb.649:
	s_and_b64 vcc, exec, s[0:1]
	s_cbranch_vccnz .LBB52_651
; %bb.650:
	scratch_load_dwordx2 v[110:111], v11, off
	ds_read_b64 v[112:113], v1
	s_waitcnt vmcnt(0) lgkmcnt(0)
	v_mul_f64 v[110:111], v[110:111], v[112:113]
	s_cbranch_execz .LBB52_652
	s_branch .LBB52_653
.LBB52_651:
                                        ; implicit-def: $vgpr110_vgpr111
.LBB52_652:
	ds_read_b64 v[110:111], v1
.LBB52_653:
	v_cmp_ne_u32_e32 vcc, 14, v0
	s_and_saveexec_b64 s[4:5], vcc
	s_cbranch_execz .LBB52_657
; %bb.654:
	s_mov_b32 s6, 0
	v_add_u32_e32 v112, 0x1b8, v10
	v_add3_u32 v113, v10, s6, 8
	s_mov_b64 s[6:7], 0
	v_mov_b32_e32 v114, v0
.LBB52_655:                             ; =>This Inner Loop Header: Depth=1
	scratch_load_dwordx2 v[116:117], v113, off
	ds_read_b64 v[118:119], v112
	v_add_u32_e32 v114, 1, v114
	v_cmp_lt_u32_e32 vcc, 13, v114
	v_add_u32_e32 v112, 8, v112
	v_add_u32_e32 v113, 8, v113
	s_or_b64 s[6:7], vcc, s[6:7]
	s_waitcnt vmcnt(0) lgkmcnt(0)
	v_fmac_f64_e32 v[110:111], v[116:117], v[118:119]
	s_andn2_b64 exec, exec, s[6:7]
	s_cbranch_execnz .LBB52_655
; %bb.656:
	s_or_b64 exec, exec, s[6:7]
.LBB52_657:
	s_or_b64 exec, exec, s[4:5]
	v_mov_b32_e32 v112, 0
	ds_read_b64 v[112:113], v112 offset:120
	s_waitcnt lgkmcnt(0)
	v_mul_f64 v[110:111], v[110:111], v[112:113]
	scratch_store_dwordx2 off, v[110:111], off offset:120
.LBB52_658:
	s_or_b64 exec, exec, s[2:3]
	scratch_load_dwordx2 v[110:111], off, off offset:128
	v_cmp_gt_u32_e32 vcc, 16, v0
	s_waitcnt vmcnt(0)
	ds_write_b64 v1, v[110:111]
	s_waitcnt lgkmcnt(0)
	; wave barrier
	s_and_saveexec_b64 s[2:3], vcc
	s_cbranch_execz .LBB52_668
; %bb.659:
	s_and_b64 vcc, exec, s[0:1]
	s_cbranch_vccnz .LBB52_661
; %bb.660:
	scratch_load_dwordx2 v[110:111], v11, off
	ds_read_b64 v[112:113], v1
	s_waitcnt vmcnt(0) lgkmcnt(0)
	v_mul_f64 v[110:111], v[110:111], v[112:113]
	s_cbranch_execz .LBB52_662
	s_branch .LBB52_663
.LBB52_661:
                                        ; implicit-def: $vgpr110_vgpr111
.LBB52_662:
	ds_read_b64 v[110:111], v1
.LBB52_663:
	v_cmp_ne_u32_e32 vcc, 15, v0
	s_and_saveexec_b64 s[4:5], vcc
	s_cbranch_execz .LBB52_667
; %bb.664:
	s_mov_b32 s6, 0
	v_add_u32_e32 v112, 0x1b8, v10
	v_add3_u32 v113, v10, s6, 8
	s_mov_b64 s[6:7], 0
	v_mov_b32_e32 v114, v0
.LBB52_665:                             ; =>This Inner Loop Header: Depth=1
	scratch_load_dwordx2 v[116:117], v113, off
	ds_read_b64 v[118:119], v112
	v_add_u32_e32 v114, 1, v114
	v_cmp_lt_u32_e32 vcc, 14, v114
	v_add_u32_e32 v112, 8, v112
	v_add_u32_e32 v113, 8, v113
	s_or_b64 s[6:7], vcc, s[6:7]
	s_waitcnt vmcnt(0) lgkmcnt(0)
	v_fmac_f64_e32 v[110:111], v[116:117], v[118:119]
	s_andn2_b64 exec, exec, s[6:7]
	s_cbranch_execnz .LBB52_665
; %bb.666:
	s_or_b64 exec, exec, s[6:7]
.LBB52_667:
	s_or_b64 exec, exec, s[4:5]
	v_mov_b32_e32 v112, 0
	ds_read_b64 v[112:113], v112 offset:128
	s_waitcnt lgkmcnt(0)
	v_mul_f64 v[110:111], v[110:111], v[112:113]
	scratch_store_dwordx2 off, v[110:111], off offset:128
.LBB52_668:
	s_or_b64 exec, exec, s[2:3]
	scratch_load_dwordx2 v[110:111], off, off offset:136
	v_cmp_gt_u32_e32 vcc, 17, v0
	s_waitcnt vmcnt(0)
	ds_write_b64 v1, v[110:111]
	s_waitcnt lgkmcnt(0)
	; wave barrier
	s_and_saveexec_b64 s[2:3], vcc
	s_cbranch_execz .LBB52_678
; %bb.669:
	s_and_b64 vcc, exec, s[0:1]
	s_cbranch_vccnz .LBB52_671
; %bb.670:
	scratch_load_dwordx2 v[110:111], v11, off
	ds_read_b64 v[112:113], v1
	s_waitcnt vmcnt(0) lgkmcnt(0)
	v_mul_f64 v[110:111], v[110:111], v[112:113]
	s_cbranch_execz .LBB52_672
	s_branch .LBB52_673
.LBB52_671:
                                        ; implicit-def: $vgpr110_vgpr111
.LBB52_672:
	ds_read_b64 v[110:111], v1
.LBB52_673:
	v_cmp_ne_u32_e32 vcc, 16, v0
	s_and_saveexec_b64 s[4:5], vcc
	s_cbranch_execz .LBB52_677
; %bb.674:
	s_mov_b32 s6, 0
	v_add_u32_e32 v112, 0x1b8, v10
	v_add3_u32 v113, v10, s6, 8
	s_mov_b64 s[6:7], 0
	v_mov_b32_e32 v114, v0
.LBB52_675:                             ; =>This Inner Loop Header: Depth=1
	scratch_load_dwordx2 v[116:117], v113, off
	ds_read_b64 v[118:119], v112
	v_add_u32_e32 v114, 1, v114
	v_cmp_lt_u32_e32 vcc, 15, v114
	v_add_u32_e32 v112, 8, v112
	v_add_u32_e32 v113, 8, v113
	s_or_b64 s[6:7], vcc, s[6:7]
	s_waitcnt vmcnt(0) lgkmcnt(0)
	v_fmac_f64_e32 v[110:111], v[116:117], v[118:119]
	s_andn2_b64 exec, exec, s[6:7]
	s_cbranch_execnz .LBB52_675
; %bb.676:
	s_or_b64 exec, exec, s[6:7]
.LBB52_677:
	s_or_b64 exec, exec, s[4:5]
	v_mov_b32_e32 v112, 0
	ds_read_b64 v[112:113], v112 offset:136
	s_waitcnt lgkmcnt(0)
	v_mul_f64 v[110:111], v[110:111], v[112:113]
	scratch_store_dwordx2 off, v[110:111], off offset:136
.LBB52_678:
	s_or_b64 exec, exec, s[2:3]
	scratch_load_dwordx2 v[110:111], off, off offset:144
	v_cmp_gt_u32_e32 vcc, 18, v0
	s_waitcnt vmcnt(0)
	ds_write_b64 v1, v[110:111]
	s_waitcnt lgkmcnt(0)
	; wave barrier
	s_and_saveexec_b64 s[2:3], vcc
	s_cbranch_execz .LBB52_688
; %bb.679:
	s_and_b64 vcc, exec, s[0:1]
	s_cbranch_vccnz .LBB52_681
; %bb.680:
	scratch_load_dwordx2 v[110:111], v11, off
	ds_read_b64 v[112:113], v1
	s_waitcnt vmcnt(0) lgkmcnt(0)
	v_mul_f64 v[110:111], v[110:111], v[112:113]
	s_cbranch_execz .LBB52_682
	s_branch .LBB52_683
.LBB52_681:
                                        ; implicit-def: $vgpr110_vgpr111
.LBB52_682:
	ds_read_b64 v[110:111], v1
.LBB52_683:
	v_cmp_ne_u32_e32 vcc, 17, v0
	s_and_saveexec_b64 s[4:5], vcc
	s_cbranch_execz .LBB52_687
; %bb.684:
	s_mov_b32 s6, 0
	v_add_u32_e32 v112, 0x1b8, v10
	v_add3_u32 v113, v10, s6, 8
	s_mov_b64 s[6:7], 0
	v_mov_b32_e32 v114, v0
.LBB52_685:                             ; =>This Inner Loop Header: Depth=1
	scratch_load_dwordx2 v[116:117], v113, off
	ds_read_b64 v[118:119], v112
	v_add_u32_e32 v114, 1, v114
	v_cmp_lt_u32_e32 vcc, 16, v114
	v_add_u32_e32 v112, 8, v112
	v_add_u32_e32 v113, 8, v113
	s_or_b64 s[6:7], vcc, s[6:7]
	s_waitcnt vmcnt(0) lgkmcnt(0)
	v_fmac_f64_e32 v[110:111], v[116:117], v[118:119]
	s_andn2_b64 exec, exec, s[6:7]
	s_cbranch_execnz .LBB52_685
; %bb.686:
	s_or_b64 exec, exec, s[6:7]
.LBB52_687:
	s_or_b64 exec, exec, s[4:5]
	v_mov_b32_e32 v112, 0
	ds_read_b64 v[112:113], v112 offset:144
	s_waitcnt lgkmcnt(0)
	v_mul_f64 v[110:111], v[110:111], v[112:113]
	scratch_store_dwordx2 off, v[110:111], off offset:144
.LBB52_688:
	s_or_b64 exec, exec, s[2:3]
	scratch_load_dwordx2 v[110:111], off, off offset:152
	v_cmp_gt_u32_e32 vcc, 19, v0
	s_waitcnt vmcnt(0)
	ds_write_b64 v1, v[110:111]
	s_waitcnt lgkmcnt(0)
	; wave barrier
	s_and_saveexec_b64 s[2:3], vcc
	s_cbranch_execz .LBB52_698
; %bb.689:
	s_and_b64 vcc, exec, s[0:1]
	s_cbranch_vccnz .LBB52_691
; %bb.690:
	scratch_load_dwordx2 v[110:111], v11, off
	ds_read_b64 v[112:113], v1
	s_waitcnt vmcnt(0) lgkmcnt(0)
	v_mul_f64 v[110:111], v[110:111], v[112:113]
	s_cbranch_execz .LBB52_692
	s_branch .LBB52_693
.LBB52_691:
                                        ; implicit-def: $vgpr110_vgpr111
.LBB52_692:
	ds_read_b64 v[110:111], v1
.LBB52_693:
	v_cmp_ne_u32_e32 vcc, 18, v0
	s_and_saveexec_b64 s[4:5], vcc
	s_cbranch_execz .LBB52_697
; %bb.694:
	s_mov_b32 s6, 0
	v_add_u32_e32 v112, 0x1b8, v10
	v_add3_u32 v113, v10, s6, 8
	s_mov_b64 s[6:7], 0
	v_mov_b32_e32 v114, v0
.LBB52_695:                             ; =>This Inner Loop Header: Depth=1
	scratch_load_dwordx2 v[116:117], v113, off
	ds_read_b64 v[118:119], v112
	v_add_u32_e32 v114, 1, v114
	v_cmp_lt_u32_e32 vcc, 17, v114
	v_add_u32_e32 v112, 8, v112
	v_add_u32_e32 v113, 8, v113
	s_or_b64 s[6:7], vcc, s[6:7]
	s_waitcnt vmcnt(0) lgkmcnt(0)
	v_fmac_f64_e32 v[110:111], v[116:117], v[118:119]
	s_andn2_b64 exec, exec, s[6:7]
	s_cbranch_execnz .LBB52_695
; %bb.696:
	s_or_b64 exec, exec, s[6:7]
.LBB52_697:
	s_or_b64 exec, exec, s[4:5]
	v_mov_b32_e32 v112, 0
	ds_read_b64 v[112:113], v112 offset:152
	s_waitcnt lgkmcnt(0)
	v_mul_f64 v[110:111], v[110:111], v[112:113]
	scratch_store_dwordx2 off, v[110:111], off offset:152
.LBB52_698:
	s_or_b64 exec, exec, s[2:3]
	scratch_load_dwordx2 v[110:111], off, off offset:160
	v_cmp_gt_u32_e32 vcc, 20, v0
	s_waitcnt vmcnt(0)
	ds_write_b64 v1, v[110:111]
	s_waitcnt lgkmcnt(0)
	; wave barrier
	s_and_saveexec_b64 s[2:3], vcc
	s_cbranch_execz .LBB52_708
; %bb.699:
	s_and_b64 vcc, exec, s[0:1]
	s_cbranch_vccnz .LBB52_701
; %bb.700:
	scratch_load_dwordx2 v[110:111], v11, off
	ds_read_b64 v[112:113], v1
	s_waitcnt vmcnt(0) lgkmcnt(0)
	v_mul_f64 v[110:111], v[110:111], v[112:113]
	s_cbranch_execz .LBB52_702
	s_branch .LBB52_703
.LBB52_701:
                                        ; implicit-def: $vgpr110_vgpr111
.LBB52_702:
	ds_read_b64 v[110:111], v1
.LBB52_703:
	v_cmp_ne_u32_e32 vcc, 19, v0
	s_and_saveexec_b64 s[4:5], vcc
	s_cbranch_execz .LBB52_707
; %bb.704:
	s_mov_b32 s6, 0
	v_add_u32_e32 v112, 0x1b8, v10
	v_add3_u32 v113, v10, s6, 8
	s_mov_b64 s[6:7], 0
	v_mov_b32_e32 v114, v0
.LBB52_705:                             ; =>This Inner Loop Header: Depth=1
	scratch_load_dwordx2 v[116:117], v113, off
	ds_read_b64 v[118:119], v112
	v_add_u32_e32 v114, 1, v114
	v_cmp_lt_u32_e32 vcc, 18, v114
	v_add_u32_e32 v112, 8, v112
	v_add_u32_e32 v113, 8, v113
	s_or_b64 s[6:7], vcc, s[6:7]
	s_waitcnt vmcnt(0) lgkmcnt(0)
	v_fmac_f64_e32 v[110:111], v[116:117], v[118:119]
	s_andn2_b64 exec, exec, s[6:7]
	s_cbranch_execnz .LBB52_705
; %bb.706:
	s_or_b64 exec, exec, s[6:7]
.LBB52_707:
	s_or_b64 exec, exec, s[4:5]
	v_mov_b32_e32 v112, 0
	ds_read_b64 v[112:113], v112 offset:160
	s_waitcnt lgkmcnt(0)
	v_mul_f64 v[110:111], v[110:111], v[112:113]
	scratch_store_dwordx2 off, v[110:111], off offset:160
.LBB52_708:
	s_or_b64 exec, exec, s[2:3]
	scratch_load_dwordx2 v[110:111], off, off offset:168
	v_cmp_gt_u32_e32 vcc, 21, v0
	s_waitcnt vmcnt(0)
	ds_write_b64 v1, v[110:111]
	s_waitcnt lgkmcnt(0)
	; wave barrier
	s_and_saveexec_b64 s[2:3], vcc
	s_cbranch_execz .LBB52_718
; %bb.709:
	s_and_b64 vcc, exec, s[0:1]
	s_cbranch_vccnz .LBB52_711
; %bb.710:
	scratch_load_dwordx2 v[110:111], v11, off
	ds_read_b64 v[112:113], v1
	s_waitcnt vmcnt(0) lgkmcnt(0)
	v_mul_f64 v[110:111], v[110:111], v[112:113]
	s_cbranch_execz .LBB52_712
	s_branch .LBB52_713
.LBB52_711:
                                        ; implicit-def: $vgpr110_vgpr111
.LBB52_712:
	ds_read_b64 v[110:111], v1
.LBB52_713:
	v_cmp_ne_u32_e32 vcc, 20, v0
	s_and_saveexec_b64 s[4:5], vcc
	s_cbranch_execz .LBB52_717
; %bb.714:
	s_mov_b32 s6, 0
	v_add_u32_e32 v112, 0x1b8, v10
	v_add3_u32 v113, v10, s6, 8
	s_mov_b64 s[6:7], 0
	v_mov_b32_e32 v114, v0
.LBB52_715:                             ; =>This Inner Loop Header: Depth=1
	scratch_load_dwordx2 v[116:117], v113, off
	ds_read_b64 v[118:119], v112
	v_add_u32_e32 v114, 1, v114
	v_cmp_lt_u32_e32 vcc, 19, v114
	v_add_u32_e32 v112, 8, v112
	v_add_u32_e32 v113, 8, v113
	s_or_b64 s[6:7], vcc, s[6:7]
	s_waitcnt vmcnt(0) lgkmcnt(0)
	v_fmac_f64_e32 v[110:111], v[116:117], v[118:119]
	s_andn2_b64 exec, exec, s[6:7]
	s_cbranch_execnz .LBB52_715
; %bb.716:
	s_or_b64 exec, exec, s[6:7]
.LBB52_717:
	s_or_b64 exec, exec, s[4:5]
	v_mov_b32_e32 v112, 0
	ds_read_b64 v[112:113], v112 offset:168
	s_waitcnt lgkmcnt(0)
	v_mul_f64 v[110:111], v[110:111], v[112:113]
	scratch_store_dwordx2 off, v[110:111], off offset:168
.LBB52_718:
	s_or_b64 exec, exec, s[2:3]
	scratch_load_dwordx2 v[110:111], off, off offset:176
	v_cmp_gt_u32_e32 vcc, 22, v0
	s_waitcnt vmcnt(0)
	ds_write_b64 v1, v[110:111]
	s_waitcnt lgkmcnt(0)
	; wave barrier
	s_and_saveexec_b64 s[2:3], vcc
	s_cbranch_execz .LBB52_728
; %bb.719:
	s_and_b64 vcc, exec, s[0:1]
	s_cbranch_vccnz .LBB52_721
; %bb.720:
	scratch_load_dwordx2 v[110:111], v11, off
	ds_read_b64 v[112:113], v1
	s_waitcnt vmcnt(0) lgkmcnt(0)
	v_mul_f64 v[110:111], v[110:111], v[112:113]
	s_cbranch_execz .LBB52_722
	s_branch .LBB52_723
.LBB52_721:
                                        ; implicit-def: $vgpr110_vgpr111
.LBB52_722:
	ds_read_b64 v[110:111], v1
.LBB52_723:
	v_cmp_ne_u32_e32 vcc, 21, v0
	s_and_saveexec_b64 s[4:5], vcc
	s_cbranch_execz .LBB52_727
; %bb.724:
	s_mov_b32 s6, 0
	v_add_u32_e32 v112, 0x1b8, v10
	v_add3_u32 v113, v10, s6, 8
	s_mov_b64 s[6:7], 0
	v_mov_b32_e32 v114, v0
.LBB52_725:                             ; =>This Inner Loop Header: Depth=1
	scratch_load_dwordx2 v[116:117], v113, off
	ds_read_b64 v[118:119], v112
	v_add_u32_e32 v114, 1, v114
	v_cmp_lt_u32_e32 vcc, 20, v114
	v_add_u32_e32 v112, 8, v112
	v_add_u32_e32 v113, 8, v113
	s_or_b64 s[6:7], vcc, s[6:7]
	s_waitcnt vmcnt(0) lgkmcnt(0)
	v_fmac_f64_e32 v[110:111], v[116:117], v[118:119]
	s_andn2_b64 exec, exec, s[6:7]
	s_cbranch_execnz .LBB52_725
; %bb.726:
	s_or_b64 exec, exec, s[6:7]
.LBB52_727:
	s_or_b64 exec, exec, s[4:5]
	v_mov_b32_e32 v112, 0
	ds_read_b64 v[112:113], v112 offset:176
	s_waitcnt lgkmcnt(0)
	v_mul_f64 v[110:111], v[110:111], v[112:113]
	scratch_store_dwordx2 off, v[110:111], off offset:176
.LBB52_728:
	s_or_b64 exec, exec, s[2:3]
	scratch_load_dwordx2 v[110:111], off, off offset:184
	v_cmp_gt_u32_e32 vcc, 23, v0
	s_waitcnt vmcnt(0)
	ds_write_b64 v1, v[110:111]
	s_waitcnt lgkmcnt(0)
	; wave barrier
	s_and_saveexec_b64 s[2:3], vcc
	s_cbranch_execz .LBB52_738
; %bb.729:
	s_and_b64 vcc, exec, s[0:1]
	s_cbranch_vccnz .LBB52_731
; %bb.730:
	scratch_load_dwordx2 v[110:111], v11, off
	ds_read_b64 v[112:113], v1
	s_waitcnt vmcnt(0) lgkmcnt(0)
	v_mul_f64 v[110:111], v[110:111], v[112:113]
	s_cbranch_execz .LBB52_732
	s_branch .LBB52_733
.LBB52_731:
                                        ; implicit-def: $vgpr110_vgpr111
.LBB52_732:
	ds_read_b64 v[110:111], v1
.LBB52_733:
	v_cmp_ne_u32_e32 vcc, 22, v0
	s_and_saveexec_b64 s[4:5], vcc
	s_cbranch_execz .LBB52_737
; %bb.734:
	s_mov_b32 s6, 0
	v_add_u32_e32 v112, 0x1b8, v10
	v_add3_u32 v113, v10, s6, 8
	s_mov_b64 s[6:7], 0
	v_mov_b32_e32 v114, v0
.LBB52_735:                             ; =>This Inner Loop Header: Depth=1
	scratch_load_dwordx2 v[116:117], v113, off
	ds_read_b64 v[118:119], v112
	v_add_u32_e32 v114, 1, v114
	v_cmp_lt_u32_e32 vcc, 21, v114
	v_add_u32_e32 v112, 8, v112
	v_add_u32_e32 v113, 8, v113
	s_or_b64 s[6:7], vcc, s[6:7]
	s_waitcnt vmcnt(0) lgkmcnt(0)
	v_fmac_f64_e32 v[110:111], v[116:117], v[118:119]
	s_andn2_b64 exec, exec, s[6:7]
	s_cbranch_execnz .LBB52_735
; %bb.736:
	s_or_b64 exec, exec, s[6:7]
.LBB52_737:
	s_or_b64 exec, exec, s[4:5]
	v_mov_b32_e32 v112, 0
	ds_read_b64 v[112:113], v112 offset:184
	s_waitcnt lgkmcnt(0)
	v_mul_f64 v[110:111], v[110:111], v[112:113]
	scratch_store_dwordx2 off, v[110:111], off offset:184
.LBB52_738:
	s_or_b64 exec, exec, s[2:3]
	scratch_load_dwordx2 v[110:111], off, off offset:192
	v_cmp_gt_u32_e32 vcc, 24, v0
	s_waitcnt vmcnt(0)
	ds_write_b64 v1, v[110:111]
	s_waitcnt lgkmcnt(0)
	; wave barrier
	s_and_saveexec_b64 s[2:3], vcc
	s_cbranch_execz .LBB52_748
; %bb.739:
	s_and_b64 vcc, exec, s[0:1]
	s_cbranch_vccnz .LBB52_741
; %bb.740:
	scratch_load_dwordx2 v[110:111], v11, off
	ds_read_b64 v[112:113], v1
	s_waitcnt vmcnt(0) lgkmcnt(0)
	v_mul_f64 v[110:111], v[110:111], v[112:113]
	s_cbranch_execz .LBB52_742
	s_branch .LBB52_743
.LBB52_741:
                                        ; implicit-def: $vgpr110_vgpr111
.LBB52_742:
	ds_read_b64 v[110:111], v1
.LBB52_743:
	v_cmp_ne_u32_e32 vcc, 23, v0
	s_and_saveexec_b64 s[4:5], vcc
	s_cbranch_execz .LBB52_747
; %bb.744:
	s_mov_b32 s6, 0
	v_add_u32_e32 v112, 0x1b8, v10
	v_add3_u32 v113, v10, s6, 8
	s_mov_b64 s[6:7], 0
	v_mov_b32_e32 v114, v0
.LBB52_745:                             ; =>This Inner Loop Header: Depth=1
	scratch_load_dwordx2 v[116:117], v113, off
	ds_read_b64 v[118:119], v112
	v_add_u32_e32 v114, 1, v114
	v_cmp_lt_u32_e32 vcc, 22, v114
	v_add_u32_e32 v112, 8, v112
	v_add_u32_e32 v113, 8, v113
	s_or_b64 s[6:7], vcc, s[6:7]
	s_waitcnt vmcnt(0) lgkmcnt(0)
	v_fmac_f64_e32 v[110:111], v[116:117], v[118:119]
	s_andn2_b64 exec, exec, s[6:7]
	s_cbranch_execnz .LBB52_745
; %bb.746:
	s_or_b64 exec, exec, s[6:7]
.LBB52_747:
	s_or_b64 exec, exec, s[4:5]
	v_mov_b32_e32 v112, 0
	ds_read_b64 v[112:113], v112 offset:192
	s_waitcnt lgkmcnt(0)
	v_mul_f64 v[110:111], v[110:111], v[112:113]
	scratch_store_dwordx2 off, v[110:111], off offset:192
.LBB52_748:
	s_or_b64 exec, exec, s[2:3]
	scratch_load_dwordx2 v[110:111], off, off offset:200
	v_cmp_gt_u32_e32 vcc, 25, v0
	s_waitcnt vmcnt(0)
	ds_write_b64 v1, v[110:111]
	s_waitcnt lgkmcnt(0)
	; wave barrier
	s_and_saveexec_b64 s[2:3], vcc
	s_cbranch_execz .LBB52_758
; %bb.749:
	s_and_b64 vcc, exec, s[0:1]
	s_cbranch_vccnz .LBB52_751
; %bb.750:
	scratch_load_dwordx2 v[110:111], v11, off
	ds_read_b64 v[112:113], v1
	s_waitcnt vmcnt(0) lgkmcnt(0)
	v_mul_f64 v[110:111], v[110:111], v[112:113]
	s_cbranch_execz .LBB52_752
	s_branch .LBB52_753
.LBB52_751:
                                        ; implicit-def: $vgpr110_vgpr111
.LBB52_752:
	ds_read_b64 v[110:111], v1
.LBB52_753:
	v_cmp_ne_u32_e32 vcc, 24, v0
	s_and_saveexec_b64 s[4:5], vcc
	s_cbranch_execz .LBB52_757
; %bb.754:
	s_mov_b32 s6, 0
	v_add_u32_e32 v112, 0x1b8, v10
	v_add3_u32 v113, v10, s6, 8
	s_mov_b64 s[6:7], 0
	v_mov_b32_e32 v114, v0
.LBB52_755:                             ; =>This Inner Loop Header: Depth=1
	scratch_load_dwordx2 v[116:117], v113, off
	ds_read_b64 v[118:119], v112
	v_add_u32_e32 v114, 1, v114
	v_cmp_lt_u32_e32 vcc, 23, v114
	v_add_u32_e32 v112, 8, v112
	v_add_u32_e32 v113, 8, v113
	s_or_b64 s[6:7], vcc, s[6:7]
	s_waitcnt vmcnt(0) lgkmcnt(0)
	v_fmac_f64_e32 v[110:111], v[116:117], v[118:119]
	s_andn2_b64 exec, exec, s[6:7]
	s_cbranch_execnz .LBB52_755
; %bb.756:
	s_or_b64 exec, exec, s[6:7]
.LBB52_757:
	s_or_b64 exec, exec, s[4:5]
	v_mov_b32_e32 v112, 0
	ds_read_b64 v[112:113], v112 offset:200
	s_waitcnt lgkmcnt(0)
	v_mul_f64 v[110:111], v[110:111], v[112:113]
	scratch_store_dwordx2 off, v[110:111], off offset:200
.LBB52_758:
	s_or_b64 exec, exec, s[2:3]
	scratch_load_dwordx2 v[110:111], off, off offset:208
	v_cmp_gt_u32_e32 vcc, 26, v0
	s_waitcnt vmcnt(0)
	ds_write_b64 v1, v[110:111]
	s_waitcnt lgkmcnt(0)
	; wave barrier
	s_and_saveexec_b64 s[2:3], vcc
	s_cbranch_execz .LBB52_768
; %bb.759:
	s_and_b64 vcc, exec, s[0:1]
	s_cbranch_vccnz .LBB52_761
; %bb.760:
	scratch_load_dwordx2 v[110:111], v11, off
	ds_read_b64 v[112:113], v1
	s_waitcnt vmcnt(0) lgkmcnt(0)
	v_mul_f64 v[110:111], v[110:111], v[112:113]
	s_cbranch_execz .LBB52_762
	s_branch .LBB52_763
.LBB52_761:
                                        ; implicit-def: $vgpr110_vgpr111
.LBB52_762:
	ds_read_b64 v[110:111], v1
.LBB52_763:
	v_cmp_ne_u32_e32 vcc, 25, v0
	s_and_saveexec_b64 s[4:5], vcc
	s_cbranch_execz .LBB52_767
; %bb.764:
	s_mov_b32 s6, 0
	v_add_u32_e32 v112, 0x1b8, v10
	v_add3_u32 v113, v10, s6, 8
	s_mov_b64 s[6:7], 0
	v_mov_b32_e32 v114, v0
.LBB52_765:                             ; =>This Inner Loop Header: Depth=1
	scratch_load_dwordx2 v[116:117], v113, off
	ds_read_b64 v[118:119], v112
	v_add_u32_e32 v114, 1, v114
	v_cmp_lt_u32_e32 vcc, 24, v114
	v_add_u32_e32 v112, 8, v112
	v_add_u32_e32 v113, 8, v113
	s_or_b64 s[6:7], vcc, s[6:7]
	s_waitcnt vmcnt(0) lgkmcnt(0)
	v_fmac_f64_e32 v[110:111], v[116:117], v[118:119]
	s_andn2_b64 exec, exec, s[6:7]
	s_cbranch_execnz .LBB52_765
; %bb.766:
	s_or_b64 exec, exec, s[6:7]
.LBB52_767:
	s_or_b64 exec, exec, s[4:5]
	v_mov_b32_e32 v112, 0
	ds_read_b64 v[112:113], v112 offset:208
	s_waitcnt lgkmcnt(0)
	v_mul_f64 v[110:111], v[110:111], v[112:113]
	scratch_store_dwordx2 off, v[110:111], off offset:208
.LBB52_768:
	s_or_b64 exec, exec, s[2:3]
	scratch_load_dwordx2 v[110:111], off, off offset:216
	v_cmp_gt_u32_e32 vcc, 27, v0
	s_waitcnt vmcnt(0)
	ds_write_b64 v1, v[110:111]
	s_waitcnt lgkmcnt(0)
	; wave barrier
	s_and_saveexec_b64 s[2:3], vcc
	s_cbranch_execz .LBB52_778
; %bb.769:
	s_and_b64 vcc, exec, s[0:1]
	s_cbranch_vccnz .LBB52_771
; %bb.770:
	scratch_load_dwordx2 v[110:111], v11, off
	ds_read_b64 v[112:113], v1
	s_waitcnt vmcnt(0) lgkmcnt(0)
	v_mul_f64 v[110:111], v[110:111], v[112:113]
	s_cbranch_execz .LBB52_772
	s_branch .LBB52_773
.LBB52_771:
                                        ; implicit-def: $vgpr110_vgpr111
.LBB52_772:
	ds_read_b64 v[110:111], v1
.LBB52_773:
	v_cmp_ne_u32_e32 vcc, 26, v0
	s_and_saveexec_b64 s[4:5], vcc
	s_cbranch_execz .LBB52_777
; %bb.774:
	s_mov_b32 s6, 0
	v_add_u32_e32 v112, 0x1b8, v10
	v_add3_u32 v113, v10, s6, 8
	s_mov_b64 s[6:7], 0
	v_mov_b32_e32 v114, v0
.LBB52_775:                             ; =>This Inner Loop Header: Depth=1
	scratch_load_dwordx2 v[116:117], v113, off
	ds_read_b64 v[118:119], v112
	v_add_u32_e32 v114, 1, v114
	v_cmp_lt_u32_e32 vcc, 25, v114
	v_add_u32_e32 v112, 8, v112
	v_add_u32_e32 v113, 8, v113
	s_or_b64 s[6:7], vcc, s[6:7]
	s_waitcnt vmcnt(0) lgkmcnt(0)
	v_fmac_f64_e32 v[110:111], v[116:117], v[118:119]
	s_andn2_b64 exec, exec, s[6:7]
	s_cbranch_execnz .LBB52_775
; %bb.776:
	s_or_b64 exec, exec, s[6:7]
.LBB52_777:
	s_or_b64 exec, exec, s[4:5]
	v_mov_b32_e32 v112, 0
	ds_read_b64 v[112:113], v112 offset:216
	s_waitcnt lgkmcnt(0)
	v_mul_f64 v[110:111], v[110:111], v[112:113]
	scratch_store_dwordx2 off, v[110:111], off offset:216
.LBB52_778:
	s_or_b64 exec, exec, s[2:3]
	scratch_load_dwordx2 v[110:111], off, off offset:224
	v_cmp_gt_u32_e32 vcc, 28, v0
	s_waitcnt vmcnt(0)
	ds_write_b64 v1, v[110:111]
	s_waitcnt lgkmcnt(0)
	; wave barrier
	s_and_saveexec_b64 s[2:3], vcc
	s_cbranch_execz .LBB52_788
; %bb.779:
	s_and_b64 vcc, exec, s[0:1]
	s_cbranch_vccnz .LBB52_781
; %bb.780:
	scratch_load_dwordx2 v[110:111], v11, off
	ds_read_b64 v[112:113], v1
	s_waitcnt vmcnt(0) lgkmcnt(0)
	v_mul_f64 v[110:111], v[110:111], v[112:113]
	s_cbranch_execz .LBB52_782
	s_branch .LBB52_783
.LBB52_781:
                                        ; implicit-def: $vgpr110_vgpr111
.LBB52_782:
	ds_read_b64 v[110:111], v1
.LBB52_783:
	v_cmp_ne_u32_e32 vcc, 27, v0
	s_and_saveexec_b64 s[4:5], vcc
	s_cbranch_execz .LBB52_787
; %bb.784:
	s_mov_b32 s6, 0
	v_add_u32_e32 v112, 0x1b8, v10
	v_add3_u32 v113, v10, s6, 8
	s_mov_b64 s[6:7], 0
	v_mov_b32_e32 v114, v0
.LBB52_785:                             ; =>This Inner Loop Header: Depth=1
	scratch_load_dwordx2 v[116:117], v113, off
	ds_read_b64 v[118:119], v112
	v_add_u32_e32 v114, 1, v114
	v_cmp_lt_u32_e32 vcc, 26, v114
	v_add_u32_e32 v112, 8, v112
	v_add_u32_e32 v113, 8, v113
	s_or_b64 s[6:7], vcc, s[6:7]
	s_waitcnt vmcnt(0) lgkmcnt(0)
	v_fmac_f64_e32 v[110:111], v[116:117], v[118:119]
	s_andn2_b64 exec, exec, s[6:7]
	s_cbranch_execnz .LBB52_785
; %bb.786:
	s_or_b64 exec, exec, s[6:7]
.LBB52_787:
	s_or_b64 exec, exec, s[4:5]
	v_mov_b32_e32 v112, 0
	ds_read_b64 v[112:113], v112 offset:224
	s_waitcnt lgkmcnt(0)
	v_mul_f64 v[110:111], v[110:111], v[112:113]
	scratch_store_dwordx2 off, v[110:111], off offset:224
.LBB52_788:
	s_or_b64 exec, exec, s[2:3]
	scratch_load_dwordx2 v[110:111], off, off offset:232
	v_cmp_gt_u32_e32 vcc, 29, v0
	s_waitcnt vmcnt(0)
	ds_write_b64 v1, v[110:111]
	s_waitcnt lgkmcnt(0)
	; wave barrier
	s_and_saveexec_b64 s[2:3], vcc
	s_cbranch_execz .LBB52_798
; %bb.789:
	s_and_b64 vcc, exec, s[0:1]
	s_cbranch_vccnz .LBB52_791
; %bb.790:
	scratch_load_dwordx2 v[110:111], v11, off
	ds_read_b64 v[112:113], v1
	s_waitcnt vmcnt(0) lgkmcnt(0)
	v_mul_f64 v[110:111], v[110:111], v[112:113]
	s_cbranch_execz .LBB52_792
	s_branch .LBB52_793
.LBB52_791:
                                        ; implicit-def: $vgpr110_vgpr111
.LBB52_792:
	ds_read_b64 v[110:111], v1
.LBB52_793:
	v_cmp_ne_u32_e32 vcc, 28, v0
	s_and_saveexec_b64 s[4:5], vcc
	s_cbranch_execz .LBB52_797
; %bb.794:
	s_mov_b32 s6, 0
	v_add_u32_e32 v112, 0x1b8, v10
	v_add3_u32 v113, v10, s6, 8
	s_mov_b64 s[6:7], 0
	v_mov_b32_e32 v114, v0
.LBB52_795:                             ; =>This Inner Loop Header: Depth=1
	scratch_load_dwordx2 v[116:117], v113, off
	ds_read_b64 v[118:119], v112
	v_add_u32_e32 v114, 1, v114
	v_cmp_lt_u32_e32 vcc, 27, v114
	v_add_u32_e32 v112, 8, v112
	v_add_u32_e32 v113, 8, v113
	s_or_b64 s[6:7], vcc, s[6:7]
	s_waitcnt vmcnt(0) lgkmcnt(0)
	v_fmac_f64_e32 v[110:111], v[116:117], v[118:119]
	s_andn2_b64 exec, exec, s[6:7]
	s_cbranch_execnz .LBB52_795
; %bb.796:
	s_or_b64 exec, exec, s[6:7]
.LBB52_797:
	s_or_b64 exec, exec, s[4:5]
	v_mov_b32_e32 v112, 0
	ds_read_b64 v[112:113], v112 offset:232
	s_waitcnt lgkmcnt(0)
	v_mul_f64 v[110:111], v[110:111], v[112:113]
	scratch_store_dwordx2 off, v[110:111], off offset:232
.LBB52_798:
	s_or_b64 exec, exec, s[2:3]
	scratch_load_dwordx2 v[110:111], off, off offset:240
	v_cmp_gt_u32_e32 vcc, 30, v0
	s_waitcnt vmcnt(0)
	ds_write_b64 v1, v[110:111]
	s_waitcnt lgkmcnt(0)
	; wave barrier
	s_and_saveexec_b64 s[2:3], vcc
	s_cbranch_execz .LBB52_808
; %bb.799:
	s_and_b64 vcc, exec, s[0:1]
	s_cbranch_vccnz .LBB52_801
; %bb.800:
	scratch_load_dwordx2 v[110:111], v11, off
	ds_read_b64 v[112:113], v1
	s_waitcnt vmcnt(0) lgkmcnt(0)
	v_mul_f64 v[110:111], v[110:111], v[112:113]
	s_cbranch_execz .LBB52_802
	s_branch .LBB52_803
.LBB52_801:
                                        ; implicit-def: $vgpr110_vgpr111
.LBB52_802:
	ds_read_b64 v[110:111], v1
.LBB52_803:
	v_cmp_ne_u32_e32 vcc, 29, v0
	s_and_saveexec_b64 s[4:5], vcc
	s_cbranch_execz .LBB52_807
; %bb.804:
	s_mov_b32 s6, 0
	v_add_u32_e32 v112, 0x1b8, v10
	v_add3_u32 v113, v10, s6, 8
	s_mov_b64 s[6:7], 0
	v_mov_b32_e32 v114, v0
.LBB52_805:                             ; =>This Inner Loop Header: Depth=1
	scratch_load_dwordx2 v[116:117], v113, off
	ds_read_b64 v[118:119], v112
	v_add_u32_e32 v114, 1, v114
	v_cmp_lt_u32_e32 vcc, 28, v114
	v_add_u32_e32 v112, 8, v112
	v_add_u32_e32 v113, 8, v113
	s_or_b64 s[6:7], vcc, s[6:7]
	s_waitcnt vmcnt(0) lgkmcnt(0)
	v_fmac_f64_e32 v[110:111], v[116:117], v[118:119]
	s_andn2_b64 exec, exec, s[6:7]
	s_cbranch_execnz .LBB52_805
; %bb.806:
	s_or_b64 exec, exec, s[6:7]
.LBB52_807:
	s_or_b64 exec, exec, s[4:5]
	v_mov_b32_e32 v112, 0
	ds_read_b64 v[112:113], v112 offset:240
	s_waitcnt lgkmcnt(0)
	v_mul_f64 v[110:111], v[110:111], v[112:113]
	scratch_store_dwordx2 off, v[110:111], off offset:240
.LBB52_808:
	s_or_b64 exec, exec, s[2:3]
	scratch_load_dwordx2 v[110:111], off, off offset:248
	v_cmp_gt_u32_e32 vcc, 31, v0
	s_waitcnt vmcnt(0)
	ds_write_b64 v1, v[110:111]
	s_waitcnt lgkmcnt(0)
	; wave barrier
	s_and_saveexec_b64 s[2:3], vcc
	s_cbranch_execz .LBB52_818
; %bb.809:
	s_and_b64 vcc, exec, s[0:1]
	s_cbranch_vccnz .LBB52_811
; %bb.810:
	scratch_load_dwordx2 v[110:111], v11, off
	ds_read_b64 v[112:113], v1
	s_waitcnt vmcnt(0) lgkmcnt(0)
	v_mul_f64 v[110:111], v[110:111], v[112:113]
	s_cbranch_execz .LBB52_812
	s_branch .LBB52_813
.LBB52_811:
                                        ; implicit-def: $vgpr110_vgpr111
.LBB52_812:
	ds_read_b64 v[110:111], v1
.LBB52_813:
	v_cmp_ne_u32_e32 vcc, 30, v0
	s_and_saveexec_b64 s[4:5], vcc
	s_cbranch_execz .LBB52_817
; %bb.814:
	s_mov_b32 s6, 0
	v_add_u32_e32 v112, 0x1b8, v10
	v_add3_u32 v113, v10, s6, 8
	s_mov_b64 s[6:7], 0
	v_mov_b32_e32 v114, v0
.LBB52_815:                             ; =>This Inner Loop Header: Depth=1
	scratch_load_dwordx2 v[116:117], v113, off
	ds_read_b64 v[118:119], v112
	v_add_u32_e32 v114, 1, v114
	v_cmp_lt_u32_e32 vcc, 29, v114
	v_add_u32_e32 v112, 8, v112
	v_add_u32_e32 v113, 8, v113
	s_or_b64 s[6:7], vcc, s[6:7]
	s_waitcnt vmcnt(0) lgkmcnt(0)
	v_fmac_f64_e32 v[110:111], v[116:117], v[118:119]
	s_andn2_b64 exec, exec, s[6:7]
	s_cbranch_execnz .LBB52_815
; %bb.816:
	s_or_b64 exec, exec, s[6:7]
.LBB52_817:
	s_or_b64 exec, exec, s[4:5]
	v_mov_b32_e32 v112, 0
	ds_read_b64 v[112:113], v112 offset:248
	s_waitcnt lgkmcnt(0)
	v_mul_f64 v[110:111], v[110:111], v[112:113]
	scratch_store_dwordx2 off, v[110:111], off offset:248
.LBB52_818:
	s_or_b64 exec, exec, s[2:3]
	scratch_load_dwordx2 v[110:111], off, off offset:256
	v_cmp_gt_u32_e32 vcc, 32, v0
	s_waitcnt vmcnt(0)
	ds_write_b64 v1, v[110:111]
	s_waitcnt lgkmcnt(0)
	; wave barrier
	s_and_saveexec_b64 s[2:3], vcc
	s_cbranch_execz .LBB52_828
; %bb.819:
	s_and_b64 vcc, exec, s[0:1]
	s_cbranch_vccnz .LBB52_821
; %bb.820:
	scratch_load_dwordx2 v[110:111], v11, off
	ds_read_b64 v[112:113], v1
	s_waitcnt vmcnt(0) lgkmcnt(0)
	v_mul_f64 v[110:111], v[110:111], v[112:113]
	s_cbranch_execz .LBB52_822
	s_branch .LBB52_823
.LBB52_821:
                                        ; implicit-def: $vgpr110_vgpr111
.LBB52_822:
	ds_read_b64 v[110:111], v1
.LBB52_823:
	v_cmp_ne_u32_e32 vcc, 31, v0
	s_and_saveexec_b64 s[4:5], vcc
	s_cbranch_execz .LBB52_827
; %bb.824:
	s_mov_b32 s6, 0
	v_add_u32_e32 v112, 0x1b8, v10
	v_add3_u32 v113, v10, s6, 8
	s_mov_b64 s[6:7], 0
	v_mov_b32_e32 v114, v0
.LBB52_825:                             ; =>This Inner Loop Header: Depth=1
	scratch_load_dwordx2 v[116:117], v113, off
	ds_read_b64 v[118:119], v112
	v_add_u32_e32 v114, 1, v114
	v_cmp_lt_u32_e32 vcc, 30, v114
	v_add_u32_e32 v112, 8, v112
	v_add_u32_e32 v113, 8, v113
	s_or_b64 s[6:7], vcc, s[6:7]
	s_waitcnt vmcnt(0) lgkmcnt(0)
	v_fmac_f64_e32 v[110:111], v[116:117], v[118:119]
	s_andn2_b64 exec, exec, s[6:7]
	s_cbranch_execnz .LBB52_825
; %bb.826:
	s_or_b64 exec, exec, s[6:7]
.LBB52_827:
	s_or_b64 exec, exec, s[4:5]
	v_mov_b32_e32 v112, 0
	ds_read_b64 v[112:113], v112 offset:256
	s_waitcnt lgkmcnt(0)
	v_mul_f64 v[110:111], v[110:111], v[112:113]
	scratch_store_dwordx2 off, v[110:111], off offset:256
.LBB52_828:
	s_or_b64 exec, exec, s[2:3]
	scratch_load_dwordx2 v[110:111], off, off offset:264
	v_cmp_gt_u32_e32 vcc, 33, v0
	s_waitcnt vmcnt(0)
	ds_write_b64 v1, v[110:111]
	s_waitcnt lgkmcnt(0)
	; wave barrier
	s_and_saveexec_b64 s[2:3], vcc
	s_cbranch_execz .LBB52_838
; %bb.829:
	s_and_b64 vcc, exec, s[0:1]
	s_cbranch_vccnz .LBB52_831
; %bb.830:
	scratch_load_dwordx2 v[110:111], v11, off
	ds_read_b64 v[112:113], v1
	s_waitcnt vmcnt(0) lgkmcnt(0)
	v_mul_f64 v[110:111], v[110:111], v[112:113]
	s_cbranch_execz .LBB52_832
	s_branch .LBB52_833
.LBB52_831:
                                        ; implicit-def: $vgpr110_vgpr111
.LBB52_832:
	ds_read_b64 v[110:111], v1
.LBB52_833:
	v_cmp_ne_u32_e32 vcc, 32, v0
	s_and_saveexec_b64 s[4:5], vcc
	s_cbranch_execz .LBB52_837
; %bb.834:
	s_mov_b32 s6, 0
	v_add_u32_e32 v112, 0x1b8, v10
	v_add3_u32 v113, v10, s6, 8
	s_mov_b64 s[6:7], 0
	v_mov_b32_e32 v114, v0
.LBB52_835:                             ; =>This Inner Loop Header: Depth=1
	scratch_load_dwordx2 v[116:117], v113, off
	ds_read_b64 v[118:119], v112
	v_add_u32_e32 v114, 1, v114
	v_cmp_lt_u32_e32 vcc, 31, v114
	v_add_u32_e32 v112, 8, v112
	v_add_u32_e32 v113, 8, v113
	s_or_b64 s[6:7], vcc, s[6:7]
	s_waitcnt vmcnt(0) lgkmcnt(0)
	v_fmac_f64_e32 v[110:111], v[116:117], v[118:119]
	s_andn2_b64 exec, exec, s[6:7]
	s_cbranch_execnz .LBB52_835
; %bb.836:
	s_or_b64 exec, exec, s[6:7]
.LBB52_837:
	s_or_b64 exec, exec, s[4:5]
	v_mov_b32_e32 v112, 0
	ds_read_b64 v[112:113], v112 offset:264
	s_waitcnt lgkmcnt(0)
	v_mul_f64 v[110:111], v[110:111], v[112:113]
	scratch_store_dwordx2 off, v[110:111], off offset:264
.LBB52_838:
	s_or_b64 exec, exec, s[2:3]
	scratch_load_dwordx2 v[110:111], off, off offset:272
	v_cmp_gt_u32_e32 vcc, 34, v0
	s_waitcnt vmcnt(0)
	ds_write_b64 v1, v[110:111]
	s_waitcnt lgkmcnt(0)
	; wave barrier
	s_and_saveexec_b64 s[2:3], vcc
	s_cbranch_execz .LBB52_848
; %bb.839:
	s_and_b64 vcc, exec, s[0:1]
	s_cbranch_vccnz .LBB52_841
; %bb.840:
	scratch_load_dwordx2 v[110:111], v11, off
	ds_read_b64 v[112:113], v1
	s_waitcnt vmcnt(0) lgkmcnt(0)
	v_mul_f64 v[110:111], v[110:111], v[112:113]
	s_cbranch_execz .LBB52_842
	s_branch .LBB52_843
.LBB52_841:
                                        ; implicit-def: $vgpr110_vgpr111
.LBB52_842:
	ds_read_b64 v[110:111], v1
.LBB52_843:
	v_cmp_ne_u32_e32 vcc, 33, v0
	s_and_saveexec_b64 s[4:5], vcc
	s_cbranch_execz .LBB52_847
; %bb.844:
	s_mov_b32 s6, 0
	v_add_u32_e32 v112, 0x1b8, v10
	v_add3_u32 v113, v10, s6, 8
	s_mov_b64 s[6:7], 0
	v_mov_b32_e32 v114, v0
.LBB52_845:                             ; =>This Inner Loop Header: Depth=1
	scratch_load_dwordx2 v[116:117], v113, off
	ds_read_b64 v[118:119], v112
	v_add_u32_e32 v114, 1, v114
	v_cmp_lt_u32_e32 vcc, 32, v114
	v_add_u32_e32 v112, 8, v112
	v_add_u32_e32 v113, 8, v113
	s_or_b64 s[6:7], vcc, s[6:7]
	s_waitcnt vmcnt(0) lgkmcnt(0)
	v_fmac_f64_e32 v[110:111], v[116:117], v[118:119]
	s_andn2_b64 exec, exec, s[6:7]
	s_cbranch_execnz .LBB52_845
; %bb.846:
	s_or_b64 exec, exec, s[6:7]
.LBB52_847:
	s_or_b64 exec, exec, s[4:5]
	v_mov_b32_e32 v112, 0
	ds_read_b64 v[112:113], v112 offset:272
	s_waitcnt lgkmcnt(0)
	v_mul_f64 v[110:111], v[110:111], v[112:113]
	scratch_store_dwordx2 off, v[110:111], off offset:272
.LBB52_848:
	s_or_b64 exec, exec, s[2:3]
	scratch_load_dwordx2 v[110:111], off, off offset:280
	v_cmp_gt_u32_e32 vcc, 35, v0
	s_waitcnt vmcnt(0)
	ds_write_b64 v1, v[110:111]
	s_waitcnt lgkmcnt(0)
	; wave barrier
	s_and_saveexec_b64 s[2:3], vcc
	s_cbranch_execz .LBB52_858
; %bb.849:
	s_and_b64 vcc, exec, s[0:1]
	s_cbranch_vccnz .LBB52_851
; %bb.850:
	scratch_load_dwordx2 v[110:111], v11, off
	ds_read_b64 v[112:113], v1
	s_waitcnt vmcnt(0) lgkmcnt(0)
	v_mul_f64 v[110:111], v[110:111], v[112:113]
	s_cbranch_execz .LBB52_852
	s_branch .LBB52_853
.LBB52_851:
                                        ; implicit-def: $vgpr110_vgpr111
.LBB52_852:
	ds_read_b64 v[110:111], v1
.LBB52_853:
	v_cmp_ne_u32_e32 vcc, 34, v0
	s_and_saveexec_b64 s[4:5], vcc
	s_cbranch_execz .LBB52_857
; %bb.854:
	s_mov_b32 s6, 0
	v_add_u32_e32 v112, 0x1b8, v10
	v_add3_u32 v113, v10, s6, 8
	s_mov_b64 s[6:7], 0
	v_mov_b32_e32 v114, v0
.LBB52_855:                             ; =>This Inner Loop Header: Depth=1
	scratch_load_dwordx2 v[116:117], v113, off
	ds_read_b64 v[118:119], v112
	v_add_u32_e32 v114, 1, v114
	v_cmp_lt_u32_e32 vcc, 33, v114
	v_add_u32_e32 v112, 8, v112
	v_add_u32_e32 v113, 8, v113
	s_or_b64 s[6:7], vcc, s[6:7]
	s_waitcnt vmcnt(0) lgkmcnt(0)
	v_fmac_f64_e32 v[110:111], v[116:117], v[118:119]
	s_andn2_b64 exec, exec, s[6:7]
	s_cbranch_execnz .LBB52_855
; %bb.856:
	s_or_b64 exec, exec, s[6:7]
.LBB52_857:
	s_or_b64 exec, exec, s[4:5]
	v_mov_b32_e32 v112, 0
	ds_read_b64 v[112:113], v112 offset:280
	s_waitcnt lgkmcnt(0)
	v_mul_f64 v[110:111], v[110:111], v[112:113]
	scratch_store_dwordx2 off, v[110:111], off offset:280
.LBB52_858:
	s_or_b64 exec, exec, s[2:3]
	scratch_load_dwordx2 v[110:111], off, off offset:288
	v_cmp_gt_u32_e32 vcc, 36, v0
	s_waitcnt vmcnt(0)
	ds_write_b64 v1, v[110:111]
	s_waitcnt lgkmcnt(0)
	; wave barrier
	s_and_saveexec_b64 s[2:3], vcc
	s_cbranch_execz .LBB52_868
; %bb.859:
	s_and_b64 vcc, exec, s[0:1]
	s_cbranch_vccnz .LBB52_861
; %bb.860:
	scratch_load_dwordx2 v[110:111], v11, off
	ds_read_b64 v[112:113], v1
	s_waitcnt vmcnt(0) lgkmcnt(0)
	v_mul_f64 v[110:111], v[110:111], v[112:113]
	s_cbranch_execz .LBB52_862
	s_branch .LBB52_863
.LBB52_861:
                                        ; implicit-def: $vgpr110_vgpr111
.LBB52_862:
	ds_read_b64 v[110:111], v1
.LBB52_863:
	v_cmp_ne_u32_e32 vcc, 35, v0
	s_and_saveexec_b64 s[4:5], vcc
	s_cbranch_execz .LBB52_867
; %bb.864:
	s_mov_b32 s6, 0
	v_add_u32_e32 v112, 0x1b8, v10
	v_add3_u32 v113, v10, s6, 8
	s_mov_b64 s[6:7], 0
	v_mov_b32_e32 v114, v0
.LBB52_865:                             ; =>This Inner Loop Header: Depth=1
	scratch_load_dwordx2 v[116:117], v113, off
	ds_read_b64 v[118:119], v112
	v_add_u32_e32 v114, 1, v114
	v_cmp_lt_u32_e32 vcc, 34, v114
	v_add_u32_e32 v112, 8, v112
	v_add_u32_e32 v113, 8, v113
	s_or_b64 s[6:7], vcc, s[6:7]
	s_waitcnt vmcnt(0) lgkmcnt(0)
	v_fmac_f64_e32 v[110:111], v[116:117], v[118:119]
	s_andn2_b64 exec, exec, s[6:7]
	s_cbranch_execnz .LBB52_865
; %bb.866:
	s_or_b64 exec, exec, s[6:7]
.LBB52_867:
	s_or_b64 exec, exec, s[4:5]
	v_mov_b32_e32 v112, 0
	ds_read_b64 v[112:113], v112 offset:288
	s_waitcnt lgkmcnt(0)
	v_mul_f64 v[110:111], v[110:111], v[112:113]
	scratch_store_dwordx2 off, v[110:111], off offset:288
.LBB52_868:
	s_or_b64 exec, exec, s[2:3]
	scratch_load_dwordx2 v[110:111], off, off offset:296
	v_cmp_gt_u32_e32 vcc, 37, v0
	s_waitcnt vmcnt(0)
	ds_write_b64 v1, v[110:111]
	s_waitcnt lgkmcnt(0)
	; wave barrier
	s_and_saveexec_b64 s[2:3], vcc
	s_cbranch_execz .LBB52_878
; %bb.869:
	s_and_b64 vcc, exec, s[0:1]
	s_cbranch_vccnz .LBB52_871
; %bb.870:
	scratch_load_dwordx2 v[110:111], v11, off
	ds_read_b64 v[112:113], v1
	s_waitcnt vmcnt(0) lgkmcnt(0)
	v_mul_f64 v[110:111], v[110:111], v[112:113]
	s_cbranch_execz .LBB52_872
	s_branch .LBB52_873
.LBB52_871:
                                        ; implicit-def: $vgpr110_vgpr111
.LBB52_872:
	ds_read_b64 v[110:111], v1
.LBB52_873:
	v_cmp_ne_u32_e32 vcc, 36, v0
	s_and_saveexec_b64 s[4:5], vcc
	s_cbranch_execz .LBB52_877
; %bb.874:
	s_mov_b32 s6, 0
	v_add_u32_e32 v112, 0x1b8, v10
	v_add3_u32 v113, v10, s6, 8
	s_mov_b64 s[6:7], 0
	v_mov_b32_e32 v114, v0
.LBB52_875:                             ; =>This Inner Loop Header: Depth=1
	scratch_load_dwordx2 v[116:117], v113, off
	ds_read_b64 v[118:119], v112
	v_add_u32_e32 v114, 1, v114
	v_cmp_lt_u32_e32 vcc, 35, v114
	v_add_u32_e32 v112, 8, v112
	v_add_u32_e32 v113, 8, v113
	s_or_b64 s[6:7], vcc, s[6:7]
	s_waitcnt vmcnt(0) lgkmcnt(0)
	v_fmac_f64_e32 v[110:111], v[116:117], v[118:119]
	s_andn2_b64 exec, exec, s[6:7]
	s_cbranch_execnz .LBB52_875
; %bb.876:
	s_or_b64 exec, exec, s[6:7]
.LBB52_877:
	s_or_b64 exec, exec, s[4:5]
	v_mov_b32_e32 v112, 0
	ds_read_b64 v[112:113], v112 offset:296
	s_waitcnt lgkmcnt(0)
	v_mul_f64 v[110:111], v[110:111], v[112:113]
	scratch_store_dwordx2 off, v[110:111], off offset:296
.LBB52_878:
	s_or_b64 exec, exec, s[2:3]
	scratch_load_dwordx2 v[110:111], off, off offset:304
	v_cmp_gt_u32_e32 vcc, 38, v0
	s_waitcnt vmcnt(0)
	ds_write_b64 v1, v[110:111]
	s_waitcnt lgkmcnt(0)
	; wave barrier
	s_and_saveexec_b64 s[2:3], vcc
	s_cbranch_execz .LBB52_888
; %bb.879:
	s_and_b64 vcc, exec, s[0:1]
	s_cbranch_vccnz .LBB52_881
; %bb.880:
	scratch_load_dwordx2 v[110:111], v11, off
	ds_read_b64 v[112:113], v1
	s_waitcnt vmcnt(0) lgkmcnt(0)
	v_mul_f64 v[110:111], v[110:111], v[112:113]
	s_cbranch_execz .LBB52_882
	s_branch .LBB52_883
.LBB52_881:
                                        ; implicit-def: $vgpr110_vgpr111
.LBB52_882:
	ds_read_b64 v[110:111], v1
.LBB52_883:
	v_cmp_ne_u32_e32 vcc, 37, v0
	s_and_saveexec_b64 s[4:5], vcc
	s_cbranch_execz .LBB52_887
; %bb.884:
	s_mov_b32 s6, 0
	v_add_u32_e32 v112, 0x1b8, v10
	v_add3_u32 v113, v10, s6, 8
	s_mov_b64 s[6:7], 0
	v_mov_b32_e32 v114, v0
.LBB52_885:                             ; =>This Inner Loop Header: Depth=1
	scratch_load_dwordx2 v[116:117], v113, off
	ds_read_b64 v[118:119], v112
	v_add_u32_e32 v114, 1, v114
	v_cmp_lt_u32_e32 vcc, 36, v114
	v_add_u32_e32 v112, 8, v112
	v_add_u32_e32 v113, 8, v113
	s_or_b64 s[6:7], vcc, s[6:7]
	s_waitcnt vmcnt(0) lgkmcnt(0)
	v_fmac_f64_e32 v[110:111], v[116:117], v[118:119]
	s_andn2_b64 exec, exec, s[6:7]
	s_cbranch_execnz .LBB52_885
; %bb.886:
	s_or_b64 exec, exec, s[6:7]
.LBB52_887:
	s_or_b64 exec, exec, s[4:5]
	v_mov_b32_e32 v112, 0
	ds_read_b64 v[112:113], v112 offset:304
	s_waitcnt lgkmcnt(0)
	v_mul_f64 v[110:111], v[110:111], v[112:113]
	scratch_store_dwordx2 off, v[110:111], off offset:304
.LBB52_888:
	s_or_b64 exec, exec, s[2:3]
	scratch_load_dwordx2 v[110:111], off, off offset:312
	v_cmp_gt_u32_e32 vcc, 39, v0
	s_waitcnt vmcnt(0)
	ds_write_b64 v1, v[110:111]
	s_waitcnt lgkmcnt(0)
	; wave barrier
	s_and_saveexec_b64 s[2:3], vcc
	s_cbranch_execz .LBB52_898
; %bb.889:
	s_and_b64 vcc, exec, s[0:1]
	s_cbranch_vccnz .LBB52_891
; %bb.890:
	scratch_load_dwordx2 v[110:111], v11, off
	ds_read_b64 v[112:113], v1
	s_waitcnt vmcnt(0) lgkmcnt(0)
	v_mul_f64 v[110:111], v[110:111], v[112:113]
	s_cbranch_execz .LBB52_892
	s_branch .LBB52_893
.LBB52_891:
                                        ; implicit-def: $vgpr110_vgpr111
.LBB52_892:
	ds_read_b64 v[110:111], v1
.LBB52_893:
	v_cmp_ne_u32_e32 vcc, 38, v0
	s_and_saveexec_b64 s[4:5], vcc
	s_cbranch_execz .LBB52_897
; %bb.894:
	s_mov_b32 s6, 0
	v_add_u32_e32 v112, 0x1b8, v10
	v_add3_u32 v113, v10, s6, 8
	s_mov_b64 s[6:7], 0
	v_mov_b32_e32 v114, v0
.LBB52_895:                             ; =>This Inner Loop Header: Depth=1
	scratch_load_dwordx2 v[116:117], v113, off
	ds_read_b64 v[118:119], v112
	v_add_u32_e32 v114, 1, v114
	v_cmp_lt_u32_e32 vcc, 37, v114
	v_add_u32_e32 v112, 8, v112
	v_add_u32_e32 v113, 8, v113
	s_or_b64 s[6:7], vcc, s[6:7]
	s_waitcnt vmcnt(0) lgkmcnt(0)
	v_fmac_f64_e32 v[110:111], v[116:117], v[118:119]
	s_andn2_b64 exec, exec, s[6:7]
	s_cbranch_execnz .LBB52_895
; %bb.896:
	s_or_b64 exec, exec, s[6:7]
.LBB52_897:
	s_or_b64 exec, exec, s[4:5]
	v_mov_b32_e32 v112, 0
	ds_read_b64 v[112:113], v112 offset:312
	s_waitcnt lgkmcnt(0)
	v_mul_f64 v[110:111], v[110:111], v[112:113]
	scratch_store_dwordx2 off, v[110:111], off offset:312
.LBB52_898:
	s_or_b64 exec, exec, s[2:3]
	scratch_load_dwordx2 v[110:111], off, off offset:320
	v_cmp_gt_u32_e32 vcc, 40, v0
	s_waitcnt vmcnt(0)
	ds_write_b64 v1, v[110:111]
	s_waitcnt lgkmcnt(0)
	; wave barrier
	s_and_saveexec_b64 s[2:3], vcc
	s_cbranch_execz .LBB52_908
; %bb.899:
	s_and_b64 vcc, exec, s[0:1]
	s_cbranch_vccnz .LBB52_901
; %bb.900:
	scratch_load_dwordx2 v[110:111], v11, off
	ds_read_b64 v[112:113], v1
	s_waitcnt vmcnt(0) lgkmcnt(0)
	v_mul_f64 v[110:111], v[110:111], v[112:113]
	s_cbranch_execz .LBB52_902
	s_branch .LBB52_903
.LBB52_901:
                                        ; implicit-def: $vgpr110_vgpr111
.LBB52_902:
	ds_read_b64 v[110:111], v1
.LBB52_903:
	v_cmp_ne_u32_e32 vcc, 39, v0
	s_and_saveexec_b64 s[4:5], vcc
	s_cbranch_execz .LBB52_907
; %bb.904:
	s_mov_b32 s6, 0
	v_add_u32_e32 v112, 0x1b8, v10
	v_add3_u32 v113, v10, s6, 8
	s_mov_b64 s[6:7], 0
	v_mov_b32_e32 v114, v0
.LBB52_905:                             ; =>This Inner Loop Header: Depth=1
	scratch_load_dwordx2 v[116:117], v113, off
	ds_read_b64 v[118:119], v112
	v_add_u32_e32 v114, 1, v114
	v_cmp_lt_u32_e32 vcc, 38, v114
	v_add_u32_e32 v112, 8, v112
	v_add_u32_e32 v113, 8, v113
	s_or_b64 s[6:7], vcc, s[6:7]
	s_waitcnt vmcnt(0) lgkmcnt(0)
	v_fmac_f64_e32 v[110:111], v[116:117], v[118:119]
	s_andn2_b64 exec, exec, s[6:7]
	s_cbranch_execnz .LBB52_905
; %bb.906:
	s_or_b64 exec, exec, s[6:7]
.LBB52_907:
	s_or_b64 exec, exec, s[4:5]
	v_mov_b32_e32 v112, 0
	ds_read_b64 v[112:113], v112 offset:320
	s_waitcnt lgkmcnt(0)
	v_mul_f64 v[110:111], v[110:111], v[112:113]
	scratch_store_dwordx2 off, v[110:111], off offset:320
.LBB52_908:
	s_or_b64 exec, exec, s[2:3]
	scratch_load_dwordx2 v[110:111], off, off offset:328
	v_cmp_gt_u32_e32 vcc, 41, v0
	s_waitcnt vmcnt(0)
	ds_write_b64 v1, v[110:111]
	s_waitcnt lgkmcnt(0)
	; wave barrier
	s_and_saveexec_b64 s[2:3], vcc
	s_cbranch_execz .LBB52_918
; %bb.909:
	s_and_b64 vcc, exec, s[0:1]
	s_cbranch_vccnz .LBB52_911
; %bb.910:
	scratch_load_dwordx2 v[110:111], v11, off
	ds_read_b64 v[112:113], v1
	s_waitcnt vmcnt(0) lgkmcnt(0)
	v_mul_f64 v[110:111], v[110:111], v[112:113]
	s_cbranch_execz .LBB52_912
	s_branch .LBB52_913
.LBB52_911:
                                        ; implicit-def: $vgpr110_vgpr111
.LBB52_912:
	ds_read_b64 v[110:111], v1
.LBB52_913:
	v_cmp_ne_u32_e32 vcc, 40, v0
	s_and_saveexec_b64 s[4:5], vcc
	s_cbranch_execz .LBB52_917
; %bb.914:
	s_mov_b32 s6, 0
	v_add_u32_e32 v112, 0x1b8, v10
	v_add3_u32 v113, v10, s6, 8
	s_mov_b64 s[6:7], 0
	v_mov_b32_e32 v114, v0
.LBB52_915:                             ; =>This Inner Loop Header: Depth=1
	scratch_load_dwordx2 v[116:117], v113, off
	ds_read_b64 v[118:119], v112
	v_add_u32_e32 v114, 1, v114
	v_cmp_lt_u32_e32 vcc, 39, v114
	v_add_u32_e32 v112, 8, v112
	v_add_u32_e32 v113, 8, v113
	s_or_b64 s[6:7], vcc, s[6:7]
	s_waitcnt vmcnt(0) lgkmcnt(0)
	v_fmac_f64_e32 v[110:111], v[116:117], v[118:119]
	s_andn2_b64 exec, exec, s[6:7]
	s_cbranch_execnz .LBB52_915
; %bb.916:
	s_or_b64 exec, exec, s[6:7]
.LBB52_917:
	s_or_b64 exec, exec, s[4:5]
	v_mov_b32_e32 v112, 0
	ds_read_b64 v[112:113], v112 offset:328
	s_waitcnt lgkmcnt(0)
	v_mul_f64 v[110:111], v[110:111], v[112:113]
	scratch_store_dwordx2 off, v[110:111], off offset:328
.LBB52_918:
	s_or_b64 exec, exec, s[2:3]
	scratch_load_dwordx2 v[110:111], off, off offset:336
	v_cmp_gt_u32_e32 vcc, 42, v0
	s_waitcnt vmcnt(0)
	ds_write_b64 v1, v[110:111]
	s_waitcnt lgkmcnt(0)
	; wave barrier
	s_and_saveexec_b64 s[2:3], vcc
	s_cbranch_execz .LBB52_928
; %bb.919:
	s_and_b64 vcc, exec, s[0:1]
	s_cbranch_vccnz .LBB52_921
; %bb.920:
	scratch_load_dwordx2 v[110:111], v11, off
	ds_read_b64 v[112:113], v1
	s_waitcnt vmcnt(0) lgkmcnt(0)
	v_mul_f64 v[110:111], v[110:111], v[112:113]
	s_cbranch_execz .LBB52_922
	s_branch .LBB52_923
.LBB52_921:
                                        ; implicit-def: $vgpr110_vgpr111
.LBB52_922:
	ds_read_b64 v[110:111], v1
.LBB52_923:
	v_cmp_ne_u32_e32 vcc, 41, v0
	s_and_saveexec_b64 s[4:5], vcc
	s_cbranch_execz .LBB52_927
; %bb.924:
	s_mov_b32 s6, 0
	v_add_u32_e32 v112, 0x1b8, v10
	v_add3_u32 v113, v10, s6, 8
	s_mov_b64 s[6:7], 0
	v_mov_b32_e32 v114, v0
.LBB52_925:                             ; =>This Inner Loop Header: Depth=1
	scratch_load_dwordx2 v[116:117], v113, off
	ds_read_b64 v[118:119], v112
	v_add_u32_e32 v114, 1, v114
	v_cmp_lt_u32_e32 vcc, 40, v114
	v_add_u32_e32 v112, 8, v112
	v_add_u32_e32 v113, 8, v113
	s_or_b64 s[6:7], vcc, s[6:7]
	s_waitcnt vmcnt(0) lgkmcnt(0)
	v_fmac_f64_e32 v[110:111], v[116:117], v[118:119]
	s_andn2_b64 exec, exec, s[6:7]
	s_cbranch_execnz .LBB52_925
; %bb.926:
	s_or_b64 exec, exec, s[6:7]
.LBB52_927:
	s_or_b64 exec, exec, s[4:5]
	v_mov_b32_e32 v112, 0
	ds_read_b64 v[112:113], v112 offset:336
	s_waitcnt lgkmcnt(0)
	v_mul_f64 v[110:111], v[110:111], v[112:113]
	scratch_store_dwordx2 off, v[110:111], off offset:336
.LBB52_928:
	s_or_b64 exec, exec, s[2:3]
	scratch_load_dwordx2 v[110:111], off, off offset:344
	v_cmp_gt_u32_e32 vcc, 43, v0
	s_waitcnt vmcnt(0)
	ds_write_b64 v1, v[110:111]
	s_waitcnt lgkmcnt(0)
	; wave barrier
	s_and_saveexec_b64 s[2:3], vcc
	s_cbranch_execz .LBB52_938
; %bb.929:
	s_and_b64 vcc, exec, s[0:1]
	s_cbranch_vccnz .LBB52_931
; %bb.930:
	scratch_load_dwordx2 v[110:111], v11, off
	ds_read_b64 v[112:113], v1
	s_waitcnt vmcnt(0) lgkmcnt(0)
	v_mul_f64 v[110:111], v[110:111], v[112:113]
	s_cbranch_execz .LBB52_932
	s_branch .LBB52_933
.LBB52_931:
                                        ; implicit-def: $vgpr110_vgpr111
.LBB52_932:
	ds_read_b64 v[110:111], v1
.LBB52_933:
	v_cmp_ne_u32_e32 vcc, 42, v0
	s_and_saveexec_b64 s[4:5], vcc
	s_cbranch_execz .LBB52_937
; %bb.934:
	s_mov_b32 s6, 0
	v_add_u32_e32 v112, 0x1b8, v10
	v_add3_u32 v113, v10, s6, 8
	s_mov_b64 s[6:7], 0
	v_mov_b32_e32 v114, v0
.LBB52_935:                             ; =>This Inner Loop Header: Depth=1
	scratch_load_dwordx2 v[116:117], v113, off
	ds_read_b64 v[118:119], v112
	v_add_u32_e32 v114, 1, v114
	v_cmp_lt_u32_e32 vcc, 41, v114
	v_add_u32_e32 v112, 8, v112
	v_add_u32_e32 v113, 8, v113
	s_or_b64 s[6:7], vcc, s[6:7]
	s_waitcnt vmcnt(0) lgkmcnt(0)
	v_fmac_f64_e32 v[110:111], v[116:117], v[118:119]
	s_andn2_b64 exec, exec, s[6:7]
	s_cbranch_execnz .LBB52_935
; %bb.936:
	s_or_b64 exec, exec, s[6:7]
.LBB52_937:
	s_or_b64 exec, exec, s[4:5]
	v_mov_b32_e32 v112, 0
	ds_read_b64 v[112:113], v112 offset:344
	s_waitcnt lgkmcnt(0)
	v_mul_f64 v[110:111], v[110:111], v[112:113]
	scratch_store_dwordx2 off, v[110:111], off offset:344
.LBB52_938:
	s_or_b64 exec, exec, s[2:3]
	scratch_load_dwordx2 v[110:111], off, off offset:352
	v_cmp_gt_u32_e32 vcc, 44, v0
	s_waitcnt vmcnt(0)
	ds_write_b64 v1, v[110:111]
	s_waitcnt lgkmcnt(0)
	; wave barrier
	s_and_saveexec_b64 s[2:3], vcc
	s_cbranch_execz .LBB52_948
; %bb.939:
	s_and_b64 vcc, exec, s[0:1]
	s_cbranch_vccnz .LBB52_941
; %bb.940:
	scratch_load_dwordx2 v[110:111], v11, off
	ds_read_b64 v[112:113], v1
	s_waitcnt vmcnt(0) lgkmcnt(0)
	v_mul_f64 v[110:111], v[110:111], v[112:113]
	s_cbranch_execz .LBB52_942
	s_branch .LBB52_943
.LBB52_941:
                                        ; implicit-def: $vgpr110_vgpr111
.LBB52_942:
	ds_read_b64 v[110:111], v1
.LBB52_943:
	v_cmp_ne_u32_e32 vcc, 43, v0
	s_and_saveexec_b64 s[4:5], vcc
	s_cbranch_execz .LBB52_947
; %bb.944:
	s_mov_b32 s6, 0
	v_add_u32_e32 v112, 0x1b8, v10
	v_add3_u32 v113, v10, s6, 8
	s_mov_b64 s[6:7], 0
	v_mov_b32_e32 v114, v0
.LBB52_945:                             ; =>This Inner Loop Header: Depth=1
	scratch_load_dwordx2 v[116:117], v113, off
	ds_read_b64 v[118:119], v112
	v_add_u32_e32 v114, 1, v114
	v_cmp_lt_u32_e32 vcc, 42, v114
	v_add_u32_e32 v112, 8, v112
	v_add_u32_e32 v113, 8, v113
	s_or_b64 s[6:7], vcc, s[6:7]
	s_waitcnt vmcnt(0) lgkmcnt(0)
	v_fmac_f64_e32 v[110:111], v[116:117], v[118:119]
	s_andn2_b64 exec, exec, s[6:7]
	s_cbranch_execnz .LBB52_945
; %bb.946:
	s_or_b64 exec, exec, s[6:7]
.LBB52_947:
	s_or_b64 exec, exec, s[4:5]
	v_mov_b32_e32 v112, 0
	ds_read_b64 v[112:113], v112 offset:352
	s_waitcnt lgkmcnt(0)
	v_mul_f64 v[110:111], v[110:111], v[112:113]
	scratch_store_dwordx2 off, v[110:111], off offset:352
.LBB52_948:
	s_or_b64 exec, exec, s[2:3]
	scratch_load_dwordx2 v[110:111], off, off offset:360
	v_cmp_gt_u32_e32 vcc, 45, v0
	s_waitcnt vmcnt(0)
	ds_write_b64 v1, v[110:111]
	s_waitcnt lgkmcnt(0)
	; wave barrier
	s_and_saveexec_b64 s[2:3], vcc
	s_cbranch_execz .LBB52_958
; %bb.949:
	s_and_b64 vcc, exec, s[0:1]
	s_cbranch_vccnz .LBB52_951
; %bb.950:
	scratch_load_dwordx2 v[110:111], v11, off
	ds_read_b64 v[112:113], v1
	s_waitcnt vmcnt(0) lgkmcnt(0)
	v_mul_f64 v[110:111], v[110:111], v[112:113]
	s_cbranch_execz .LBB52_952
	s_branch .LBB52_953
.LBB52_951:
                                        ; implicit-def: $vgpr110_vgpr111
.LBB52_952:
	ds_read_b64 v[110:111], v1
.LBB52_953:
	v_cmp_ne_u32_e32 vcc, 44, v0
	s_and_saveexec_b64 s[4:5], vcc
	s_cbranch_execz .LBB52_957
; %bb.954:
	s_mov_b32 s6, 0
	v_add_u32_e32 v112, 0x1b8, v10
	v_add3_u32 v113, v10, s6, 8
	s_mov_b64 s[6:7], 0
	v_mov_b32_e32 v114, v0
.LBB52_955:                             ; =>This Inner Loop Header: Depth=1
	scratch_load_dwordx2 v[116:117], v113, off
	ds_read_b64 v[118:119], v112
	v_add_u32_e32 v114, 1, v114
	v_cmp_lt_u32_e32 vcc, 43, v114
	v_add_u32_e32 v112, 8, v112
	v_add_u32_e32 v113, 8, v113
	s_or_b64 s[6:7], vcc, s[6:7]
	s_waitcnt vmcnt(0) lgkmcnt(0)
	v_fmac_f64_e32 v[110:111], v[116:117], v[118:119]
	s_andn2_b64 exec, exec, s[6:7]
	s_cbranch_execnz .LBB52_955
; %bb.956:
	s_or_b64 exec, exec, s[6:7]
.LBB52_957:
	s_or_b64 exec, exec, s[4:5]
	v_mov_b32_e32 v112, 0
	ds_read_b64 v[112:113], v112 offset:360
	s_waitcnt lgkmcnt(0)
	v_mul_f64 v[110:111], v[110:111], v[112:113]
	scratch_store_dwordx2 off, v[110:111], off offset:360
.LBB52_958:
	s_or_b64 exec, exec, s[2:3]
	scratch_load_dwordx2 v[110:111], off, off offset:368
	v_cmp_gt_u32_e32 vcc, 46, v0
	s_waitcnt vmcnt(0)
	ds_write_b64 v1, v[110:111]
	s_waitcnt lgkmcnt(0)
	; wave barrier
	s_and_saveexec_b64 s[2:3], vcc
	s_cbranch_execz .LBB52_968
; %bb.959:
	s_and_b64 vcc, exec, s[0:1]
	s_cbranch_vccnz .LBB52_961
; %bb.960:
	scratch_load_dwordx2 v[110:111], v11, off
	ds_read_b64 v[112:113], v1
	s_waitcnt vmcnt(0) lgkmcnt(0)
	v_mul_f64 v[110:111], v[110:111], v[112:113]
	s_cbranch_execz .LBB52_962
	s_branch .LBB52_963
.LBB52_961:
                                        ; implicit-def: $vgpr110_vgpr111
.LBB52_962:
	ds_read_b64 v[110:111], v1
.LBB52_963:
	v_cmp_ne_u32_e32 vcc, 45, v0
	s_and_saveexec_b64 s[4:5], vcc
	s_cbranch_execz .LBB52_967
; %bb.964:
	s_mov_b32 s6, 0
	v_add_u32_e32 v112, 0x1b8, v10
	v_add3_u32 v113, v10, s6, 8
	s_mov_b64 s[6:7], 0
	v_mov_b32_e32 v114, v0
.LBB52_965:                             ; =>This Inner Loop Header: Depth=1
	scratch_load_dwordx2 v[116:117], v113, off
	ds_read_b64 v[118:119], v112
	v_add_u32_e32 v114, 1, v114
	v_cmp_lt_u32_e32 vcc, 44, v114
	v_add_u32_e32 v112, 8, v112
	v_add_u32_e32 v113, 8, v113
	s_or_b64 s[6:7], vcc, s[6:7]
	s_waitcnt vmcnt(0) lgkmcnt(0)
	v_fmac_f64_e32 v[110:111], v[116:117], v[118:119]
	s_andn2_b64 exec, exec, s[6:7]
	s_cbranch_execnz .LBB52_965
; %bb.966:
	s_or_b64 exec, exec, s[6:7]
.LBB52_967:
	s_or_b64 exec, exec, s[4:5]
	v_mov_b32_e32 v112, 0
	ds_read_b64 v[112:113], v112 offset:368
	s_waitcnt lgkmcnt(0)
	v_mul_f64 v[110:111], v[110:111], v[112:113]
	scratch_store_dwordx2 off, v[110:111], off offset:368
.LBB52_968:
	s_or_b64 exec, exec, s[2:3]
	scratch_load_dwordx2 v[110:111], off, off offset:376
	v_cmp_gt_u32_e32 vcc, 47, v0
	s_waitcnt vmcnt(0)
	ds_write_b64 v1, v[110:111]
	s_waitcnt lgkmcnt(0)
	; wave barrier
	s_and_saveexec_b64 s[2:3], vcc
	s_cbranch_execz .LBB52_978
; %bb.969:
	s_and_b64 vcc, exec, s[0:1]
	s_cbranch_vccnz .LBB52_971
; %bb.970:
	scratch_load_dwordx2 v[110:111], v11, off
	ds_read_b64 v[112:113], v1
	s_waitcnt vmcnt(0) lgkmcnt(0)
	v_mul_f64 v[110:111], v[110:111], v[112:113]
	s_cbranch_execz .LBB52_972
	s_branch .LBB52_973
.LBB52_971:
                                        ; implicit-def: $vgpr110_vgpr111
.LBB52_972:
	ds_read_b64 v[110:111], v1
.LBB52_973:
	v_cmp_ne_u32_e32 vcc, 46, v0
	s_and_saveexec_b64 s[4:5], vcc
	s_cbranch_execz .LBB52_977
; %bb.974:
	s_mov_b32 s6, 0
	v_add_u32_e32 v112, 0x1b8, v10
	v_add3_u32 v113, v10, s6, 8
	s_mov_b64 s[6:7], 0
	v_mov_b32_e32 v114, v0
.LBB52_975:                             ; =>This Inner Loop Header: Depth=1
	scratch_load_dwordx2 v[116:117], v113, off
	ds_read_b64 v[118:119], v112
	v_add_u32_e32 v114, 1, v114
	v_cmp_lt_u32_e32 vcc, 45, v114
	v_add_u32_e32 v112, 8, v112
	v_add_u32_e32 v113, 8, v113
	s_or_b64 s[6:7], vcc, s[6:7]
	s_waitcnt vmcnt(0) lgkmcnt(0)
	v_fmac_f64_e32 v[110:111], v[116:117], v[118:119]
	s_andn2_b64 exec, exec, s[6:7]
	s_cbranch_execnz .LBB52_975
; %bb.976:
	s_or_b64 exec, exec, s[6:7]
.LBB52_977:
	s_or_b64 exec, exec, s[4:5]
	v_mov_b32_e32 v112, 0
	ds_read_b64 v[112:113], v112 offset:376
	s_waitcnt lgkmcnt(0)
	v_mul_f64 v[110:111], v[110:111], v[112:113]
	scratch_store_dwordx2 off, v[110:111], off offset:376
.LBB52_978:
	s_or_b64 exec, exec, s[2:3]
	scratch_load_dwordx2 v[110:111], off, off offset:384
	v_cmp_gt_u32_e32 vcc, 48, v0
	s_waitcnt vmcnt(0)
	ds_write_b64 v1, v[110:111]
	s_waitcnt lgkmcnt(0)
	; wave barrier
	s_and_saveexec_b64 s[2:3], vcc
	s_cbranch_execz .LBB52_988
; %bb.979:
	s_and_b64 vcc, exec, s[0:1]
	s_cbranch_vccnz .LBB52_981
; %bb.980:
	scratch_load_dwordx2 v[110:111], v11, off
	ds_read_b64 v[112:113], v1
	s_waitcnt vmcnt(0) lgkmcnt(0)
	v_mul_f64 v[110:111], v[110:111], v[112:113]
	s_cbranch_execz .LBB52_982
	s_branch .LBB52_983
.LBB52_981:
                                        ; implicit-def: $vgpr110_vgpr111
.LBB52_982:
	ds_read_b64 v[110:111], v1
.LBB52_983:
	v_cmp_ne_u32_e32 vcc, 47, v0
	s_and_saveexec_b64 s[4:5], vcc
	s_cbranch_execz .LBB52_987
; %bb.984:
	s_mov_b32 s6, 0
	v_add_u32_e32 v112, 0x1b8, v10
	v_add3_u32 v113, v10, s6, 8
	s_mov_b64 s[6:7], 0
	v_mov_b32_e32 v114, v0
.LBB52_985:                             ; =>This Inner Loop Header: Depth=1
	scratch_load_dwordx2 v[116:117], v113, off
	ds_read_b64 v[118:119], v112
	v_add_u32_e32 v114, 1, v114
	v_cmp_lt_u32_e32 vcc, 46, v114
	v_add_u32_e32 v112, 8, v112
	v_add_u32_e32 v113, 8, v113
	s_or_b64 s[6:7], vcc, s[6:7]
	s_waitcnt vmcnt(0) lgkmcnt(0)
	v_fmac_f64_e32 v[110:111], v[116:117], v[118:119]
	s_andn2_b64 exec, exec, s[6:7]
	s_cbranch_execnz .LBB52_985
; %bb.986:
	s_or_b64 exec, exec, s[6:7]
.LBB52_987:
	s_or_b64 exec, exec, s[4:5]
	v_mov_b32_e32 v112, 0
	ds_read_b64 v[112:113], v112 offset:384
	s_waitcnt lgkmcnt(0)
	v_mul_f64 v[110:111], v[110:111], v[112:113]
	scratch_store_dwordx2 off, v[110:111], off offset:384
.LBB52_988:
	s_or_b64 exec, exec, s[2:3]
	scratch_load_dwordx2 v[110:111], off, off offset:392
	v_cmp_gt_u32_e32 vcc, 49, v0
	s_waitcnt vmcnt(0)
	ds_write_b64 v1, v[110:111]
	s_waitcnt lgkmcnt(0)
	; wave barrier
	s_and_saveexec_b64 s[2:3], vcc
	s_cbranch_execz .LBB52_998
; %bb.989:
	s_and_b64 vcc, exec, s[0:1]
	s_cbranch_vccnz .LBB52_991
; %bb.990:
	scratch_load_dwordx2 v[110:111], v11, off
	ds_read_b64 v[112:113], v1
	s_waitcnt vmcnt(0) lgkmcnt(0)
	v_mul_f64 v[110:111], v[110:111], v[112:113]
	s_cbranch_execz .LBB52_992
	s_branch .LBB52_993
.LBB52_991:
                                        ; implicit-def: $vgpr110_vgpr111
.LBB52_992:
	ds_read_b64 v[110:111], v1
.LBB52_993:
	v_cmp_ne_u32_e32 vcc, 48, v0
	s_and_saveexec_b64 s[4:5], vcc
	s_cbranch_execz .LBB52_997
; %bb.994:
	s_mov_b32 s6, 0
	v_add_u32_e32 v112, 0x1b8, v10
	v_add3_u32 v113, v10, s6, 8
	s_mov_b64 s[6:7], 0
	v_mov_b32_e32 v114, v0
.LBB52_995:                             ; =>This Inner Loop Header: Depth=1
	scratch_load_dwordx2 v[116:117], v113, off
	ds_read_b64 v[118:119], v112
	v_add_u32_e32 v114, 1, v114
	v_cmp_lt_u32_e32 vcc, 47, v114
	v_add_u32_e32 v112, 8, v112
	v_add_u32_e32 v113, 8, v113
	s_or_b64 s[6:7], vcc, s[6:7]
	s_waitcnt vmcnt(0) lgkmcnt(0)
	v_fmac_f64_e32 v[110:111], v[116:117], v[118:119]
	s_andn2_b64 exec, exec, s[6:7]
	s_cbranch_execnz .LBB52_995
; %bb.996:
	s_or_b64 exec, exec, s[6:7]
.LBB52_997:
	s_or_b64 exec, exec, s[4:5]
	v_mov_b32_e32 v112, 0
	ds_read_b64 v[112:113], v112 offset:392
	s_waitcnt lgkmcnt(0)
	v_mul_f64 v[110:111], v[110:111], v[112:113]
	scratch_store_dwordx2 off, v[110:111], off offset:392
.LBB52_998:
	s_or_b64 exec, exec, s[2:3]
	scratch_load_dwordx2 v[110:111], off, off offset:400
	v_cmp_gt_u32_e32 vcc, 50, v0
	s_waitcnt vmcnt(0)
	ds_write_b64 v1, v[110:111]
	s_waitcnt lgkmcnt(0)
	; wave barrier
	s_and_saveexec_b64 s[2:3], vcc
	s_cbranch_execz .LBB52_1008
; %bb.999:
	s_and_b64 vcc, exec, s[0:1]
	s_cbranch_vccnz .LBB52_1001
; %bb.1000:
	scratch_load_dwordx2 v[110:111], v11, off
	ds_read_b64 v[112:113], v1
	s_waitcnt vmcnt(0) lgkmcnt(0)
	v_mul_f64 v[110:111], v[110:111], v[112:113]
	s_cbranch_execz .LBB52_1002
	s_branch .LBB52_1003
.LBB52_1001:
                                        ; implicit-def: $vgpr110_vgpr111
.LBB52_1002:
	ds_read_b64 v[110:111], v1
.LBB52_1003:
	v_cmp_ne_u32_e32 vcc, 49, v0
	s_and_saveexec_b64 s[4:5], vcc
	s_cbranch_execz .LBB52_1007
; %bb.1004:
	s_mov_b32 s6, 0
	v_add_u32_e32 v112, 0x1b8, v10
	v_add3_u32 v113, v10, s6, 8
	s_mov_b64 s[6:7], 0
	v_mov_b32_e32 v114, v0
.LBB52_1005:                            ; =>This Inner Loop Header: Depth=1
	scratch_load_dwordx2 v[116:117], v113, off
	ds_read_b64 v[118:119], v112
	v_add_u32_e32 v114, 1, v114
	v_cmp_lt_u32_e32 vcc, 48, v114
	v_add_u32_e32 v112, 8, v112
	v_add_u32_e32 v113, 8, v113
	s_or_b64 s[6:7], vcc, s[6:7]
	s_waitcnt vmcnt(0) lgkmcnt(0)
	v_fmac_f64_e32 v[110:111], v[116:117], v[118:119]
	s_andn2_b64 exec, exec, s[6:7]
	s_cbranch_execnz .LBB52_1005
; %bb.1006:
	s_or_b64 exec, exec, s[6:7]
.LBB52_1007:
	s_or_b64 exec, exec, s[4:5]
	v_mov_b32_e32 v112, 0
	ds_read_b64 v[112:113], v112 offset:400
	s_waitcnt lgkmcnt(0)
	v_mul_f64 v[110:111], v[110:111], v[112:113]
	scratch_store_dwordx2 off, v[110:111], off offset:400
.LBB52_1008:
	s_or_b64 exec, exec, s[2:3]
	scratch_load_dwordx2 v[110:111], off, off offset:408
	v_cmp_gt_u32_e64 s[2:3], 51, v0
	s_waitcnt vmcnt(0)
	ds_write_b64 v1, v[110:111]
	s_waitcnt lgkmcnt(0)
	; wave barrier
	s_and_saveexec_b64 s[4:5], s[2:3]
	s_cbranch_execz .LBB52_1018
; %bb.1009:
	s_and_b64 vcc, exec, s[0:1]
	s_cbranch_vccnz .LBB52_1011
; %bb.1010:
	scratch_load_dwordx2 v[110:111], v11, off
	ds_read_b64 v[112:113], v1
	s_waitcnt vmcnt(0) lgkmcnt(0)
	v_mul_f64 v[110:111], v[110:111], v[112:113]
	s_cbranch_execz .LBB52_1012
	s_branch .LBB52_1013
.LBB52_1011:
                                        ; implicit-def: $vgpr110_vgpr111
.LBB52_1012:
	ds_read_b64 v[110:111], v1
.LBB52_1013:
	v_cmp_ne_u32_e32 vcc, 50, v0
	s_and_saveexec_b64 s[6:7], vcc
	s_cbranch_execz .LBB52_1017
; %bb.1014:
	s_mov_b32 s8, 0
	v_add_u32_e32 v112, 0x1b8, v10
	v_add3_u32 v113, v10, s8, 8
	s_mov_b64 s[8:9], 0
	v_mov_b32_e32 v114, v0
.LBB52_1015:                            ; =>This Inner Loop Header: Depth=1
	scratch_load_dwordx2 v[116:117], v113, off
	ds_read_b64 v[118:119], v112
	v_add_u32_e32 v114, 1, v114
	v_cmp_lt_u32_e32 vcc, 49, v114
	v_add_u32_e32 v112, 8, v112
	v_add_u32_e32 v113, 8, v113
	s_or_b64 s[8:9], vcc, s[8:9]
	s_waitcnt vmcnt(0) lgkmcnt(0)
	v_fmac_f64_e32 v[110:111], v[116:117], v[118:119]
	s_andn2_b64 exec, exec, s[8:9]
	s_cbranch_execnz .LBB52_1015
; %bb.1016:
	s_or_b64 exec, exec, s[8:9]
.LBB52_1017:
	s_or_b64 exec, exec, s[6:7]
	v_mov_b32_e32 v112, 0
	ds_read_b64 v[112:113], v112 offset:408
	s_waitcnt lgkmcnt(0)
	v_mul_f64 v[110:111], v[110:111], v[112:113]
	scratch_store_dwordx2 off, v[110:111], off offset:408
.LBB52_1018:
	s_or_b64 exec, exec, s[4:5]
	scratch_load_dwordx2 v[110:111], off, off offset:416
	v_cmp_ne_u32_e32 vcc, 52, v0
	s_waitcnt vmcnt(0)
	ds_write_b64 v1, v[110:111]
	s_waitcnt lgkmcnt(0)
	; wave barrier
	s_and_saveexec_b64 s[4:5], vcc
	s_cbranch_execz .LBB52_1028
; %bb.1019:
	s_and_b64 vcc, exec, s[0:1]
	s_cbranch_vccnz .LBB52_1021
; %bb.1020:
	scratch_load_dwordx2 v[110:111], v11, off
	ds_read_b64 v[112:113], v1
	s_waitcnt vmcnt(0) lgkmcnt(0)
	v_mul_f64 v[110:111], v[110:111], v[112:113]
	s_cbranch_execz .LBB52_1022
	s_branch .LBB52_1023
.LBB52_1021:
                                        ; implicit-def: $vgpr110_vgpr111
.LBB52_1022:
	ds_read_b64 v[110:111], v1
.LBB52_1023:
	s_and_saveexec_b64 s[0:1], s[2:3]
	s_cbranch_execz .LBB52_1027
; %bb.1024:
	s_mov_b32 s2, 0
	v_add_u32_e32 v1, 0x1b8, v10
	v_add3_u32 v10, v10, s2, 8
	s_mov_b64 s[2:3], 0
.LBB52_1025:                            ; =>This Inner Loop Header: Depth=1
	scratch_load_dwordx2 v[112:113], v10, off
	ds_read_b64 v[114:115], v1
	v_add_u32_e32 v0, 1, v0
	v_cmp_lt_u32_e32 vcc, 50, v0
	v_add_u32_e32 v1, 8, v1
	v_add_u32_e32 v10, 8, v10
	s_or_b64 s[2:3], vcc, s[2:3]
	s_waitcnt vmcnt(0) lgkmcnt(0)
	v_fmac_f64_e32 v[110:111], v[112:113], v[114:115]
	s_andn2_b64 exec, exec, s[2:3]
	s_cbranch_execnz .LBB52_1025
; %bb.1026:
	s_or_b64 exec, exec, s[2:3]
.LBB52_1027:
	s_or_b64 exec, exec, s[0:1]
	v_mov_b32_e32 v0, 0
	ds_read_b64 v[0:1], v0 offset:416
	s_waitcnt lgkmcnt(0)
	v_mul_f64 v[0:1], v[110:111], v[0:1]
	scratch_store_dwordx2 off, v[0:1], off offset:416
.LBB52_1028:
	s_or_b64 exec, exec, s[4:5]
.LBB52_1029:
	scratch_load_dwordx4 v[110:113], off, off
	s_waitcnt vmcnt(0)
	global_store_dwordx2 v[2:3], v[110:111], off
	global_store_dwordx2 v[4:5], v[112:113], off
	scratch_load_dwordx4 v[0:3], off, off offset:16
	s_waitcnt vmcnt(0)
	global_store_dwordx2 v[6:7], v[0:1], off
	global_store_dwordx2 v[8:9], v[2:3], off
	scratch_load_dwordx4 v[0:3], off, off offset:32
	;; [unrolled: 4-line block ×25, first 2 shown]
	s_waitcnt vmcnt(0)
	global_store_dwordx2 v[106:107], v[0:1], off
	global_store_dwordx2 v[108:109], v[2:3], off
	scratch_load_dwordx2 v[0:1], off, off offset:416
	s_waitcnt vmcnt(0)
	global_store_dwordx2 v[102:103], v[0:1], off
.LBB52_1030:
	s_endpgm
	.section	.rodata,"a",@progbits
	.p2align	6, 0x0
	.amdhsa_kernel _ZN9rocsolver6v33100L18trti2_kernel_smallILi53EdPdEEv13rocblas_fill_17rocblas_diagonal_T1_iil
		.amdhsa_group_segment_fixed_size 856
		.amdhsa_private_segment_fixed_size 432
		.amdhsa_kernarg_size 32
		.amdhsa_user_sgpr_count 2
		.amdhsa_user_sgpr_dispatch_ptr 0
		.amdhsa_user_sgpr_queue_ptr 0
		.amdhsa_user_sgpr_kernarg_segment_ptr 1
		.amdhsa_user_sgpr_dispatch_id 0
		.amdhsa_user_sgpr_kernarg_preload_length 0
		.amdhsa_user_sgpr_kernarg_preload_offset 0
		.amdhsa_user_sgpr_private_segment_size 0
		.amdhsa_uses_dynamic_stack 0
		.amdhsa_enable_private_segment 1
		.amdhsa_system_sgpr_workgroup_id_x 1
		.amdhsa_system_sgpr_workgroup_id_y 0
		.amdhsa_system_sgpr_workgroup_id_z 0
		.amdhsa_system_sgpr_workgroup_info 0
		.amdhsa_system_vgpr_workitem_id 0
		.amdhsa_next_free_vgpr 120
		.amdhsa_next_free_sgpr 37
		.amdhsa_accum_offset 120
		.amdhsa_reserve_vcc 1
		.amdhsa_float_round_mode_32 0
		.amdhsa_float_round_mode_16_64 0
		.amdhsa_float_denorm_mode_32 3
		.amdhsa_float_denorm_mode_16_64 3
		.amdhsa_dx10_clamp 1
		.amdhsa_ieee_mode 1
		.amdhsa_fp16_overflow 0
		.amdhsa_tg_split 0
		.amdhsa_exception_fp_ieee_invalid_op 0
		.amdhsa_exception_fp_denorm_src 0
		.amdhsa_exception_fp_ieee_div_zero 0
		.amdhsa_exception_fp_ieee_overflow 0
		.amdhsa_exception_fp_ieee_underflow 0
		.amdhsa_exception_fp_ieee_inexact 0
		.amdhsa_exception_int_div_zero 0
	.end_amdhsa_kernel
	.section	.text._ZN9rocsolver6v33100L18trti2_kernel_smallILi53EdPdEEv13rocblas_fill_17rocblas_diagonal_T1_iil,"axG",@progbits,_ZN9rocsolver6v33100L18trti2_kernel_smallILi53EdPdEEv13rocblas_fill_17rocblas_diagonal_T1_iil,comdat
.Lfunc_end52:
	.size	_ZN9rocsolver6v33100L18trti2_kernel_smallILi53EdPdEEv13rocblas_fill_17rocblas_diagonal_T1_iil, .Lfunc_end52-_ZN9rocsolver6v33100L18trti2_kernel_smallILi53EdPdEEv13rocblas_fill_17rocblas_diagonal_T1_iil
                                        ; -- End function
	.set _ZN9rocsolver6v33100L18trti2_kernel_smallILi53EdPdEEv13rocblas_fill_17rocblas_diagonal_T1_iil.num_vgpr, 120
	.set _ZN9rocsolver6v33100L18trti2_kernel_smallILi53EdPdEEv13rocblas_fill_17rocblas_diagonal_T1_iil.num_agpr, 0
	.set _ZN9rocsolver6v33100L18trti2_kernel_smallILi53EdPdEEv13rocblas_fill_17rocblas_diagonal_T1_iil.numbered_sgpr, 37
	.set _ZN9rocsolver6v33100L18trti2_kernel_smallILi53EdPdEEv13rocblas_fill_17rocblas_diagonal_T1_iil.num_named_barrier, 0
	.set _ZN9rocsolver6v33100L18trti2_kernel_smallILi53EdPdEEv13rocblas_fill_17rocblas_diagonal_T1_iil.private_seg_size, 432
	.set _ZN9rocsolver6v33100L18trti2_kernel_smallILi53EdPdEEv13rocblas_fill_17rocblas_diagonal_T1_iil.uses_vcc, 1
	.set _ZN9rocsolver6v33100L18trti2_kernel_smallILi53EdPdEEv13rocblas_fill_17rocblas_diagonal_T1_iil.uses_flat_scratch, 0
	.set _ZN9rocsolver6v33100L18trti2_kernel_smallILi53EdPdEEv13rocblas_fill_17rocblas_diagonal_T1_iil.has_dyn_sized_stack, 0
	.set _ZN9rocsolver6v33100L18trti2_kernel_smallILi53EdPdEEv13rocblas_fill_17rocblas_diagonal_T1_iil.has_recursion, 0
	.set _ZN9rocsolver6v33100L18trti2_kernel_smallILi53EdPdEEv13rocblas_fill_17rocblas_diagonal_T1_iil.has_indirect_call, 0
	.section	.AMDGPU.csdata,"",@progbits
; Kernel info:
; codeLenInByte = 25280
; TotalNumSgprs: 43
; NumVgprs: 120
; NumAgprs: 0
; TotalNumVgprs: 120
; ScratchSize: 432
; MemoryBound: 0
; FloatMode: 240
; IeeeMode: 1
; LDSByteSize: 856 bytes/workgroup (compile time only)
; SGPRBlocks: 5
; VGPRBlocks: 14
; NumSGPRsForWavesPerEU: 43
; NumVGPRsForWavesPerEU: 120
; AccumOffset: 120
; Occupancy: 4
; WaveLimiterHint : 0
; COMPUTE_PGM_RSRC2:SCRATCH_EN: 1
; COMPUTE_PGM_RSRC2:USER_SGPR: 2
; COMPUTE_PGM_RSRC2:TRAP_HANDLER: 0
; COMPUTE_PGM_RSRC2:TGID_X_EN: 1
; COMPUTE_PGM_RSRC2:TGID_Y_EN: 0
; COMPUTE_PGM_RSRC2:TGID_Z_EN: 0
; COMPUTE_PGM_RSRC2:TIDIG_COMP_CNT: 0
; COMPUTE_PGM_RSRC3_GFX90A:ACCUM_OFFSET: 29
; COMPUTE_PGM_RSRC3_GFX90A:TG_SPLIT: 0
	.section	.text._ZN9rocsolver6v33100L18trti2_kernel_smallILi54EdPdEEv13rocblas_fill_17rocblas_diagonal_T1_iil,"axG",@progbits,_ZN9rocsolver6v33100L18trti2_kernel_smallILi54EdPdEEv13rocblas_fill_17rocblas_diagonal_T1_iil,comdat
	.globl	_ZN9rocsolver6v33100L18trti2_kernel_smallILi54EdPdEEv13rocblas_fill_17rocblas_diagonal_T1_iil ; -- Begin function _ZN9rocsolver6v33100L18trti2_kernel_smallILi54EdPdEEv13rocblas_fill_17rocblas_diagonal_T1_iil
	.p2align	8
	.type	_ZN9rocsolver6v33100L18trti2_kernel_smallILi54EdPdEEv13rocblas_fill_17rocblas_diagonal_T1_iil,@function
_ZN9rocsolver6v33100L18trti2_kernel_smallILi54EdPdEEv13rocblas_fill_17rocblas_diagonal_T1_iil: ; @_ZN9rocsolver6v33100L18trti2_kernel_smallILi54EdPdEEv13rocblas_fill_17rocblas_diagonal_T1_iil
; %bb.0:
	v_cmp_gt_u32_e32 vcc, 54, v0
	s_and_saveexec_b64 s[4:5], vcc
	s_cbranch_execz .LBB53_1050
; %bb.1:
	s_load_dwordx8 s[4:11], s[0:1], 0x0
	s_ashr_i32 s3, s2, 31
	v_lshlrev_b32_e32 v16, 3, v0
	v_mov_b32_e32 v17, 0
	s_waitcnt lgkmcnt(0)
	s_ashr_i32 s1, s8, 31
	s_mov_b32 s0, s8
	s_mul_hi_u32 s8, s10, s2
	s_mul_i32 s3, s10, s3
	s_add_i32 s3, s8, s3
	s_mul_i32 s8, s11, s2
	s_add_i32 s3, s3, s8
	s_mul_i32 s2, s10, s2
	s_lshl_b64 s[2:3], s[2:3], 3
	s_add_u32 s2, s6, s2
	s_addc_u32 s3, s7, s3
	s_lshl_b64 s[0:1], s[0:1], 3
	s_add_u32 s0, s2, s0
	s_addc_u32 s1, s3, s1
	v_lshl_add_u64 v[2:3], s[0:1], 0, v[16:17]
	s_ashr_i32 s3, s9, 31
	s_mov_b32 s2, s9
	v_lshl_add_u64 v[4:5], s[2:3], 3, v[2:3]
	global_load_dwordx2 v[6:7], v16, s[0:1]
	global_load_dwordx2 v[8:9], v[4:5], off
	s_add_i32 s2, s9, s9
	s_cmpk_lg_i32 s5, 0x84
	s_cselect_b64 s[6:7], -1, 0
	s_cmpk_eq_i32 s5, 0x84
	s_waitcnt vmcnt(0)
	scratch_store_dwordx4 off, v[6:9], off
	s_nop 1
	v_add_u32_e32 v8, s2, v0
	v_add_u32_e32 v10, s9, v8
	v_ashrrev_i32_e32 v9, 31, v8
	v_ashrrev_i32_e32 v11, 31, v10
	v_lshl_add_u64 v[6:7], v[8:9], 3, s[0:1]
	v_lshl_add_u64 v[8:9], v[10:11], 3, s[0:1]
	global_load_dwordx2 v[12:13], v[6:7], off
	global_load_dwordx2 v[14:15], v[8:9], off
	s_waitcnt vmcnt(0)
	scratch_store_dwordx4 off, v[12:15], off offset:16
	s_nop 1
	v_add_u32_e32 v12, s9, v10
	v_add_u32_e32 v14, s9, v12
	v_ashrrev_i32_e32 v13, 31, v12
	v_ashrrev_i32_e32 v15, 31, v14
	v_lshl_add_u64 v[10:11], v[12:13], 3, s[0:1]
	v_lshl_add_u64 v[12:13], v[14:15], 3, s[0:1]
	global_load_dwordx2 v[18:19], v[10:11], off
	global_load_dwordx2 v[20:21], v[12:13], off
	s_waitcnt vmcnt(0)
	scratch_store_dwordx4 off, v[18:21], off offset:32
	;; [unrolled: 11-line block ×21, first 2 shown]
	s_nop 1
	v_add_u32_e32 v94, s9, v92
	v_ashrrev_i32_e32 v95, 31, v94
	v_lshl_add_u64 v[92:93], v[94:95], 3, s[0:1]
	v_add_u32_e32 v94, s9, v94
	v_ashrrev_i32_e32 v95, 31, v94
	v_lshl_add_u64 v[96:97], v[94:95], 3, s[0:1]
	global_load_dwordx2 v[98:99], v[92:93], off
	global_load_dwordx2 v[100:101], v[96:97], off
	v_add_u32_e32 v94, s9, v94
	v_ashrrev_i32_e32 v95, 31, v94
	s_waitcnt vmcnt(0)
	scratch_store_dwordx4 off, v[98:101], off offset:352
	s_nop 1
	v_lshl_add_u64 v[100:101], v[94:95], 3, s[0:1]
	v_add_u32_e32 v94, s9, v94
	v_ashrrev_i32_e32 v95, 31, v94
	v_lshl_add_u64 v[102:103], v[94:95], 3, s[0:1]
	global_load_dwordx2 v[104:105], v[100:101], off
	global_load_dwordx2 v[106:107], v[102:103], off
	v_add_u32_e32 v94, s9, v94
	v_ashrrev_i32_e32 v95, 31, v94
	s_waitcnt vmcnt(0)
	scratch_store_dwordx4 off, v[104:107], off offset:368
	s_nop 1
	;; [unrolled: 11-line block ×3, first 2 shown]
	v_lshl_add_u64 v[108:109], v[94:95], 3, s[0:1]
	v_add_u32_e32 v94, s9, v94
	v_ashrrev_i32_e32 v95, 31, v94
	v_lshl_add_u64 v[110:111], v[94:95], 3, s[0:1]
	global_load_dwordx2 v[112:113], v[108:109], off
	global_load_dwordx2 v[114:115], v[110:111], off
	v_add_u32_e32 v98, s9, v94
	v_ashrrev_i32_e32 v99, 31, v98
	v_lshl_add_u64 v[94:95], v[98:99], 3, s[0:1]
	v_add_u32_e32 v98, s9, v98
	v_ashrrev_i32_e32 v99, 31, v98
	v_lshl_add_u64 v[98:99], v[98:99], 3, s[0:1]
	s_waitcnt vmcnt(0)
	scratch_store_dwordx4 off, v[112:115], off offset:400
	global_load_dwordx2 v[112:113], v[94:95], off
	s_nop 0
	global_load_dwordx2 v[114:115], v[98:99], off
	s_waitcnt vmcnt(0)
	scratch_store_dwordx4 off, v[112:115], off offset:416
	s_nop 1
	v_mov_b64_e32 v[112:113], -1.0
	s_cbranch_scc1 .LBB53_3
; %bb.2:
	scratch_load_dwordx2 v[112:113], v16, off
	s_waitcnt vmcnt(0)
	v_div_scale_f64 v[114:115], s[0:1], v[112:113], v[112:113], 1.0
	v_rcp_f64_e32 v[116:117], v[114:115]
	v_div_scale_f64 v[118:119], vcc, 1.0, v[112:113], 1.0
	v_fma_f64 v[120:121], -v[114:115], v[116:117], 1.0
	v_fmac_f64_e32 v[116:117], v[116:117], v[120:121]
	v_fma_f64 v[120:121], -v[114:115], v[116:117], 1.0
	v_fmac_f64_e32 v[116:117], v[116:117], v[120:121]
	v_mul_f64 v[120:121], v[118:119], v[116:117]
	v_fma_f64 v[114:115], -v[114:115], v[120:121], v[118:119]
	v_div_fmas_f64 v[114:115], v[114:115], v[116:117], v[120:121]
	v_div_fixup_f64 v[112:113], v[114:115], v[112:113], 1.0
	scratch_store_dwordx2 v16, v[112:113], off
	v_xor_b32_e32 v113, 0x80000000, v113
.LBB53_3:
	s_cmpk_eq_i32 s4, 0x79
	v_add_u32_e32 v1, 0x1b0, v16
	v_mov_b32_e32 v17, v16
	s_mov_b64 s[0:1], -1
	ds_write_b64 v16, v[112:113]
	s_cbranch_scc1 .LBB53_527
; %bb.4:
	scratch_load_dwordx2 v[112:113], off, off offset:416
	s_movk_i32 s8, 0x50
	s_movk_i32 s9, 0x60
	;; [unrolled: 1-line block ×21, first 2 shown]
	v_cmp_eq_u32_e64 s[0:1], 53, v0
	s_waitcnt vmcnt(0)
	ds_write_b64 v1, v[112:113]
	s_waitcnt lgkmcnt(0)
	; wave barrier
	s_and_saveexec_b64 s[2:3], s[0:1]
	s_cbranch_execz .LBB53_10
; %bb.5:
	s_and_b64 vcc, exec, s[6:7]
	s_cbranch_vccz .LBB53_7
; %bb.6:
	scratch_load_dwordx2 v[112:113], v17, off
	ds_read_b64 v[114:115], v1
	s_waitcnt vmcnt(0) lgkmcnt(0)
	v_mul_f64 v[112:113], v[112:113], v[114:115]
	s_cbranch_execz .LBB53_8
	s_branch .LBB53_9
.LBB53_7:
                                        ; implicit-def: $vgpr112_vgpr113
.LBB53_8:
	ds_read_b64 v[112:113], v1
.LBB53_9:
	v_mov_b32_e32 v114, 0
	ds_read_b64 v[114:115], v114 offset:416
	s_waitcnt lgkmcnt(0)
	v_mul_f64 v[112:113], v[112:113], v[114:115]
	scratch_store_dwordx2 off, v[112:113], off offset:416
.LBB53_10:
	s_or_b64 exec, exec, s[2:3]
	scratch_load_dwordx2 v[112:113], off, off offset:408
	s_mov_b32 s10, 16
	s_mov_b32 s11, 32
	;; [unrolled: 1-line block ×6, first 2 shown]
	v_cmp_lt_u32_e64 s[2:3], 51, v0
	s_waitcnt vmcnt(0)
	ds_write_b64 v1, v[112:113]
	s_waitcnt lgkmcnt(0)
	; wave barrier
	s_and_saveexec_b64 s[4:5], s[2:3]
	s_cbranch_execz .LBB53_16
; %bb.11:
	s_andn2_b64 vcc, exec, s[6:7]
	s_cbranch_vccnz .LBB53_13
; %bb.12:
	scratch_load_dwordx2 v[112:113], v17, off
	ds_read_b64 v[114:115], v1
	s_waitcnt vmcnt(0) lgkmcnt(0)
	v_mul_f64 v[112:113], v[112:113], v[114:115]
	s_cbranch_execz .LBB53_14
	s_branch .LBB53_15
.LBB53_13:
                                        ; implicit-def: $vgpr112_vgpr113
.LBB53_14:
	ds_read_b64 v[112:113], v1
.LBB53_15:
	scratch_load_dwordx2 v[118:119], off, off offset:416
	v_mov_b32_e32 v114, 0
	ds_read2_b64 v[114:117], v114 offset0:51 offset1:106
	s_waitcnt vmcnt(0) lgkmcnt(0)
	v_fma_f64 v[116:117], v[118:119], v[116:117], v[112:113]
	v_cndmask_b32_e64 v113, v113, v117, s[0:1]
	v_cndmask_b32_e64 v112, v112, v116, s[0:1]
	v_mul_f64 v[112:113], v[112:113], v[114:115]
	scratch_store_dwordx2 off, v[112:113], off offset:408
.LBB53_16:
	s_or_b64 exec, exec, s[4:5]
	scratch_load_dwordx2 v[112:113], off, off offset:400
	v_cmp_lt_u32_e64 s[0:1], 50, v0
	s_waitcnt vmcnt(0)
	ds_write_b64 v1, v[112:113]
	s_waitcnt lgkmcnt(0)
	; wave barrier
	s_and_saveexec_b64 s[4:5], s[0:1]
	s_cbranch_execz .LBB53_26
; %bb.17:
	s_andn2_b64 vcc, exec, s[6:7]
	s_cbranch_vccnz .LBB53_19
; %bb.18:
	scratch_load_dwordx2 v[112:113], v17, off
	ds_read_b64 v[114:115], v1
	s_waitcnt vmcnt(0) lgkmcnt(0)
	v_mul_f64 v[112:113], v[112:113], v[114:115]
	s_cbranch_execz .LBB53_20
	s_branch .LBB53_21
.LBB53_19:
                                        ; implicit-def: $vgpr112_vgpr113
.LBB53_20:
	ds_read_b64 v[112:113], v1
.LBB53_21:
	s_and_saveexec_b64 s[8:9], s[2:3]
	s_cbranch_execz .LBB53_25
; %bb.22:
	s_movk_i32 s36, 0x198
	v_subrev_u32_e32 v114, 51, v0
	s_movk_i32 s37, 0x348
	s_mov_b64 s[2:3], 0
.LBB53_23:                              ; =>This Inner Loop Header: Depth=1
	scratch_load_dwordx2 v[116:117], off, s36
	v_mov_b32_e32 v115, s37
	ds_read_b64 v[118:119], v115
	v_add_u32_e32 v114, -1, v114
	s_add_i32 s37, s37, 8
	s_add_i32 s36, s36, 8
	v_cmp_eq_u32_e32 vcc, 0, v114
	s_or_b64 s[2:3], vcc, s[2:3]
	s_waitcnt vmcnt(0) lgkmcnt(0)
	v_fmac_f64_e32 v[112:113], v[116:117], v[118:119]
	s_andn2_b64 exec, exec, s[2:3]
	s_cbranch_execnz .LBB53_23
; %bb.24:
	s_or_b64 exec, exec, s[2:3]
.LBB53_25:
	s_or_b64 exec, exec, s[8:9]
	v_mov_b32_e32 v114, 0
	ds_read_b64 v[114:115], v114 offset:400
	s_waitcnt lgkmcnt(0)
	v_mul_f64 v[112:113], v[112:113], v[114:115]
	scratch_store_dwordx2 off, v[112:113], off offset:400
.LBB53_26:
	s_or_b64 exec, exec, s[4:5]
	scratch_load_dwordx2 v[112:113], off, off offset:392
	v_cmp_lt_u32_e64 s[2:3], 49, v0
	s_waitcnt vmcnt(0)
	ds_write_b64 v1, v[112:113]
	s_waitcnt lgkmcnt(0)
	; wave barrier
	s_and_saveexec_b64 s[4:5], s[2:3]
	s_cbranch_execz .LBB53_36
; %bb.27:
	s_andn2_b64 vcc, exec, s[6:7]
	s_cbranch_vccnz .LBB53_29
; %bb.28:
	scratch_load_dwordx2 v[112:113], v17, off
	ds_read_b64 v[114:115], v1
	s_waitcnt vmcnt(0) lgkmcnt(0)
	v_mul_f64 v[112:113], v[112:113], v[114:115]
	s_cbranch_execz .LBB53_30
	s_branch .LBB53_31
.LBB53_29:
                                        ; implicit-def: $vgpr112_vgpr113
.LBB53_30:
	ds_read_b64 v[112:113], v1
.LBB53_31:
	s_and_saveexec_b64 s[8:9], s[0:1]
	s_cbranch_execz .LBB53_35
; %bb.32:
	v_subrev_u32_e32 v114, 50, v0
	s_movk_i32 s36, 0x340
	s_mov_b64 s[0:1], 0
.LBB53_33:                              ; =>This Inner Loop Header: Depth=1
	scratch_load_dwordx2 v[116:117], off, s35
	v_mov_b32_e32 v115, s36
	ds_read_b64 v[118:119], v115
	v_add_u32_e32 v114, -1, v114
	s_add_i32 s36, s36, 8
	s_add_i32 s35, s35, 8
	v_cmp_eq_u32_e32 vcc, 0, v114
	s_or_b64 s[0:1], vcc, s[0:1]
	s_waitcnt vmcnt(0) lgkmcnt(0)
	v_fmac_f64_e32 v[112:113], v[116:117], v[118:119]
	s_andn2_b64 exec, exec, s[0:1]
	s_cbranch_execnz .LBB53_33
; %bb.34:
	s_or_b64 exec, exec, s[0:1]
.LBB53_35:
	s_or_b64 exec, exec, s[8:9]
	v_mov_b32_e32 v114, 0
	ds_read_b64 v[114:115], v114 offset:392
	s_waitcnt lgkmcnt(0)
	v_mul_f64 v[112:113], v[112:113], v[114:115]
	scratch_store_dwordx2 off, v[112:113], off offset:392
.LBB53_36:
	s_or_b64 exec, exec, s[4:5]
	scratch_load_dwordx2 v[112:113], off, off offset:384
	v_cmp_lt_u32_e64 s[0:1], 48, v0
	s_waitcnt vmcnt(0)
	ds_write_b64 v1, v[112:113]
	s_waitcnt lgkmcnt(0)
	; wave barrier
	s_and_saveexec_b64 s[4:5], s[0:1]
	s_cbranch_execz .LBB53_46
; %bb.37:
	s_andn2_b64 vcc, exec, s[6:7]
	s_cbranch_vccnz .LBB53_39
; %bb.38:
	scratch_load_dwordx2 v[112:113], v17, off
	ds_read_b64 v[114:115], v1
	s_waitcnt vmcnt(0) lgkmcnt(0)
	v_mul_f64 v[112:113], v[112:113], v[114:115]
	s_cbranch_execz .LBB53_40
	s_branch .LBB53_41
.LBB53_39:
                                        ; implicit-def: $vgpr112_vgpr113
.LBB53_40:
	ds_read_b64 v[112:113], v1
.LBB53_41:
	s_and_saveexec_b64 s[8:9], s[2:3]
	s_cbranch_execz .LBB53_45
; %bb.42:
	s_movk_i32 s35, 0x188
	v_subrev_u32_e32 v114, 49, v0
	s_movk_i32 s36, 0x338
	s_mov_b64 s[2:3], 0
.LBB53_43:                              ; =>This Inner Loop Header: Depth=1
	scratch_load_dwordx2 v[116:117], off, s35
	v_mov_b32_e32 v115, s36
	ds_read_b64 v[118:119], v115
	v_add_u32_e32 v114, -1, v114
	s_add_i32 s36, s36, 8
	s_add_i32 s35, s35, 8
	v_cmp_eq_u32_e32 vcc, 0, v114
	s_or_b64 s[2:3], vcc, s[2:3]
	s_waitcnt vmcnt(0) lgkmcnt(0)
	v_fmac_f64_e32 v[112:113], v[116:117], v[118:119]
	s_andn2_b64 exec, exec, s[2:3]
	s_cbranch_execnz .LBB53_43
; %bb.44:
	s_or_b64 exec, exec, s[2:3]
.LBB53_45:
	s_or_b64 exec, exec, s[8:9]
	v_mov_b32_e32 v114, 0
	ds_read_b64 v[114:115], v114 offset:384
	s_waitcnt lgkmcnt(0)
	v_mul_f64 v[112:113], v[112:113], v[114:115]
	scratch_store_dwordx2 off, v[112:113], off offset:384
.LBB53_46:
	s_or_b64 exec, exec, s[4:5]
	scratch_load_dwordx2 v[112:113], off, off offset:376
	v_cmp_lt_u32_e64 s[2:3], 47, v0
	s_waitcnt vmcnt(0)
	ds_write_b64 v1, v[112:113]
	s_waitcnt lgkmcnt(0)
	; wave barrier
	s_and_saveexec_b64 s[4:5], s[2:3]
	s_cbranch_execz .LBB53_56
; %bb.47:
	s_andn2_b64 vcc, exec, s[6:7]
	s_cbranch_vccnz .LBB53_49
; %bb.48:
	scratch_load_dwordx2 v[112:113], v17, off
	ds_read_b64 v[114:115], v1
	s_waitcnt vmcnt(0) lgkmcnt(0)
	v_mul_f64 v[112:113], v[112:113], v[114:115]
	s_cbranch_execz .LBB53_50
	s_branch .LBB53_51
.LBB53_49:
                                        ; implicit-def: $vgpr112_vgpr113
.LBB53_50:
	ds_read_b64 v[112:113], v1
.LBB53_51:
	s_and_saveexec_b64 s[8:9], s[0:1]
	s_cbranch_execz .LBB53_55
; %bb.52:
	v_subrev_u32_e32 v114, 48, v0
	s_movk_i32 s35, 0x330
	s_mov_b64 s[0:1], 0
.LBB53_53:                              ; =>This Inner Loop Header: Depth=1
	scratch_load_dwordx2 v[116:117], off, s34
	v_mov_b32_e32 v115, s35
	ds_read_b64 v[118:119], v115
	v_add_u32_e32 v114, -1, v114
	s_add_i32 s35, s35, 8
	s_add_i32 s34, s34, 8
	v_cmp_eq_u32_e32 vcc, 0, v114
	s_or_b64 s[0:1], vcc, s[0:1]
	s_waitcnt vmcnt(0) lgkmcnt(0)
	v_fmac_f64_e32 v[112:113], v[116:117], v[118:119]
	s_andn2_b64 exec, exec, s[0:1]
	s_cbranch_execnz .LBB53_53
; %bb.54:
	s_or_b64 exec, exec, s[0:1]
.LBB53_55:
	s_or_b64 exec, exec, s[8:9]
	v_mov_b32_e32 v114, 0
	ds_read_b64 v[114:115], v114 offset:376
	s_waitcnt lgkmcnt(0)
	v_mul_f64 v[112:113], v[112:113], v[114:115]
	scratch_store_dwordx2 off, v[112:113], off offset:376
.LBB53_56:
	s_or_b64 exec, exec, s[4:5]
	scratch_load_dwordx2 v[112:113], off, off offset:368
	v_cmp_lt_u32_e64 s[0:1], 46, v0
	s_waitcnt vmcnt(0)
	ds_write_b64 v1, v[112:113]
	s_waitcnt lgkmcnt(0)
	; wave barrier
	s_and_saveexec_b64 s[4:5], s[0:1]
	s_cbranch_execz .LBB53_66
; %bb.57:
	s_andn2_b64 vcc, exec, s[6:7]
	s_cbranch_vccnz .LBB53_59
; %bb.58:
	scratch_load_dwordx2 v[112:113], v17, off
	ds_read_b64 v[114:115], v1
	s_waitcnt vmcnt(0) lgkmcnt(0)
	v_mul_f64 v[112:113], v[112:113], v[114:115]
	s_cbranch_execz .LBB53_60
	s_branch .LBB53_61
.LBB53_59:
                                        ; implicit-def: $vgpr112_vgpr113
.LBB53_60:
	ds_read_b64 v[112:113], v1
.LBB53_61:
	s_and_saveexec_b64 s[8:9], s[2:3]
	s_cbranch_execz .LBB53_65
; %bb.62:
	s_movk_i32 s34, 0x178
	v_subrev_u32_e32 v114, 47, v0
	s_movk_i32 s35, 0x328
	s_mov_b64 s[2:3], 0
.LBB53_63:                              ; =>This Inner Loop Header: Depth=1
	scratch_load_dwordx2 v[116:117], off, s34
	v_mov_b32_e32 v115, s35
	ds_read_b64 v[118:119], v115
	v_add_u32_e32 v114, -1, v114
	s_add_i32 s35, s35, 8
	s_add_i32 s34, s34, 8
	v_cmp_eq_u32_e32 vcc, 0, v114
	s_or_b64 s[2:3], vcc, s[2:3]
	s_waitcnt vmcnt(0) lgkmcnt(0)
	v_fmac_f64_e32 v[112:113], v[116:117], v[118:119]
	s_andn2_b64 exec, exec, s[2:3]
	s_cbranch_execnz .LBB53_63
; %bb.64:
	s_or_b64 exec, exec, s[2:3]
.LBB53_65:
	s_or_b64 exec, exec, s[8:9]
	v_mov_b32_e32 v114, 0
	ds_read_b64 v[114:115], v114 offset:368
	s_waitcnt lgkmcnt(0)
	v_mul_f64 v[112:113], v[112:113], v[114:115]
	scratch_store_dwordx2 off, v[112:113], off offset:368
.LBB53_66:
	s_or_b64 exec, exec, s[4:5]
	scratch_load_dwordx2 v[112:113], off, off offset:360
	v_cmp_lt_u32_e64 s[2:3], 45, v0
	s_waitcnt vmcnt(0)
	ds_write_b64 v1, v[112:113]
	s_waitcnt lgkmcnt(0)
	; wave barrier
	s_and_saveexec_b64 s[4:5], s[2:3]
	s_cbranch_execz .LBB53_76
; %bb.67:
	s_andn2_b64 vcc, exec, s[6:7]
	s_cbranch_vccnz .LBB53_69
; %bb.68:
	scratch_load_dwordx2 v[112:113], v17, off
	ds_read_b64 v[114:115], v1
	s_waitcnt vmcnt(0) lgkmcnt(0)
	v_mul_f64 v[112:113], v[112:113], v[114:115]
	s_cbranch_execz .LBB53_70
	s_branch .LBB53_71
.LBB53_69:
                                        ; implicit-def: $vgpr112_vgpr113
.LBB53_70:
	ds_read_b64 v[112:113], v1
.LBB53_71:
	s_and_saveexec_b64 s[8:9], s[0:1]
	s_cbranch_execz .LBB53_75
; %bb.72:
	v_subrev_u32_e32 v114, 46, v0
	s_movk_i32 s34, 0x320
	s_mov_b64 s[0:1], 0
.LBB53_73:                              ; =>This Inner Loop Header: Depth=1
	scratch_load_dwordx2 v[116:117], off, s33
	v_mov_b32_e32 v115, s34
	ds_read_b64 v[118:119], v115
	v_add_u32_e32 v114, -1, v114
	s_add_i32 s34, s34, 8
	s_add_i32 s33, s33, 8
	v_cmp_eq_u32_e32 vcc, 0, v114
	s_or_b64 s[0:1], vcc, s[0:1]
	s_waitcnt vmcnt(0) lgkmcnt(0)
	v_fmac_f64_e32 v[112:113], v[116:117], v[118:119]
	s_andn2_b64 exec, exec, s[0:1]
	s_cbranch_execnz .LBB53_73
; %bb.74:
	s_or_b64 exec, exec, s[0:1]
.LBB53_75:
	s_or_b64 exec, exec, s[8:9]
	v_mov_b32_e32 v114, 0
	ds_read_b64 v[114:115], v114 offset:360
	s_waitcnt lgkmcnt(0)
	v_mul_f64 v[112:113], v[112:113], v[114:115]
	scratch_store_dwordx2 off, v[112:113], off offset:360
.LBB53_76:
	s_or_b64 exec, exec, s[4:5]
	scratch_load_dwordx2 v[112:113], off, off offset:352
	v_cmp_lt_u32_e64 s[0:1], 44, v0
	s_waitcnt vmcnt(0)
	ds_write_b64 v1, v[112:113]
	s_waitcnt lgkmcnt(0)
	; wave barrier
	s_and_saveexec_b64 s[4:5], s[0:1]
	s_cbranch_execz .LBB53_86
; %bb.77:
	s_andn2_b64 vcc, exec, s[6:7]
	s_cbranch_vccnz .LBB53_79
; %bb.78:
	scratch_load_dwordx2 v[112:113], v17, off
	ds_read_b64 v[114:115], v1
	s_waitcnt vmcnt(0) lgkmcnt(0)
	v_mul_f64 v[112:113], v[112:113], v[114:115]
	s_cbranch_execz .LBB53_80
	s_branch .LBB53_81
.LBB53_79:
                                        ; implicit-def: $vgpr112_vgpr113
.LBB53_80:
	ds_read_b64 v[112:113], v1
.LBB53_81:
	s_and_saveexec_b64 s[8:9], s[2:3]
	s_cbranch_execz .LBB53_85
; %bb.82:
	s_movk_i32 s33, 0x168
	v_subrev_u32_e32 v114, 45, v0
	s_movk_i32 s34, 0x318
	s_mov_b64 s[2:3], 0
.LBB53_83:                              ; =>This Inner Loop Header: Depth=1
	scratch_load_dwordx2 v[116:117], off, s33
	v_mov_b32_e32 v115, s34
	ds_read_b64 v[118:119], v115
	v_add_u32_e32 v114, -1, v114
	s_add_i32 s34, s34, 8
	s_add_i32 s33, s33, 8
	v_cmp_eq_u32_e32 vcc, 0, v114
	s_or_b64 s[2:3], vcc, s[2:3]
	s_waitcnt vmcnt(0) lgkmcnt(0)
	v_fmac_f64_e32 v[112:113], v[116:117], v[118:119]
	s_andn2_b64 exec, exec, s[2:3]
	s_cbranch_execnz .LBB53_83
; %bb.84:
	s_or_b64 exec, exec, s[2:3]
.LBB53_85:
	s_or_b64 exec, exec, s[8:9]
	v_mov_b32_e32 v114, 0
	ds_read_b64 v[114:115], v114 offset:352
	s_waitcnt lgkmcnt(0)
	v_mul_f64 v[112:113], v[112:113], v[114:115]
	scratch_store_dwordx2 off, v[112:113], off offset:352
.LBB53_86:
	s_or_b64 exec, exec, s[4:5]
	scratch_load_dwordx2 v[112:113], off, off offset:344
	v_cmp_lt_u32_e64 s[2:3], 43, v0
	s_waitcnt vmcnt(0)
	ds_write_b64 v1, v[112:113]
	s_waitcnt lgkmcnt(0)
	; wave barrier
	s_and_saveexec_b64 s[4:5], s[2:3]
	s_cbranch_execz .LBB53_96
; %bb.87:
	s_andn2_b64 vcc, exec, s[6:7]
	s_cbranch_vccnz .LBB53_89
; %bb.88:
	scratch_load_dwordx2 v[112:113], v17, off
	ds_read_b64 v[114:115], v1
	s_waitcnt vmcnt(0) lgkmcnt(0)
	v_mul_f64 v[112:113], v[112:113], v[114:115]
	s_cbranch_execz .LBB53_90
	s_branch .LBB53_91
.LBB53_89:
                                        ; implicit-def: $vgpr112_vgpr113
.LBB53_90:
	ds_read_b64 v[112:113], v1
.LBB53_91:
	s_and_saveexec_b64 s[8:9], s[0:1]
	s_cbranch_execz .LBB53_95
; %bb.92:
	v_subrev_u32_e32 v114, 44, v0
	s_movk_i32 s33, 0x310
	s_mov_b64 s[0:1], 0
.LBB53_93:                              ; =>This Inner Loop Header: Depth=1
	scratch_load_dwordx2 v[116:117], off, s31
	v_mov_b32_e32 v115, s33
	ds_read_b64 v[118:119], v115
	v_add_u32_e32 v114, -1, v114
	s_add_i32 s33, s33, 8
	s_add_i32 s31, s31, 8
	v_cmp_eq_u32_e32 vcc, 0, v114
	s_or_b64 s[0:1], vcc, s[0:1]
	s_waitcnt vmcnt(0) lgkmcnt(0)
	v_fmac_f64_e32 v[112:113], v[116:117], v[118:119]
	s_andn2_b64 exec, exec, s[0:1]
	s_cbranch_execnz .LBB53_93
; %bb.94:
	s_or_b64 exec, exec, s[0:1]
.LBB53_95:
	s_or_b64 exec, exec, s[8:9]
	v_mov_b32_e32 v114, 0
	ds_read_b64 v[114:115], v114 offset:344
	s_waitcnt lgkmcnt(0)
	v_mul_f64 v[112:113], v[112:113], v[114:115]
	scratch_store_dwordx2 off, v[112:113], off offset:344
.LBB53_96:
	s_or_b64 exec, exec, s[4:5]
	scratch_load_dwordx2 v[112:113], off, off offset:336
	v_cmp_lt_u32_e64 s[0:1], 42, v0
	s_waitcnt vmcnt(0)
	ds_write_b64 v1, v[112:113]
	s_waitcnt lgkmcnt(0)
	; wave barrier
	s_and_saveexec_b64 s[4:5], s[0:1]
	s_cbranch_execz .LBB53_106
; %bb.97:
	s_andn2_b64 vcc, exec, s[6:7]
	s_cbranch_vccnz .LBB53_99
; %bb.98:
	scratch_load_dwordx2 v[112:113], v17, off
	ds_read_b64 v[114:115], v1
	s_waitcnt vmcnt(0) lgkmcnt(0)
	v_mul_f64 v[112:113], v[112:113], v[114:115]
	s_cbranch_execz .LBB53_100
	s_branch .LBB53_101
.LBB53_99:
                                        ; implicit-def: $vgpr112_vgpr113
.LBB53_100:
	ds_read_b64 v[112:113], v1
.LBB53_101:
	s_and_saveexec_b64 s[8:9], s[2:3]
	s_cbranch_execz .LBB53_105
; %bb.102:
	s_movk_i32 s31, 0x158
	v_subrev_u32_e32 v114, 43, v0
	s_movk_i32 s33, 0x308
	s_mov_b64 s[2:3], 0
.LBB53_103:                             ; =>This Inner Loop Header: Depth=1
	scratch_load_dwordx2 v[116:117], off, s31
	v_mov_b32_e32 v115, s33
	ds_read_b64 v[118:119], v115
	v_add_u32_e32 v114, -1, v114
	s_add_i32 s33, s33, 8
	s_add_i32 s31, s31, 8
	v_cmp_eq_u32_e32 vcc, 0, v114
	s_or_b64 s[2:3], vcc, s[2:3]
	s_waitcnt vmcnt(0) lgkmcnt(0)
	v_fmac_f64_e32 v[112:113], v[116:117], v[118:119]
	s_andn2_b64 exec, exec, s[2:3]
	s_cbranch_execnz .LBB53_103
; %bb.104:
	s_or_b64 exec, exec, s[2:3]
.LBB53_105:
	s_or_b64 exec, exec, s[8:9]
	v_mov_b32_e32 v114, 0
	ds_read_b64 v[114:115], v114 offset:336
	s_waitcnt lgkmcnt(0)
	v_mul_f64 v[112:113], v[112:113], v[114:115]
	scratch_store_dwordx2 off, v[112:113], off offset:336
.LBB53_106:
	s_or_b64 exec, exec, s[4:5]
	scratch_load_dwordx2 v[112:113], off, off offset:328
	v_cmp_lt_u32_e64 s[2:3], 41, v0
	s_waitcnt vmcnt(0)
	ds_write_b64 v1, v[112:113]
	s_waitcnt lgkmcnt(0)
	; wave barrier
	s_and_saveexec_b64 s[4:5], s[2:3]
	s_cbranch_execz .LBB53_116
; %bb.107:
	s_andn2_b64 vcc, exec, s[6:7]
	s_cbranch_vccnz .LBB53_109
; %bb.108:
	scratch_load_dwordx2 v[112:113], v17, off
	ds_read_b64 v[114:115], v1
	s_waitcnt vmcnt(0) lgkmcnt(0)
	v_mul_f64 v[112:113], v[112:113], v[114:115]
	s_cbranch_execz .LBB53_110
	s_branch .LBB53_111
.LBB53_109:
                                        ; implicit-def: $vgpr112_vgpr113
.LBB53_110:
	ds_read_b64 v[112:113], v1
.LBB53_111:
	s_and_saveexec_b64 s[8:9], s[0:1]
	s_cbranch_execz .LBB53_115
; %bb.112:
	v_subrev_u32_e32 v114, 42, v0
	s_movk_i32 s31, 0x300
	s_mov_b64 s[0:1], 0
.LBB53_113:                             ; =>This Inner Loop Header: Depth=1
	scratch_load_dwordx2 v[116:117], off, s30
	v_mov_b32_e32 v115, s31
	ds_read_b64 v[118:119], v115
	v_add_u32_e32 v114, -1, v114
	s_add_i32 s31, s31, 8
	s_add_i32 s30, s30, 8
	v_cmp_eq_u32_e32 vcc, 0, v114
	s_or_b64 s[0:1], vcc, s[0:1]
	s_waitcnt vmcnt(0) lgkmcnt(0)
	v_fmac_f64_e32 v[112:113], v[116:117], v[118:119]
	s_andn2_b64 exec, exec, s[0:1]
	s_cbranch_execnz .LBB53_113
; %bb.114:
	s_or_b64 exec, exec, s[0:1]
.LBB53_115:
	s_or_b64 exec, exec, s[8:9]
	v_mov_b32_e32 v114, 0
	ds_read_b64 v[114:115], v114 offset:328
	s_waitcnt lgkmcnt(0)
	v_mul_f64 v[112:113], v[112:113], v[114:115]
	scratch_store_dwordx2 off, v[112:113], off offset:328
.LBB53_116:
	s_or_b64 exec, exec, s[4:5]
	scratch_load_dwordx2 v[112:113], off, off offset:320
	v_cmp_lt_u32_e64 s[0:1], 40, v0
	s_waitcnt vmcnt(0)
	ds_write_b64 v1, v[112:113]
	s_waitcnt lgkmcnt(0)
	; wave barrier
	s_and_saveexec_b64 s[4:5], s[0:1]
	s_cbranch_execz .LBB53_126
; %bb.117:
	s_andn2_b64 vcc, exec, s[6:7]
	s_cbranch_vccnz .LBB53_119
; %bb.118:
	scratch_load_dwordx2 v[112:113], v17, off
	ds_read_b64 v[114:115], v1
	s_waitcnt vmcnt(0) lgkmcnt(0)
	v_mul_f64 v[112:113], v[112:113], v[114:115]
	s_cbranch_execz .LBB53_120
	s_branch .LBB53_121
.LBB53_119:
                                        ; implicit-def: $vgpr112_vgpr113
.LBB53_120:
	ds_read_b64 v[112:113], v1
.LBB53_121:
	s_and_saveexec_b64 s[8:9], s[2:3]
	s_cbranch_execz .LBB53_125
; %bb.122:
	s_movk_i32 s30, 0x148
	v_subrev_u32_e32 v114, 41, v0
	s_movk_i32 s31, 0x2f8
	s_mov_b64 s[2:3], 0
.LBB53_123:                             ; =>This Inner Loop Header: Depth=1
	scratch_load_dwordx2 v[116:117], off, s30
	v_mov_b32_e32 v115, s31
	ds_read_b64 v[118:119], v115
	v_add_u32_e32 v114, -1, v114
	s_add_i32 s31, s31, 8
	s_add_i32 s30, s30, 8
	v_cmp_eq_u32_e32 vcc, 0, v114
	s_or_b64 s[2:3], vcc, s[2:3]
	s_waitcnt vmcnt(0) lgkmcnt(0)
	v_fmac_f64_e32 v[112:113], v[116:117], v[118:119]
	s_andn2_b64 exec, exec, s[2:3]
	s_cbranch_execnz .LBB53_123
; %bb.124:
	s_or_b64 exec, exec, s[2:3]
.LBB53_125:
	s_or_b64 exec, exec, s[8:9]
	v_mov_b32_e32 v114, 0
	ds_read_b64 v[114:115], v114 offset:320
	s_waitcnt lgkmcnt(0)
	v_mul_f64 v[112:113], v[112:113], v[114:115]
	scratch_store_dwordx2 off, v[112:113], off offset:320
.LBB53_126:
	s_or_b64 exec, exec, s[4:5]
	scratch_load_dwordx2 v[112:113], off, off offset:312
	v_cmp_lt_u32_e64 s[2:3], 39, v0
	s_waitcnt vmcnt(0)
	ds_write_b64 v1, v[112:113]
	s_waitcnt lgkmcnt(0)
	; wave barrier
	s_and_saveexec_b64 s[4:5], s[2:3]
	s_cbranch_execz .LBB53_136
; %bb.127:
	s_andn2_b64 vcc, exec, s[6:7]
	s_cbranch_vccnz .LBB53_129
; %bb.128:
	scratch_load_dwordx2 v[112:113], v17, off
	ds_read_b64 v[114:115], v1
	s_waitcnt vmcnt(0) lgkmcnt(0)
	v_mul_f64 v[112:113], v[112:113], v[114:115]
	s_cbranch_execz .LBB53_130
	s_branch .LBB53_131
.LBB53_129:
                                        ; implicit-def: $vgpr112_vgpr113
.LBB53_130:
	ds_read_b64 v[112:113], v1
.LBB53_131:
	s_and_saveexec_b64 s[8:9], s[0:1]
	s_cbranch_execz .LBB53_135
; %bb.132:
	v_subrev_u32_e32 v114, 40, v0
	s_movk_i32 s30, 0x2f0
	s_mov_b64 s[0:1], 0
.LBB53_133:                             ; =>This Inner Loop Header: Depth=1
	scratch_load_dwordx2 v[116:117], off, s29
	v_mov_b32_e32 v115, s30
	ds_read_b64 v[118:119], v115
	v_add_u32_e32 v114, -1, v114
	s_add_i32 s30, s30, 8
	s_add_i32 s29, s29, 8
	v_cmp_eq_u32_e32 vcc, 0, v114
	s_or_b64 s[0:1], vcc, s[0:1]
	s_waitcnt vmcnt(0) lgkmcnt(0)
	v_fmac_f64_e32 v[112:113], v[116:117], v[118:119]
	s_andn2_b64 exec, exec, s[0:1]
	s_cbranch_execnz .LBB53_133
; %bb.134:
	s_or_b64 exec, exec, s[0:1]
.LBB53_135:
	s_or_b64 exec, exec, s[8:9]
	v_mov_b32_e32 v114, 0
	ds_read_b64 v[114:115], v114 offset:312
	s_waitcnt lgkmcnt(0)
	v_mul_f64 v[112:113], v[112:113], v[114:115]
	scratch_store_dwordx2 off, v[112:113], off offset:312
.LBB53_136:
	s_or_b64 exec, exec, s[4:5]
	scratch_load_dwordx2 v[112:113], off, off offset:304
	v_cmp_lt_u32_e64 s[0:1], 38, v0
	s_waitcnt vmcnt(0)
	ds_write_b64 v1, v[112:113]
	s_waitcnt lgkmcnt(0)
	; wave barrier
	s_and_saveexec_b64 s[4:5], s[0:1]
	s_cbranch_execz .LBB53_146
; %bb.137:
	s_andn2_b64 vcc, exec, s[6:7]
	s_cbranch_vccnz .LBB53_139
; %bb.138:
	scratch_load_dwordx2 v[112:113], v17, off
	ds_read_b64 v[114:115], v1
	s_waitcnt vmcnt(0) lgkmcnt(0)
	v_mul_f64 v[112:113], v[112:113], v[114:115]
	s_cbranch_execz .LBB53_140
	s_branch .LBB53_141
.LBB53_139:
                                        ; implicit-def: $vgpr112_vgpr113
.LBB53_140:
	ds_read_b64 v[112:113], v1
.LBB53_141:
	s_and_saveexec_b64 s[8:9], s[2:3]
	s_cbranch_execz .LBB53_145
; %bb.142:
	s_movk_i32 s29, 0x138
	v_subrev_u32_e32 v114, 39, v0
	s_movk_i32 s30, 0x2e8
	s_mov_b64 s[2:3], 0
.LBB53_143:                             ; =>This Inner Loop Header: Depth=1
	scratch_load_dwordx2 v[116:117], off, s29
	v_mov_b32_e32 v115, s30
	ds_read_b64 v[118:119], v115
	v_add_u32_e32 v114, -1, v114
	s_add_i32 s30, s30, 8
	s_add_i32 s29, s29, 8
	v_cmp_eq_u32_e32 vcc, 0, v114
	s_or_b64 s[2:3], vcc, s[2:3]
	s_waitcnt vmcnt(0) lgkmcnt(0)
	v_fmac_f64_e32 v[112:113], v[116:117], v[118:119]
	s_andn2_b64 exec, exec, s[2:3]
	s_cbranch_execnz .LBB53_143
; %bb.144:
	s_or_b64 exec, exec, s[2:3]
.LBB53_145:
	s_or_b64 exec, exec, s[8:9]
	v_mov_b32_e32 v114, 0
	ds_read_b64 v[114:115], v114 offset:304
	s_waitcnt lgkmcnt(0)
	v_mul_f64 v[112:113], v[112:113], v[114:115]
	scratch_store_dwordx2 off, v[112:113], off offset:304
.LBB53_146:
	s_or_b64 exec, exec, s[4:5]
	scratch_load_dwordx2 v[112:113], off, off offset:296
	v_cmp_lt_u32_e64 s[2:3], 37, v0
	s_waitcnt vmcnt(0)
	ds_write_b64 v1, v[112:113]
	s_waitcnt lgkmcnt(0)
	; wave barrier
	s_and_saveexec_b64 s[4:5], s[2:3]
	s_cbranch_execz .LBB53_156
; %bb.147:
	s_andn2_b64 vcc, exec, s[6:7]
	s_cbranch_vccnz .LBB53_149
; %bb.148:
	scratch_load_dwordx2 v[112:113], v17, off
	ds_read_b64 v[114:115], v1
	s_waitcnt vmcnt(0) lgkmcnt(0)
	v_mul_f64 v[112:113], v[112:113], v[114:115]
	s_cbranch_execz .LBB53_150
	s_branch .LBB53_151
.LBB53_149:
                                        ; implicit-def: $vgpr112_vgpr113
.LBB53_150:
	ds_read_b64 v[112:113], v1
.LBB53_151:
	s_and_saveexec_b64 s[8:9], s[0:1]
	s_cbranch_execz .LBB53_155
; %bb.152:
	v_subrev_u32_e32 v114, 38, v0
	s_movk_i32 s29, 0x2e0
	s_mov_b64 s[0:1], 0
.LBB53_153:                             ; =>This Inner Loop Header: Depth=1
	scratch_load_dwordx2 v[116:117], off, s28
	v_mov_b32_e32 v115, s29
	ds_read_b64 v[118:119], v115
	v_add_u32_e32 v114, -1, v114
	s_add_i32 s29, s29, 8
	s_add_i32 s28, s28, 8
	v_cmp_eq_u32_e32 vcc, 0, v114
	s_or_b64 s[0:1], vcc, s[0:1]
	s_waitcnt vmcnt(0) lgkmcnt(0)
	v_fmac_f64_e32 v[112:113], v[116:117], v[118:119]
	s_andn2_b64 exec, exec, s[0:1]
	s_cbranch_execnz .LBB53_153
; %bb.154:
	s_or_b64 exec, exec, s[0:1]
.LBB53_155:
	s_or_b64 exec, exec, s[8:9]
	v_mov_b32_e32 v114, 0
	ds_read_b64 v[114:115], v114 offset:296
	s_waitcnt lgkmcnt(0)
	v_mul_f64 v[112:113], v[112:113], v[114:115]
	scratch_store_dwordx2 off, v[112:113], off offset:296
.LBB53_156:
	s_or_b64 exec, exec, s[4:5]
	scratch_load_dwordx2 v[112:113], off, off offset:288
	v_cmp_lt_u32_e64 s[0:1], 36, v0
	s_waitcnt vmcnt(0)
	ds_write_b64 v1, v[112:113]
	s_waitcnt lgkmcnt(0)
	; wave barrier
	s_and_saveexec_b64 s[4:5], s[0:1]
	s_cbranch_execz .LBB53_166
; %bb.157:
	s_andn2_b64 vcc, exec, s[6:7]
	s_cbranch_vccnz .LBB53_159
; %bb.158:
	scratch_load_dwordx2 v[112:113], v17, off
	ds_read_b64 v[114:115], v1
	s_waitcnt vmcnt(0) lgkmcnt(0)
	v_mul_f64 v[112:113], v[112:113], v[114:115]
	s_cbranch_execz .LBB53_160
	s_branch .LBB53_161
.LBB53_159:
                                        ; implicit-def: $vgpr112_vgpr113
.LBB53_160:
	ds_read_b64 v[112:113], v1
.LBB53_161:
	s_and_saveexec_b64 s[8:9], s[2:3]
	s_cbranch_execz .LBB53_165
; %bb.162:
	s_movk_i32 s28, 0x128
	v_subrev_u32_e32 v114, 37, v0
	s_movk_i32 s29, 0x2d8
	s_mov_b64 s[2:3], 0
.LBB53_163:                             ; =>This Inner Loop Header: Depth=1
	scratch_load_dwordx2 v[116:117], off, s28
	v_mov_b32_e32 v115, s29
	ds_read_b64 v[118:119], v115
	v_add_u32_e32 v114, -1, v114
	s_add_i32 s29, s29, 8
	s_add_i32 s28, s28, 8
	v_cmp_eq_u32_e32 vcc, 0, v114
	s_or_b64 s[2:3], vcc, s[2:3]
	s_waitcnt vmcnt(0) lgkmcnt(0)
	v_fmac_f64_e32 v[112:113], v[116:117], v[118:119]
	s_andn2_b64 exec, exec, s[2:3]
	s_cbranch_execnz .LBB53_163
; %bb.164:
	s_or_b64 exec, exec, s[2:3]
.LBB53_165:
	s_or_b64 exec, exec, s[8:9]
	v_mov_b32_e32 v114, 0
	ds_read_b64 v[114:115], v114 offset:288
	s_waitcnt lgkmcnt(0)
	v_mul_f64 v[112:113], v[112:113], v[114:115]
	scratch_store_dwordx2 off, v[112:113], off offset:288
.LBB53_166:
	s_or_b64 exec, exec, s[4:5]
	scratch_load_dwordx2 v[112:113], off, off offset:280
	v_cmp_lt_u32_e64 s[2:3], 35, v0
	s_waitcnt vmcnt(0)
	ds_write_b64 v1, v[112:113]
	s_waitcnt lgkmcnt(0)
	; wave barrier
	s_and_saveexec_b64 s[4:5], s[2:3]
	s_cbranch_execz .LBB53_176
; %bb.167:
	s_andn2_b64 vcc, exec, s[6:7]
	s_cbranch_vccnz .LBB53_169
; %bb.168:
	scratch_load_dwordx2 v[112:113], v17, off
	ds_read_b64 v[114:115], v1
	s_waitcnt vmcnt(0) lgkmcnt(0)
	v_mul_f64 v[112:113], v[112:113], v[114:115]
	s_cbranch_execz .LBB53_170
	s_branch .LBB53_171
.LBB53_169:
                                        ; implicit-def: $vgpr112_vgpr113
.LBB53_170:
	ds_read_b64 v[112:113], v1
.LBB53_171:
	s_and_saveexec_b64 s[8:9], s[0:1]
	s_cbranch_execz .LBB53_175
; %bb.172:
	v_subrev_u32_e32 v114, 36, v0
	s_movk_i32 s28, 0x2d0
	s_mov_b64 s[0:1], 0
.LBB53_173:                             ; =>This Inner Loop Header: Depth=1
	scratch_load_dwordx2 v[116:117], off, s27
	v_mov_b32_e32 v115, s28
	ds_read_b64 v[118:119], v115
	v_add_u32_e32 v114, -1, v114
	s_add_i32 s28, s28, 8
	s_add_i32 s27, s27, 8
	v_cmp_eq_u32_e32 vcc, 0, v114
	s_or_b64 s[0:1], vcc, s[0:1]
	s_waitcnt vmcnt(0) lgkmcnt(0)
	v_fmac_f64_e32 v[112:113], v[116:117], v[118:119]
	s_andn2_b64 exec, exec, s[0:1]
	s_cbranch_execnz .LBB53_173
; %bb.174:
	s_or_b64 exec, exec, s[0:1]
.LBB53_175:
	s_or_b64 exec, exec, s[8:9]
	v_mov_b32_e32 v114, 0
	ds_read_b64 v[114:115], v114 offset:280
	s_waitcnt lgkmcnt(0)
	v_mul_f64 v[112:113], v[112:113], v[114:115]
	scratch_store_dwordx2 off, v[112:113], off offset:280
.LBB53_176:
	s_or_b64 exec, exec, s[4:5]
	scratch_load_dwordx2 v[112:113], off, off offset:272
	v_cmp_lt_u32_e64 s[0:1], 34, v0
	s_waitcnt vmcnt(0)
	ds_write_b64 v1, v[112:113]
	s_waitcnt lgkmcnt(0)
	; wave barrier
	s_and_saveexec_b64 s[4:5], s[0:1]
	s_cbranch_execz .LBB53_186
; %bb.177:
	s_andn2_b64 vcc, exec, s[6:7]
	s_cbranch_vccnz .LBB53_179
; %bb.178:
	scratch_load_dwordx2 v[112:113], v17, off
	ds_read_b64 v[114:115], v1
	s_waitcnt vmcnt(0) lgkmcnt(0)
	v_mul_f64 v[112:113], v[112:113], v[114:115]
	s_cbranch_execz .LBB53_180
	s_branch .LBB53_181
.LBB53_179:
                                        ; implicit-def: $vgpr112_vgpr113
.LBB53_180:
	ds_read_b64 v[112:113], v1
.LBB53_181:
	s_and_saveexec_b64 s[8:9], s[2:3]
	s_cbranch_execz .LBB53_185
; %bb.182:
	s_movk_i32 s27, 0x118
	v_subrev_u32_e32 v114, 35, v0
	s_movk_i32 s28, 0x2c8
	s_mov_b64 s[2:3], 0
.LBB53_183:                             ; =>This Inner Loop Header: Depth=1
	scratch_load_dwordx2 v[116:117], off, s27
	v_mov_b32_e32 v115, s28
	ds_read_b64 v[118:119], v115
	v_add_u32_e32 v114, -1, v114
	s_add_i32 s28, s28, 8
	s_add_i32 s27, s27, 8
	v_cmp_eq_u32_e32 vcc, 0, v114
	s_or_b64 s[2:3], vcc, s[2:3]
	s_waitcnt vmcnt(0) lgkmcnt(0)
	v_fmac_f64_e32 v[112:113], v[116:117], v[118:119]
	s_andn2_b64 exec, exec, s[2:3]
	s_cbranch_execnz .LBB53_183
; %bb.184:
	s_or_b64 exec, exec, s[2:3]
.LBB53_185:
	s_or_b64 exec, exec, s[8:9]
	v_mov_b32_e32 v114, 0
	ds_read_b64 v[114:115], v114 offset:272
	s_waitcnt lgkmcnt(0)
	v_mul_f64 v[112:113], v[112:113], v[114:115]
	scratch_store_dwordx2 off, v[112:113], off offset:272
.LBB53_186:
	s_or_b64 exec, exec, s[4:5]
	scratch_load_dwordx2 v[112:113], off, off offset:264
	v_cmp_lt_u32_e64 s[2:3], 33, v0
	s_waitcnt vmcnt(0)
	ds_write_b64 v1, v[112:113]
	s_waitcnt lgkmcnt(0)
	; wave barrier
	s_and_saveexec_b64 s[4:5], s[2:3]
	s_cbranch_execz .LBB53_196
; %bb.187:
	s_andn2_b64 vcc, exec, s[6:7]
	s_cbranch_vccnz .LBB53_189
; %bb.188:
	scratch_load_dwordx2 v[112:113], v17, off
	ds_read_b64 v[114:115], v1
	s_waitcnt vmcnt(0) lgkmcnt(0)
	v_mul_f64 v[112:113], v[112:113], v[114:115]
	s_cbranch_execz .LBB53_190
	s_branch .LBB53_191
.LBB53_189:
                                        ; implicit-def: $vgpr112_vgpr113
.LBB53_190:
	ds_read_b64 v[112:113], v1
.LBB53_191:
	s_and_saveexec_b64 s[8:9], s[0:1]
	s_cbranch_execz .LBB53_195
; %bb.192:
	v_subrev_u32_e32 v114, 34, v0
	s_movk_i32 s27, 0x2c0
	s_mov_b64 s[0:1], 0
.LBB53_193:                             ; =>This Inner Loop Header: Depth=1
	scratch_load_dwordx2 v[116:117], off, s26
	v_mov_b32_e32 v115, s27
	ds_read_b64 v[118:119], v115
	v_add_u32_e32 v114, -1, v114
	s_add_i32 s27, s27, 8
	s_add_i32 s26, s26, 8
	v_cmp_eq_u32_e32 vcc, 0, v114
	s_or_b64 s[0:1], vcc, s[0:1]
	s_waitcnt vmcnt(0) lgkmcnt(0)
	v_fmac_f64_e32 v[112:113], v[116:117], v[118:119]
	s_andn2_b64 exec, exec, s[0:1]
	s_cbranch_execnz .LBB53_193
; %bb.194:
	s_or_b64 exec, exec, s[0:1]
.LBB53_195:
	s_or_b64 exec, exec, s[8:9]
	v_mov_b32_e32 v114, 0
	ds_read_b64 v[114:115], v114 offset:264
	s_waitcnt lgkmcnt(0)
	v_mul_f64 v[112:113], v[112:113], v[114:115]
	scratch_store_dwordx2 off, v[112:113], off offset:264
.LBB53_196:
	s_or_b64 exec, exec, s[4:5]
	scratch_load_dwordx2 v[112:113], off, off offset:256
	v_cmp_lt_u32_e64 s[0:1], 32, v0
	s_waitcnt vmcnt(0)
	ds_write_b64 v1, v[112:113]
	s_waitcnt lgkmcnt(0)
	; wave barrier
	s_and_saveexec_b64 s[4:5], s[0:1]
	s_cbranch_execz .LBB53_206
; %bb.197:
	s_andn2_b64 vcc, exec, s[6:7]
	s_cbranch_vccnz .LBB53_199
; %bb.198:
	scratch_load_dwordx2 v[112:113], v17, off
	ds_read_b64 v[114:115], v1
	s_waitcnt vmcnt(0) lgkmcnt(0)
	v_mul_f64 v[112:113], v[112:113], v[114:115]
	s_cbranch_execz .LBB53_200
	s_branch .LBB53_201
.LBB53_199:
                                        ; implicit-def: $vgpr112_vgpr113
.LBB53_200:
	ds_read_b64 v[112:113], v1
.LBB53_201:
	s_and_saveexec_b64 s[8:9], s[2:3]
	s_cbranch_execz .LBB53_205
; %bb.202:
	s_movk_i32 s26, 0x108
	v_subrev_u32_e32 v114, 33, v0
	s_movk_i32 s27, 0x2b8
	s_mov_b64 s[2:3], 0
.LBB53_203:                             ; =>This Inner Loop Header: Depth=1
	scratch_load_dwordx2 v[116:117], off, s26
	v_mov_b32_e32 v115, s27
	ds_read_b64 v[118:119], v115
	v_add_u32_e32 v114, -1, v114
	s_add_i32 s27, s27, 8
	s_add_i32 s26, s26, 8
	v_cmp_eq_u32_e32 vcc, 0, v114
	s_or_b64 s[2:3], vcc, s[2:3]
	s_waitcnt vmcnt(0) lgkmcnt(0)
	v_fmac_f64_e32 v[112:113], v[116:117], v[118:119]
	s_andn2_b64 exec, exec, s[2:3]
	s_cbranch_execnz .LBB53_203
; %bb.204:
	s_or_b64 exec, exec, s[2:3]
.LBB53_205:
	s_or_b64 exec, exec, s[8:9]
	v_mov_b32_e32 v114, 0
	ds_read_b64 v[114:115], v114 offset:256
	s_waitcnt lgkmcnt(0)
	v_mul_f64 v[112:113], v[112:113], v[114:115]
	scratch_store_dwordx2 off, v[112:113], off offset:256
.LBB53_206:
	s_or_b64 exec, exec, s[4:5]
	scratch_load_dwordx2 v[112:113], off, off offset:248
	v_cmp_lt_u32_e64 s[2:3], 31, v0
	s_waitcnt vmcnt(0)
	ds_write_b64 v1, v[112:113]
	s_waitcnt lgkmcnt(0)
	; wave barrier
	s_and_saveexec_b64 s[4:5], s[2:3]
	s_cbranch_execz .LBB53_216
; %bb.207:
	s_andn2_b64 vcc, exec, s[6:7]
	s_cbranch_vccnz .LBB53_209
; %bb.208:
	scratch_load_dwordx2 v[112:113], v17, off
	ds_read_b64 v[114:115], v1
	s_waitcnt vmcnt(0) lgkmcnt(0)
	v_mul_f64 v[112:113], v[112:113], v[114:115]
	s_cbranch_execz .LBB53_210
	s_branch .LBB53_211
.LBB53_209:
                                        ; implicit-def: $vgpr112_vgpr113
.LBB53_210:
	ds_read_b64 v[112:113], v1
.LBB53_211:
	s_and_saveexec_b64 s[8:9], s[0:1]
	s_cbranch_execz .LBB53_215
; %bb.212:
	v_subrev_u32_e32 v114, 32, v0
	s_movk_i32 s26, 0x2b0
	s_mov_b64 s[0:1], 0
.LBB53_213:                             ; =>This Inner Loop Header: Depth=1
	scratch_load_dwordx2 v[116:117], off, s25
	v_mov_b32_e32 v115, s26
	ds_read_b64 v[118:119], v115
	v_add_u32_e32 v114, -1, v114
	s_add_i32 s26, s26, 8
	s_add_i32 s25, s25, 8
	v_cmp_eq_u32_e32 vcc, 0, v114
	s_or_b64 s[0:1], vcc, s[0:1]
	s_waitcnt vmcnt(0) lgkmcnt(0)
	v_fmac_f64_e32 v[112:113], v[116:117], v[118:119]
	s_andn2_b64 exec, exec, s[0:1]
	s_cbranch_execnz .LBB53_213
; %bb.214:
	s_or_b64 exec, exec, s[0:1]
.LBB53_215:
	s_or_b64 exec, exec, s[8:9]
	v_mov_b32_e32 v114, 0
	ds_read_b64 v[114:115], v114 offset:248
	s_waitcnt lgkmcnt(0)
	v_mul_f64 v[112:113], v[112:113], v[114:115]
	scratch_store_dwordx2 off, v[112:113], off offset:248
.LBB53_216:
	s_or_b64 exec, exec, s[4:5]
	scratch_load_dwordx2 v[112:113], off, off offset:240
	v_cmp_lt_u32_e64 s[0:1], 30, v0
	s_waitcnt vmcnt(0)
	ds_write_b64 v1, v[112:113]
	s_waitcnt lgkmcnt(0)
	; wave barrier
	s_and_saveexec_b64 s[4:5], s[0:1]
	s_cbranch_execz .LBB53_226
; %bb.217:
	s_andn2_b64 vcc, exec, s[6:7]
	s_cbranch_vccnz .LBB53_219
; %bb.218:
	scratch_load_dwordx2 v[112:113], v17, off
	ds_read_b64 v[114:115], v1
	s_waitcnt vmcnt(0) lgkmcnt(0)
	v_mul_f64 v[112:113], v[112:113], v[114:115]
	s_cbranch_execz .LBB53_220
	s_branch .LBB53_221
.LBB53_219:
                                        ; implicit-def: $vgpr112_vgpr113
.LBB53_220:
	ds_read_b64 v[112:113], v1
.LBB53_221:
	s_and_saveexec_b64 s[8:9], s[2:3]
	s_cbranch_execz .LBB53_225
; %bb.222:
	s_movk_i32 s25, 0xf8
	v_subrev_u32_e32 v114, 31, v0
	s_movk_i32 s26, 0x2a8
	s_mov_b64 s[2:3], 0
.LBB53_223:                             ; =>This Inner Loop Header: Depth=1
	scratch_load_dwordx2 v[116:117], off, s25
	v_mov_b32_e32 v115, s26
	ds_read_b64 v[118:119], v115
	v_add_u32_e32 v114, -1, v114
	s_add_i32 s26, s26, 8
	s_add_i32 s25, s25, 8
	v_cmp_eq_u32_e32 vcc, 0, v114
	s_or_b64 s[2:3], vcc, s[2:3]
	s_waitcnt vmcnt(0) lgkmcnt(0)
	v_fmac_f64_e32 v[112:113], v[116:117], v[118:119]
	s_andn2_b64 exec, exec, s[2:3]
	s_cbranch_execnz .LBB53_223
; %bb.224:
	s_or_b64 exec, exec, s[2:3]
.LBB53_225:
	s_or_b64 exec, exec, s[8:9]
	v_mov_b32_e32 v114, 0
	ds_read_b64 v[114:115], v114 offset:240
	s_waitcnt lgkmcnt(0)
	v_mul_f64 v[112:113], v[112:113], v[114:115]
	scratch_store_dwordx2 off, v[112:113], off offset:240
.LBB53_226:
	s_or_b64 exec, exec, s[4:5]
	scratch_load_dwordx2 v[112:113], off, off offset:232
	v_cmp_lt_u32_e64 s[2:3], 29, v0
	s_waitcnt vmcnt(0)
	ds_write_b64 v1, v[112:113]
	s_waitcnt lgkmcnt(0)
	; wave barrier
	s_and_saveexec_b64 s[4:5], s[2:3]
	s_cbranch_execz .LBB53_236
; %bb.227:
	s_andn2_b64 vcc, exec, s[6:7]
	s_cbranch_vccnz .LBB53_229
; %bb.228:
	scratch_load_dwordx2 v[112:113], v17, off
	ds_read_b64 v[114:115], v1
	s_waitcnt vmcnt(0) lgkmcnt(0)
	v_mul_f64 v[112:113], v[112:113], v[114:115]
	s_cbranch_execz .LBB53_230
	s_branch .LBB53_231
.LBB53_229:
                                        ; implicit-def: $vgpr112_vgpr113
.LBB53_230:
	ds_read_b64 v[112:113], v1
.LBB53_231:
	s_and_saveexec_b64 s[8:9], s[0:1]
	s_cbranch_execz .LBB53_235
; %bb.232:
	v_subrev_u32_e32 v114, 30, v0
	s_movk_i32 s25, 0x2a0
	s_mov_b64 s[0:1], 0
.LBB53_233:                             ; =>This Inner Loop Header: Depth=1
	scratch_load_dwordx2 v[116:117], off, s24
	v_mov_b32_e32 v115, s25
	ds_read_b64 v[118:119], v115
	v_add_u32_e32 v114, -1, v114
	s_add_i32 s25, s25, 8
	s_add_i32 s24, s24, 8
	v_cmp_eq_u32_e32 vcc, 0, v114
	s_or_b64 s[0:1], vcc, s[0:1]
	s_waitcnt vmcnt(0) lgkmcnt(0)
	v_fmac_f64_e32 v[112:113], v[116:117], v[118:119]
	s_andn2_b64 exec, exec, s[0:1]
	s_cbranch_execnz .LBB53_233
; %bb.234:
	s_or_b64 exec, exec, s[0:1]
.LBB53_235:
	s_or_b64 exec, exec, s[8:9]
	v_mov_b32_e32 v114, 0
	ds_read_b64 v[114:115], v114 offset:232
	s_waitcnt lgkmcnt(0)
	v_mul_f64 v[112:113], v[112:113], v[114:115]
	scratch_store_dwordx2 off, v[112:113], off offset:232
.LBB53_236:
	s_or_b64 exec, exec, s[4:5]
	scratch_load_dwordx2 v[112:113], off, off offset:224
	v_cmp_lt_u32_e64 s[0:1], 28, v0
	s_waitcnt vmcnt(0)
	ds_write_b64 v1, v[112:113]
	s_waitcnt lgkmcnt(0)
	; wave barrier
	s_and_saveexec_b64 s[4:5], s[0:1]
	s_cbranch_execz .LBB53_246
; %bb.237:
	s_andn2_b64 vcc, exec, s[6:7]
	s_cbranch_vccnz .LBB53_239
; %bb.238:
	scratch_load_dwordx2 v[112:113], v17, off
	ds_read_b64 v[114:115], v1
	s_waitcnt vmcnt(0) lgkmcnt(0)
	v_mul_f64 v[112:113], v[112:113], v[114:115]
	s_cbranch_execz .LBB53_240
	s_branch .LBB53_241
.LBB53_239:
                                        ; implicit-def: $vgpr112_vgpr113
.LBB53_240:
	ds_read_b64 v[112:113], v1
.LBB53_241:
	s_and_saveexec_b64 s[8:9], s[2:3]
	s_cbranch_execz .LBB53_245
; %bb.242:
	s_movk_i32 s24, 0xe8
	v_subrev_u32_e32 v114, 29, v0
	s_movk_i32 s25, 0x298
	s_mov_b64 s[2:3], 0
.LBB53_243:                             ; =>This Inner Loop Header: Depth=1
	scratch_load_dwordx2 v[116:117], off, s24
	v_mov_b32_e32 v115, s25
	ds_read_b64 v[118:119], v115
	v_add_u32_e32 v114, -1, v114
	s_add_i32 s25, s25, 8
	s_add_i32 s24, s24, 8
	v_cmp_eq_u32_e32 vcc, 0, v114
	s_or_b64 s[2:3], vcc, s[2:3]
	s_waitcnt vmcnt(0) lgkmcnt(0)
	v_fmac_f64_e32 v[112:113], v[116:117], v[118:119]
	s_andn2_b64 exec, exec, s[2:3]
	s_cbranch_execnz .LBB53_243
; %bb.244:
	s_or_b64 exec, exec, s[2:3]
.LBB53_245:
	s_or_b64 exec, exec, s[8:9]
	v_mov_b32_e32 v114, 0
	ds_read_b64 v[114:115], v114 offset:224
	s_waitcnt lgkmcnt(0)
	v_mul_f64 v[112:113], v[112:113], v[114:115]
	scratch_store_dwordx2 off, v[112:113], off offset:224
.LBB53_246:
	s_or_b64 exec, exec, s[4:5]
	scratch_load_dwordx2 v[112:113], off, off offset:216
	v_cmp_lt_u32_e64 s[2:3], 27, v0
	s_waitcnt vmcnt(0)
	ds_write_b64 v1, v[112:113]
	s_waitcnt lgkmcnt(0)
	; wave barrier
	s_and_saveexec_b64 s[4:5], s[2:3]
	s_cbranch_execz .LBB53_256
; %bb.247:
	s_andn2_b64 vcc, exec, s[6:7]
	s_cbranch_vccnz .LBB53_249
; %bb.248:
	scratch_load_dwordx2 v[112:113], v17, off
	ds_read_b64 v[114:115], v1
	s_waitcnt vmcnt(0) lgkmcnt(0)
	v_mul_f64 v[112:113], v[112:113], v[114:115]
	s_cbranch_execz .LBB53_250
	s_branch .LBB53_251
.LBB53_249:
                                        ; implicit-def: $vgpr112_vgpr113
.LBB53_250:
	ds_read_b64 v[112:113], v1
.LBB53_251:
	s_and_saveexec_b64 s[8:9], s[0:1]
	s_cbranch_execz .LBB53_255
; %bb.252:
	v_subrev_u32_e32 v114, 28, v0
	s_movk_i32 s24, 0x290
	s_mov_b64 s[0:1], 0
.LBB53_253:                             ; =>This Inner Loop Header: Depth=1
	scratch_load_dwordx2 v[116:117], off, s23
	v_mov_b32_e32 v115, s24
	ds_read_b64 v[118:119], v115
	v_add_u32_e32 v114, -1, v114
	s_add_i32 s24, s24, 8
	s_add_i32 s23, s23, 8
	v_cmp_eq_u32_e32 vcc, 0, v114
	s_or_b64 s[0:1], vcc, s[0:1]
	s_waitcnt vmcnt(0) lgkmcnt(0)
	v_fmac_f64_e32 v[112:113], v[116:117], v[118:119]
	s_andn2_b64 exec, exec, s[0:1]
	s_cbranch_execnz .LBB53_253
; %bb.254:
	s_or_b64 exec, exec, s[0:1]
.LBB53_255:
	s_or_b64 exec, exec, s[8:9]
	v_mov_b32_e32 v114, 0
	ds_read_b64 v[114:115], v114 offset:216
	s_waitcnt lgkmcnt(0)
	v_mul_f64 v[112:113], v[112:113], v[114:115]
	scratch_store_dwordx2 off, v[112:113], off offset:216
.LBB53_256:
	s_or_b64 exec, exec, s[4:5]
	scratch_load_dwordx2 v[112:113], off, off offset:208
	v_cmp_lt_u32_e64 s[0:1], 26, v0
	s_waitcnt vmcnt(0)
	ds_write_b64 v1, v[112:113]
	s_waitcnt lgkmcnt(0)
	; wave barrier
	s_and_saveexec_b64 s[4:5], s[0:1]
	s_cbranch_execz .LBB53_266
; %bb.257:
	s_andn2_b64 vcc, exec, s[6:7]
	s_cbranch_vccnz .LBB53_259
; %bb.258:
	scratch_load_dwordx2 v[112:113], v17, off
	ds_read_b64 v[114:115], v1
	s_waitcnt vmcnt(0) lgkmcnt(0)
	v_mul_f64 v[112:113], v[112:113], v[114:115]
	s_cbranch_execz .LBB53_260
	s_branch .LBB53_261
.LBB53_259:
                                        ; implicit-def: $vgpr112_vgpr113
.LBB53_260:
	ds_read_b64 v[112:113], v1
.LBB53_261:
	s_and_saveexec_b64 s[8:9], s[2:3]
	s_cbranch_execz .LBB53_265
; %bb.262:
	s_movk_i32 s23, 0xd8
	v_subrev_u32_e32 v114, 27, v0
	s_movk_i32 s24, 0x288
	s_mov_b64 s[2:3], 0
.LBB53_263:                             ; =>This Inner Loop Header: Depth=1
	scratch_load_dwordx2 v[116:117], off, s23
	v_mov_b32_e32 v115, s24
	ds_read_b64 v[118:119], v115
	v_add_u32_e32 v114, -1, v114
	s_add_i32 s24, s24, 8
	s_add_i32 s23, s23, 8
	v_cmp_eq_u32_e32 vcc, 0, v114
	s_or_b64 s[2:3], vcc, s[2:3]
	s_waitcnt vmcnt(0) lgkmcnt(0)
	v_fmac_f64_e32 v[112:113], v[116:117], v[118:119]
	s_andn2_b64 exec, exec, s[2:3]
	s_cbranch_execnz .LBB53_263
; %bb.264:
	s_or_b64 exec, exec, s[2:3]
.LBB53_265:
	s_or_b64 exec, exec, s[8:9]
	v_mov_b32_e32 v114, 0
	ds_read_b64 v[114:115], v114 offset:208
	s_waitcnt lgkmcnt(0)
	v_mul_f64 v[112:113], v[112:113], v[114:115]
	scratch_store_dwordx2 off, v[112:113], off offset:208
.LBB53_266:
	s_or_b64 exec, exec, s[4:5]
	scratch_load_dwordx2 v[112:113], off, off offset:200
	v_cmp_lt_u32_e64 s[2:3], 25, v0
	s_waitcnt vmcnt(0)
	ds_write_b64 v1, v[112:113]
	s_waitcnt lgkmcnt(0)
	; wave barrier
	s_and_saveexec_b64 s[4:5], s[2:3]
	s_cbranch_execz .LBB53_276
; %bb.267:
	s_andn2_b64 vcc, exec, s[6:7]
	s_cbranch_vccnz .LBB53_269
; %bb.268:
	scratch_load_dwordx2 v[112:113], v17, off
	ds_read_b64 v[114:115], v1
	s_waitcnt vmcnt(0) lgkmcnt(0)
	v_mul_f64 v[112:113], v[112:113], v[114:115]
	s_cbranch_execz .LBB53_270
	s_branch .LBB53_271
.LBB53_269:
                                        ; implicit-def: $vgpr112_vgpr113
.LBB53_270:
	ds_read_b64 v[112:113], v1
.LBB53_271:
	s_and_saveexec_b64 s[8:9], s[0:1]
	s_cbranch_execz .LBB53_275
; %bb.272:
	v_subrev_u32_e32 v114, 26, v0
	s_movk_i32 s23, 0x280
	s_mov_b64 s[0:1], 0
.LBB53_273:                             ; =>This Inner Loop Header: Depth=1
	scratch_load_dwordx2 v[116:117], off, s22
	v_mov_b32_e32 v115, s23
	ds_read_b64 v[118:119], v115
	v_add_u32_e32 v114, -1, v114
	s_add_i32 s23, s23, 8
	s_add_i32 s22, s22, 8
	v_cmp_eq_u32_e32 vcc, 0, v114
	s_or_b64 s[0:1], vcc, s[0:1]
	s_waitcnt vmcnt(0) lgkmcnt(0)
	v_fmac_f64_e32 v[112:113], v[116:117], v[118:119]
	s_andn2_b64 exec, exec, s[0:1]
	s_cbranch_execnz .LBB53_273
; %bb.274:
	s_or_b64 exec, exec, s[0:1]
.LBB53_275:
	s_or_b64 exec, exec, s[8:9]
	v_mov_b32_e32 v114, 0
	ds_read_b64 v[114:115], v114 offset:200
	s_waitcnt lgkmcnt(0)
	v_mul_f64 v[112:113], v[112:113], v[114:115]
	scratch_store_dwordx2 off, v[112:113], off offset:200
.LBB53_276:
	s_or_b64 exec, exec, s[4:5]
	scratch_load_dwordx2 v[112:113], off, off offset:192
	v_cmp_lt_u32_e64 s[0:1], 24, v0
	s_waitcnt vmcnt(0)
	ds_write_b64 v1, v[112:113]
	s_waitcnt lgkmcnt(0)
	; wave barrier
	s_and_saveexec_b64 s[4:5], s[0:1]
	s_cbranch_execz .LBB53_286
; %bb.277:
	s_andn2_b64 vcc, exec, s[6:7]
	s_cbranch_vccnz .LBB53_279
; %bb.278:
	scratch_load_dwordx2 v[112:113], v17, off
	ds_read_b64 v[114:115], v1
	s_waitcnt vmcnt(0) lgkmcnt(0)
	v_mul_f64 v[112:113], v[112:113], v[114:115]
	s_cbranch_execz .LBB53_280
	s_branch .LBB53_281
.LBB53_279:
                                        ; implicit-def: $vgpr112_vgpr113
.LBB53_280:
	ds_read_b64 v[112:113], v1
.LBB53_281:
	s_and_saveexec_b64 s[8:9], s[2:3]
	s_cbranch_execz .LBB53_285
; %bb.282:
	s_movk_i32 s22, 0xc8
	v_subrev_u32_e32 v114, 25, v0
	s_movk_i32 s23, 0x278
	s_mov_b64 s[2:3], 0
.LBB53_283:                             ; =>This Inner Loop Header: Depth=1
	scratch_load_dwordx2 v[116:117], off, s22
	v_mov_b32_e32 v115, s23
	ds_read_b64 v[118:119], v115
	v_add_u32_e32 v114, -1, v114
	s_add_i32 s23, s23, 8
	s_add_i32 s22, s22, 8
	v_cmp_eq_u32_e32 vcc, 0, v114
	s_or_b64 s[2:3], vcc, s[2:3]
	s_waitcnt vmcnt(0) lgkmcnt(0)
	v_fmac_f64_e32 v[112:113], v[116:117], v[118:119]
	s_andn2_b64 exec, exec, s[2:3]
	s_cbranch_execnz .LBB53_283
; %bb.284:
	s_or_b64 exec, exec, s[2:3]
.LBB53_285:
	s_or_b64 exec, exec, s[8:9]
	v_mov_b32_e32 v114, 0
	ds_read_b64 v[114:115], v114 offset:192
	s_waitcnt lgkmcnt(0)
	v_mul_f64 v[112:113], v[112:113], v[114:115]
	scratch_store_dwordx2 off, v[112:113], off offset:192
.LBB53_286:
	s_or_b64 exec, exec, s[4:5]
	scratch_load_dwordx2 v[112:113], off, off offset:184
	v_cmp_lt_u32_e64 s[2:3], 23, v0
	s_waitcnt vmcnt(0)
	ds_write_b64 v1, v[112:113]
	s_waitcnt lgkmcnt(0)
	; wave barrier
	s_and_saveexec_b64 s[4:5], s[2:3]
	s_cbranch_execz .LBB53_296
; %bb.287:
	s_andn2_b64 vcc, exec, s[6:7]
	s_cbranch_vccnz .LBB53_289
; %bb.288:
	scratch_load_dwordx2 v[112:113], v17, off
	ds_read_b64 v[114:115], v1
	s_waitcnt vmcnt(0) lgkmcnt(0)
	v_mul_f64 v[112:113], v[112:113], v[114:115]
	s_cbranch_execz .LBB53_290
	s_branch .LBB53_291
.LBB53_289:
                                        ; implicit-def: $vgpr112_vgpr113
.LBB53_290:
	ds_read_b64 v[112:113], v1
.LBB53_291:
	s_and_saveexec_b64 s[8:9], s[0:1]
	s_cbranch_execz .LBB53_295
; %bb.292:
	v_subrev_u32_e32 v114, 24, v0
	s_movk_i32 s22, 0x270
	s_mov_b64 s[0:1], 0
.LBB53_293:                             ; =>This Inner Loop Header: Depth=1
	scratch_load_dwordx2 v[116:117], off, s21
	v_mov_b32_e32 v115, s22
	ds_read_b64 v[118:119], v115
	v_add_u32_e32 v114, -1, v114
	s_add_i32 s22, s22, 8
	s_add_i32 s21, s21, 8
	v_cmp_eq_u32_e32 vcc, 0, v114
	s_or_b64 s[0:1], vcc, s[0:1]
	s_waitcnt vmcnt(0) lgkmcnt(0)
	v_fmac_f64_e32 v[112:113], v[116:117], v[118:119]
	s_andn2_b64 exec, exec, s[0:1]
	s_cbranch_execnz .LBB53_293
; %bb.294:
	s_or_b64 exec, exec, s[0:1]
.LBB53_295:
	s_or_b64 exec, exec, s[8:9]
	v_mov_b32_e32 v114, 0
	ds_read_b64 v[114:115], v114 offset:184
	s_waitcnt lgkmcnt(0)
	v_mul_f64 v[112:113], v[112:113], v[114:115]
	scratch_store_dwordx2 off, v[112:113], off offset:184
.LBB53_296:
	s_or_b64 exec, exec, s[4:5]
	scratch_load_dwordx2 v[112:113], off, off offset:176
	v_cmp_lt_u32_e64 s[0:1], 22, v0
	s_waitcnt vmcnt(0)
	ds_write_b64 v1, v[112:113]
	s_waitcnt lgkmcnt(0)
	; wave barrier
	s_and_saveexec_b64 s[4:5], s[0:1]
	s_cbranch_execz .LBB53_306
; %bb.297:
	s_andn2_b64 vcc, exec, s[6:7]
	s_cbranch_vccnz .LBB53_299
; %bb.298:
	scratch_load_dwordx2 v[112:113], v17, off
	ds_read_b64 v[114:115], v1
	s_waitcnt vmcnt(0) lgkmcnt(0)
	v_mul_f64 v[112:113], v[112:113], v[114:115]
	s_cbranch_execz .LBB53_300
	s_branch .LBB53_301
.LBB53_299:
                                        ; implicit-def: $vgpr112_vgpr113
.LBB53_300:
	ds_read_b64 v[112:113], v1
.LBB53_301:
	s_and_saveexec_b64 s[8:9], s[2:3]
	s_cbranch_execz .LBB53_305
; %bb.302:
	s_movk_i32 s21, 0xb8
	v_subrev_u32_e32 v114, 23, v0
	s_movk_i32 s22, 0x268
	s_mov_b64 s[2:3], 0
.LBB53_303:                             ; =>This Inner Loop Header: Depth=1
	scratch_load_dwordx2 v[116:117], off, s21
	v_mov_b32_e32 v115, s22
	ds_read_b64 v[118:119], v115
	v_add_u32_e32 v114, -1, v114
	s_add_i32 s22, s22, 8
	s_add_i32 s21, s21, 8
	v_cmp_eq_u32_e32 vcc, 0, v114
	s_or_b64 s[2:3], vcc, s[2:3]
	s_waitcnt vmcnt(0) lgkmcnt(0)
	v_fmac_f64_e32 v[112:113], v[116:117], v[118:119]
	s_andn2_b64 exec, exec, s[2:3]
	s_cbranch_execnz .LBB53_303
; %bb.304:
	s_or_b64 exec, exec, s[2:3]
.LBB53_305:
	s_or_b64 exec, exec, s[8:9]
	v_mov_b32_e32 v114, 0
	ds_read_b64 v[114:115], v114 offset:176
	s_waitcnt lgkmcnt(0)
	v_mul_f64 v[112:113], v[112:113], v[114:115]
	scratch_store_dwordx2 off, v[112:113], off offset:176
.LBB53_306:
	s_or_b64 exec, exec, s[4:5]
	scratch_load_dwordx2 v[112:113], off, off offset:168
	v_cmp_lt_u32_e64 s[2:3], 21, v0
	s_waitcnt vmcnt(0)
	ds_write_b64 v1, v[112:113]
	s_waitcnt lgkmcnt(0)
	; wave barrier
	s_and_saveexec_b64 s[4:5], s[2:3]
	s_cbranch_execz .LBB53_316
; %bb.307:
	s_andn2_b64 vcc, exec, s[6:7]
	s_cbranch_vccnz .LBB53_309
; %bb.308:
	scratch_load_dwordx2 v[112:113], v17, off
	ds_read_b64 v[114:115], v1
	s_waitcnt vmcnt(0) lgkmcnt(0)
	v_mul_f64 v[112:113], v[112:113], v[114:115]
	s_cbranch_execz .LBB53_310
	s_branch .LBB53_311
.LBB53_309:
                                        ; implicit-def: $vgpr112_vgpr113
.LBB53_310:
	ds_read_b64 v[112:113], v1
.LBB53_311:
	s_and_saveexec_b64 s[8:9], s[0:1]
	s_cbranch_execz .LBB53_315
; %bb.312:
	v_subrev_u32_e32 v114, 22, v0
	s_movk_i32 s21, 0x260
	s_mov_b64 s[0:1], 0
.LBB53_313:                             ; =>This Inner Loop Header: Depth=1
	scratch_load_dwordx2 v[116:117], off, s20
	v_mov_b32_e32 v115, s21
	ds_read_b64 v[118:119], v115
	v_add_u32_e32 v114, -1, v114
	s_add_i32 s21, s21, 8
	s_add_i32 s20, s20, 8
	v_cmp_eq_u32_e32 vcc, 0, v114
	s_or_b64 s[0:1], vcc, s[0:1]
	s_waitcnt vmcnt(0) lgkmcnt(0)
	v_fmac_f64_e32 v[112:113], v[116:117], v[118:119]
	s_andn2_b64 exec, exec, s[0:1]
	s_cbranch_execnz .LBB53_313
; %bb.314:
	s_or_b64 exec, exec, s[0:1]
.LBB53_315:
	s_or_b64 exec, exec, s[8:9]
	v_mov_b32_e32 v114, 0
	ds_read_b64 v[114:115], v114 offset:168
	s_waitcnt lgkmcnt(0)
	v_mul_f64 v[112:113], v[112:113], v[114:115]
	scratch_store_dwordx2 off, v[112:113], off offset:168
.LBB53_316:
	s_or_b64 exec, exec, s[4:5]
	scratch_load_dwordx2 v[112:113], off, off offset:160
	v_cmp_lt_u32_e64 s[0:1], 20, v0
	s_waitcnt vmcnt(0)
	ds_write_b64 v1, v[112:113]
	s_waitcnt lgkmcnt(0)
	; wave barrier
	s_and_saveexec_b64 s[4:5], s[0:1]
	s_cbranch_execz .LBB53_326
; %bb.317:
	s_andn2_b64 vcc, exec, s[6:7]
	s_cbranch_vccnz .LBB53_319
; %bb.318:
	scratch_load_dwordx2 v[112:113], v17, off
	ds_read_b64 v[114:115], v1
	s_waitcnt vmcnt(0) lgkmcnt(0)
	v_mul_f64 v[112:113], v[112:113], v[114:115]
	s_cbranch_execz .LBB53_320
	s_branch .LBB53_321
.LBB53_319:
                                        ; implicit-def: $vgpr112_vgpr113
.LBB53_320:
	ds_read_b64 v[112:113], v1
.LBB53_321:
	s_and_saveexec_b64 s[8:9], s[2:3]
	s_cbranch_execz .LBB53_325
; %bb.322:
	s_movk_i32 s20, 0xa8
	v_subrev_u32_e32 v114, 21, v0
	s_movk_i32 s21, 0x258
	s_mov_b64 s[2:3], 0
.LBB53_323:                             ; =>This Inner Loop Header: Depth=1
	scratch_load_dwordx2 v[116:117], off, s20
	v_mov_b32_e32 v115, s21
	ds_read_b64 v[118:119], v115
	v_add_u32_e32 v114, -1, v114
	s_add_i32 s21, s21, 8
	s_add_i32 s20, s20, 8
	v_cmp_eq_u32_e32 vcc, 0, v114
	s_or_b64 s[2:3], vcc, s[2:3]
	s_waitcnt vmcnt(0) lgkmcnt(0)
	v_fmac_f64_e32 v[112:113], v[116:117], v[118:119]
	s_andn2_b64 exec, exec, s[2:3]
	s_cbranch_execnz .LBB53_323
; %bb.324:
	s_or_b64 exec, exec, s[2:3]
.LBB53_325:
	s_or_b64 exec, exec, s[8:9]
	v_mov_b32_e32 v114, 0
	ds_read_b64 v[114:115], v114 offset:160
	s_waitcnt lgkmcnt(0)
	v_mul_f64 v[112:113], v[112:113], v[114:115]
	scratch_store_dwordx2 off, v[112:113], off offset:160
.LBB53_326:
	s_or_b64 exec, exec, s[4:5]
	scratch_load_dwordx2 v[112:113], off, off offset:152
	v_cmp_lt_u32_e64 s[2:3], 19, v0
	s_waitcnt vmcnt(0)
	ds_write_b64 v1, v[112:113]
	s_waitcnt lgkmcnt(0)
	; wave barrier
	s_and_saveexec_b64 s[4:5], s[2:3]
	s_cbranch_execz .LBB53_336
; %bb.327:
	s_andn2_b64 vcc, exec, s[6:7]
	s_cbranch_vccnz .LBB53_329
; %bb.328:
	scratch_load_dwordx2 v[112:113], v17, off
	ds_read_b64 v[114:115], v1
	s_waitcnt vmcnt(0) lgkmcnt(0)
	v_mul_f64 v[112:113], v[112:113], v[114:115]
	s_cbranch_execz .LBB53_330
	s_branch .LBB53_331
.LBB53_329:
                                        ; implicit-def: $vgpr112_vgpr113
.LBB53_330:
	ds_read_b64 v[112:113], v1
.LBB53_331:
	s_and_saveexec_b64 s[8:9], s[0:1]
	s_cbranch_execz .LBB53_335
; %bb.332:
	v_subrev_u32_e32 v114, 20, v0
	s_movk_i32 s20, 0x250
	s_mov_b64 s[0:1], 0
.LBB53_333:                             ; =>This Inner Loop Header: Depth=1
	scratch_load_dwordx2 v[116:117], off, s19
	v_mov_b32_e32 v115, s20
	ds_read_b64 v[118:119], v115
	v_add_u32_e32 v114, -1, v114
	s_add_i32 s20, s20, 8
	s_add_i32 s19, s19, 8
	v_cmp_eq_u32_e32 vcc, 0, v114
	s_or_b64 s[0:1], vcc, s[0:1]
	s_waitcnt vmcnt(0) lgkmcnt(0)
	v_fmac_f64_e32 v[112:113], v[116:117], v[118:119]
	s_andn2_b64 exec, exec, s[0:1]
	s_cbranch_execnz .LBB53_333
; %bb.334:
	s_or_b64 exec, exec, s[0:1]
.LBB53_335:
	s_or_b64 exec, exec, s[8:9]
	v_mov_b32_e32 v114, 0
	ds_read_b64 v[114:115], v114 offset:152
	s_waitcnt lgkmcnt(0)
	v_mul_f64 v[112:113], v[112:113], v[114:115]
	scratch_store_dwordx2 off, v[112:113], off offset:152
.LBB53_336:
	s_or_b64 exec, exec, s[4:5]
	scratch_load_dwordx2 v[112:113], off, off offset:144
	v_cmp_lt_u32_e64 s[0:1], 18, v0
	s_waitcnt vmcnt(0)
	ds_write_b64 v1, v[112:113]
	s_waitcnt lgkmcnt(0)
	; wave barrier
	s_and_saveexec_b64 s[4:5], s[0:1]
	s_cbranch_execz .LBB53_346
; %bb.337:
	s_andn2_b64 vcc, exec, s[6:7]
	s_cbranch_vccnz .LBB53_339
; %bb.338:
	scratch_load_dwordx2 v[112:113], v17, off
	ds_read_b64 v[114:115], v1
	s_waitcnt vmcnt(0) lgkmcnt(0)
	v_mul_f64 v[112:113], v[112:113], v[114:115]
	s_cbranch_execz .LBB53_340
	s_branch .LBB53_341
.LBB53_339:
                                        ; implicit-def: $vgpr112_vgpr113
.LBB53_340:
	ds_read_b64 v[112:113], v1
.LBB53_341:
	s_and_saveexec_b64 s[8:9], s[2:3]
	s_cbranch_execz .LBB53_345
; %bb.342:
	s_movk_i32 s19, 0x98
	v_subrev_u32_e32 v114, 19, v0
	s_movk_i32 s20, 0x248
	s_mov_b64 s[2:3], 0
.LBB53_343:                             ; =>This Inner Loop Header: Depth=1
	scratch_load_dwordx2 v[116:117], off, s19
	v_mov_b32_e32 v115, s20
	ds_read_b64 v[118:119], v115
	v_add_u32_e32 v114, -1, v114
	s_add_i32 s20, s20, 8
	s_add_i32 s19, s19, 8
	v_cmp_eq_u32_e32 vcc, 0, v114
	s_or_b64 s[2:3], vcc, s[2:3]
	s_waitcnt vmcnt(0) lgkmcnt(0)
	v_fmac_f64_e32 v[112:113], v[116:117], v[118:119]
	s_andn2_b64 exec, exec, s[2:3]
	s_cbranch_execnz .LBB53_343
; %bb.344:
	s_or_b64 exec, exec, s[2:3]
.LBB53_345:
	s_or_b64 exec, exec, s[8:9]
	v_mov_b32_e32 v114, 0
	ds_read_b64 v[114:115], v114 offset:144
	s_waitcnt lgkmcnt(0)
	v_mul_f64 v[112:113], v[112:113], v[114:115]
	scratch_store_dwordx2 off, v[112:113], off offset:144
.LBB53_346:
	s_or_b64 exec, exec, s[4:5]
	scratch_load_dwordx2 v[112:113], off, off offset:136
	v_cmp_lt_u32_e64 s[2:3], 17, v0
	s_waitcnt vmcnt(0)
	ds_write_b64 v1, v[112:113]
	s_waitcnt lgkmcnt(0)
	; wave barrier
	s_and_saveexec_b64 s[4:5], s[2:3]
	s_cbranch_execz .LBB53_356
; %bb.347:
	s_andn2_b64 vcc, exec, s[6:7]
	s_cbranch_vccnz .LBB53_349
; %bb.348:
	scratch_load_dwordx2 v[112:113], v17, off
	ds_read_b64 v[114:115], v1
	s_waitcnt vmcnt(0) lgkmcnt(0)
	v_mul_f64 v[112:113], v[112:113], v[114:115]
	s_cbranch_execz .LBB53_350
	s_branch .LBB53_351
.LBB53_349:
                                        ; implicit-def: $vgpr112_vgpr113
.LBB53_350:
	ds_read_b64 v[112:113], v1
.LBB53_351:
	s_and_saveexec_b64 s[8:9], s[0:1]
	s_cbranch_execz .LBB53_355
; %bb.352:
	v_subrev_u32_e32 v114, 18, v0
	s_movk_i32 s19, 0x240
	s_mov_b64 s[0:1], 0
.LBB53_353:                             ; =>This Inner Loop Header: Depth=1
	scratch_load_dwordx2 v[116:117], off, s18
	v_mov_b32_e32 v115, s19
	ds_read_b64 v[118:119], v115
	v_add_u32_e32 v114, -1, v114
	s_add_i32 s19, s19, 8
	s_add_i32 s18, s18, 8
	v_cmp_eq_u32_e32 vcc, 0, v114
	s_or_b64 s[0:1], vcc, s[0:1]
	s_waitcnt vmcnt(0) lgkmcnt(0)
	v_fmac_f64_e32 v[112:113], v[116:117], v[118:119]
	s_andn2_b64 exec, exec, s[0:1]
	s_cbranch_execnz .LBB53_353
; %bb.354:
	s_or_b64 exec, exec, s[0:1]
.LBB53_355:
	s_or_b64 exec, exec, s[8:9]
	v_mov_b32_e32 v114, 0
	ds_read_b64 v[114:115], v114 offset:136
	s_waitcnt lgkmcnt(0)
	v_mul_f64 v[112:113], v[112:113], v[114:115]
	scratch_store_dwordx2 off, v[112:113], off offset:136
.LBB53_356:
	s_or_b64 exec, exec, s[4:5]
	scratch_load_dwordx2 v[112:113], off, off offset:128
	v_cmp_lt_u32_e64 s[0:1], 16, v0
	s_waitcnt vmcnt(0)
	ds_write_b64 v1, v[112:113]
	s_waitcnt lgkmcnt(0)
	; wave barrier
	s_and_saveexec_b64 s[4:5], s[0:1]
	s_cbranch_execz .LBB53_366
; %bb.357:
	s_andn2_b64 vcc, exec, s[6:7]
	s_cbranch_vccnz .LBB53_359
; %bb.358:
	scratch_load_dwordx2 v[112:113], v17, off
	ds_read_b64 v[114:115], v1
	s_waitcnt vmcnt(0) lgkmcnt(0)
	v_mul_f64 v[112:113], v[112:113], v[114:115]
	s_cbranch_execz .LBB53_360
	s_branch .LBB53_361
.LBB53_359:
                                        ; implicit-def: $vgpr112_vgpr113
.LBB53_360:
	ds_read_b64 v[112:113], v1
.LBB53_361:
	s_and_saveexec_b64 s[8:9], s[2:3]
	s_cbranch_execz .LBB53_365
; %bb.362:
	s_movk_i32 s18, 0x88
	v_subrev_u32_e32 v114, 17, v0
	s_movk_i32 s19, 0x238
	s_mov_b64 s[2:3], 0
.LBB53_363:                             ; =>This Inner Loop Header: Depth=1
	scratch_load_dwordx2 v[116:117], off, s18
	v_mov_b32_e32 v115, s19
	ds_read_b64 v[118:119], v115
	v_add_u32_e32 v114, -1, v114
	s_add_i32 s19, s19, 8
	s_add_i32 s18, s18, 8
	v_cmp_eq_u32_e32 vcc, 0, v114
	s_or_b64 s[2:3], vcc, s[2:3]
	s_waitcnt vmcnt(0) lgkmcnt(0)
	v_fmac_f64_e32 v[112:113], v[116:117], v[118:119]
	s_andn2_b64 exec, exec, s[2:3]
	s_cbranch_execnz .LBB53_363
; %bb.364:
	s_or_b64 exec, exec, s[2:3]
.LBB53_365:
	s_or_b64 exec, exec, s[8:9]
	v_mov_b32_e32 v114, 0
	ds_read_b64 v[114:115], v114 offset:128
	s_waitcnt lgkmcnt(0)
	v_mul_f64 v[112:113], v[112:113], v[114:115]
	scratch_store_dwordx2 off, v[112:113], off offset:128
.LBB53_366:
	s_or_b64 exec, exec, s[4:5]
	scratch_load_dwordx2 v[112:113], off, off offset:120
	v_cmp_lt_u32_e64 s[2:3], 15, v0
	s_waitcnt vmcnt(0)
	ds_write_b64 v1, v[112:113]
	s_waitcnt lgkmcnt(0)
	; wave barrier
	s_and_saveexec_b64 s[4:5], s[2:3]
	s_cbranch_execz .LBB53_376
; %bb.367:
	s_andn2_b64 vcc, exec, s[6:7]
	s_cbranch_vccnz .LBB53_369
; %bb.368:
	scratch_load_dwordx2 v[112:113], v17, off
	ds_read_b64 v[114:115], v1
	s_waitcnt vmcnt(0) lgkmcnt(0)
	v_mul_f64 v[112:113], v[112:113], v[114:115]
	s_cbranch_execz .LBB53_370
	s_branch .LBB53_371
.LBB53_369:
                                        ; implicit-def: $vgpr112_vgpr113
.LBB53_370:
	ds_read_b64 v[112:113], v1
.LBB53_371:
	s_and_saveexec_b64 s[8:9], s[0:1]
	s_cbranch_execz .LBB53_375
; %bb.372:
	v_add_u32_e32 v114, -16, v0
	s_movk_i32 s18, 0x230
	s_mov_b64 s[0:1], 0
.LBB53_373:                             ; =>This Inner Loop Header: Depth=1
	scratch_load_dwordx2 v[116:117], off, s17
	v_mov_b32_e32 v115, s18
	ds_read_b64 v[118:119], v115
	v_add_u32_e32 v114, -1, v114
	s_add_i32 s18, s18, 8
	s_add_i32 s17, s17, 8
	v_cmp_eq_u32_e32 vcc, 0, v114
	s_or_b64 s[0:1], vcc, s[0:1]
	s_waitcnt vmcnt(0) lgkmcnt(0)
	v_fmac_f64_e32 v[112:113], v[116:117], v[118:119]
	s_andn2_b64 exec, exec, s[0:1]
	s_cbranch_execnz .LBB53_373
; %bb.374:
	s_or_b64 exec, exec, s[0:1]
.LBB53_375:
	s_or_b64 exec, exec, s[8:9]
	v_mov_b32_e32 v114, 0
	ds_read_b64 v[114:115], v114 offset:120
	s_waitcnt lgkmcnt(0)
	v_mul_f64 v[112:113], v[112:113], v[114:115]
	scratch_store_dwordx2 off, v[112:113], off offset:120
.LBB53_376:
	s_or_b64 exec, exec, s[4:5]
	scratch_load_dwordx2 v[112:113], off, off offset:112
	v_cmp_lt_u32_e64 s[0:1], 14, v0
	s_waitcnt vmcnt(0)
	ds_write_b64 v1, v[112:113]
	s_waitcnt lgkmcnt(0)
	; wave barrier
	s_and_saveexec_b64 s[4:5], s[0:1]
	s_cbranch_execz .LBB53_386
; %bb.377:
	s_andn2_b64 vcc, exec, s[6:7]
	s_cbranch_vccnz .LBB53_379
; %bb.378:
	scratch_load_dwordx2 v[112:113], v17, off
	ds_read_b64 v[114:115], v1
	s_waitcnt vmcnt(0) lgkmcnt(0)
	v_mul_f64 v[112:113], v[112:113], v[114:115]
	s_cbranch_execz .LBB53_380
	s_branch .LBB53_381
.LBB53_379:
                                        ; implicit-def: $vgpr112_vgpr113
.LBB53_380:
	ds_read_b64 v[112:113], v1
.LBB53_381:
	s_and_saveexec_b64 s[8:9], s[2:3]
	s_cbranch_execz .LBB53_385
; %bb.382:
	s_movk_i32 s17, 0x78
	v_add_u32_e32 v114, -15, v0
	s_movk_i32 s18, 0x228
	s_mov_b64 s[2:3], 0
.LBB53_383:                             ; =>This Inner Loop Header: Depth=1
	scratch_load_dwordx2 v[116:117], off, s17
	v_mov_b32_e32 v115, s18
	ds_read_b64 v[118:119], v115
	v_add_u32_e32 v114, -1, v114
	s_add_i32 s18, s18, 8
	s_add_i32 s17, s17, 8
	v_cmp_eq_u32_e32 vcc, 0, v114
	s_or_b64 s[2:3], vcc, s[2:3]
	s_waitcnt vmcnt(0) lgkmcnt(0)
	v_fmac_f64_e32 v[112:113], v[116:117], v[118:119]
	s_andn2_b64 exec, exec, s[2:3]
	s_cbranch_execnz .LBB53_383
; %bb.384:
	s_or_b64 exec, exec, s[2:3]
.LBB53_385:
	s_or_b64 exec, exec, s[8:9]
	v_mov_b32_e32 v114, 0
	ds_read_b64 v[114:115], v114 offset:112
	s_waitcnt lgkmcnt(0)
	v_mul_f64 v[112:113], v[112:113], v[114:115]
	scratch_store_dwordx2 off, v[112:113], off offset:112
.LBB53_386:
	s_or_b64 exec, exec, s[4:5]
	scratch_load_dwordx2 v[112:113], off, off offset:104
	v_cmp_lt_u32_e64 s[2:3], 13, v0
	s_waitcnt vmcnt(0)
	ds_write_b64 v1, v[112:113]
	s_waitcnt lgkmcnt(0)
	; wave barrier
	s_and_saveexec_b64 s[4:5], s[2:3]
	s_cbranch_execz .LBB53_396
; %bb.387:
	s_andn2_b64 vcc, exec, s[6:7]
	s_cbranch_vccnz .LBB53_389
; %bb.388:
	scratch_load_dwordx2 v[112:113], v17, off
	ds_read_b64 v[114:115], v1
	s_waitcnt vmcnt(0) lgkmcnt(0)
	v_mul_f64 v[112:113], v[112:113], v[114:115]
	s_cbranch_execz .LBB53_390
	s_branch .LBB53_391
.LBB53_389:
                                        ; implicit-def: $vgpr112_vgpr113
.LBB53_390:
	ds_read_b64 v[112:113], v1
.LBB53_391:
	s_and_saveexec_b64 s[8:9], s[0:1]
	s_cbranch_execz .LBB53_395
; %bb.392:
	v_add_u32_e32 v114, -14, v0
	s_movk_i32 s17, 0x220
	s_mov_b64 s[0:1], 0
.LBB53_393:                             ; =>This Inner Loop Header: Depth=1
	scratch_load_dwordx2 v[116:117], off, s16
	v_mov_b32_e32 v115, s17
	ds_read_b64 v[118:119], v115
	v_add_u32_e32 v114, -1, v114
	s_add_i32 s17, s17, 8
	s_add_i32 s16, s16, 8
	v_cmp_eq_u32_e32 vcc, 0, v114
	s_or_b64 s[0:1], vcc, s[0:1]
	s_waitcnt vmcnt(0) lgkmcnt(0)
	v_fmac_f64_e32 v[112:113], v[116:117], v[118:119]
	s_andn2_b64 exec, exec, s[0:1]
	s_cbranch_execnz .LBB53_393
; %bb.394:
	s_or_b64 exec, exec, s[0:1]
.LBB53_395:
	s_or_b64 exec, exec, s[8:9]
	v_mov_b32_e32 v114, 0
	ds_read_b64 v[114:115], v114 offset:104
	s_waitcnt lgkmcnt(0)
	v_mul_f64 v[112:113], v[112:113], v[114:115]
	scratch_store_dwordx2 off, v[112:113], off offset:104
.LBB53_396:
	s_or_b64 exec, exec, s[4:5]
	scratch_load_dwordx2 v[112:113], off, off offset:96
	v_cmp_lt_u32_e64 s[0:1], 12, v0
	s_waitcnt vmcnt(0)
	ds_write_b64 v1, v[112:113]
	s_waitcnt lgkmcnt(0)
	; wave barrier
	s_and_saveexec_b64 s[4:5], s[0:1]
	s_cbranch_execz .LBB53_406
; %bb.397:
	s_andn2_b64 vcc, exec, s[6:7]
	s_cbranch_vccnz .LBB53_399
; %bb.398:
	scratch_load_dwordx2 v[112:113], v17, off
	ds_read_b64 v[114:115], v1
	s_waitcnt vmcnt(0) lgkmcnt(0)
	v_mul_f64 v[112:113], v[112:113], v[114:115]
	s_cbranch_execz .LBB53_400
	s_branch .LBB53_401
.LBB53_399:
                                        ; implicit-def: $vgpr112_vgpr113
.LBB53_400:
	ds_read_b64 v[112:113], v1
.LBB53_401:
	s_and_saveexec_b64 s[8:9], s[2:3]
	s_cbranch_execz .LBB53_405
; %bb.402:
	s_movk_i32 s16, 0x68
	v_add_u32_e32 v114, -13, v0
	s_movk_i32 s17, 0x218
	s_mov_b64 s[2:3], 0
.LBB53_403:                             ; =>This Inner Loop Header: Depth=1
	scratch_load_dwordx2 v[116:117], off, s16
	v_mov_b32_e32 v115, s17
	ds_read_b64 v[118:119], v115
	v_add_u32_e32 v114, -1, v114
	s_add_i32 s17, s17, 8
	s_add_i32 s16, s16, 8
	v_cmp_eq_u32_e32 vcc, 0, v114
	s_or_b64 s[2:3], vcc, s[2:3]
	s_waitcnt vmcnt(0) lgkmcnt(0)
	v_fmac_f64_e32 v[112:113], v[116:117], v[118:119]
	s_andn2_b64 exec, exec, s[2:3]
	s_cbranch_execnz .LBB53_403
; %bb.404:
	s_or_b64 exec, exec, s[2:3]
.LBB53_405:
	s_or_b64 exec, exec, s[8:9]
	v_mov_b32_e32 v114, 0
	ds_read_b64 v[114:115], v114 offset:96
	s_waitcnt lgkmcnt(0)
	v_mul_f64 v[112:113], v[112:113], v[114:115]
	scratch_store_dwordx2 off, v[112:113], off offset:96
.LBB53_406:
	s_or_b64 exec, exec, s[4:5]
	scratch_load_dwordx2 v[112:113], off, off offset:88
	v_cmp_lt_u32_e64 s[2:3], 11, v0
	s_waitcnt vmcnt(0)
	ds_write_b64 v1, v[112:113]
	s_waitcnt lgkmcnt(0)
	; wave barrier
	s_and_saveexec_b64 s[4:5], s[2:3]
	s_cbranch_execz .LBB53_416
; %bb.407:
	s_andn2_b64 vcc, exec, s[6:7]
	s_cbranch_vccnz .LBB53_409
; %bb.408:
	scratch_load_dwordx2 v[112:113], v17, off
	ds_read_b64 v[114:115], v1
	s_waitcnt vmcnt(0) lgkmcnt(0)
	v_mul_f64 v[112:113], v[112:113], v[114:115]
	s_cbranch_execz .LBB53_410
	s_branch .LBB53_411
.LBB53_409:
                                        ; implicit-def: $vgpr112_vgpr113
.LBB53_410:
	ds_read_b64 v[112:113], v1
.LBB53_411:
	s_and_saveexec_b64 s[8:9], s[0:1]
	s_cbranch_execz .LBB53_415
; %bb.412:
	v_add_u32_e32 v114, -12, v0
	s_movk_i32 s16, 0x210
	s_mov_b64 s[0:1], 0
.LBB53_413:                             ; =>This Inner Loop Header: Depth=1
	scratch_load_dwordx2 v[116:117], off, s15
	v_mov_b32_e32 v115, s16
	ds_read_b64 v[118:119], v115
	v_add_u32_e32 v114, -1, v114
	s_add_i32 s16, s16, 8
	s_add_i32 s15, s15, 8
	v_cmp_eq_u32_e32 vcc, 0, v114
	s_or_b64 s[0:1], vcc, s[0:1]
	s_waitcnt vmcnt(0) lgkmcnt(0)
	v_fmac_f64_e32 v[112:113], v[116:117], v[118:119]
	s_andn2_b64 exec, exec, s[0:1]
	s_cbranch_execnz .LBB53_413
; %bb.414:
	s_or_b64 exec, exec, s[0:1]
.LBB53_415:
	s_or_b64 exec, exec, s[8:9]
	v_mov_b32_e32 v114, 0
	ds_read_b64 v[114:115], v114 offset:88
	s_waitcnt lgkmcnt(0)
	v_mul_f64 v[112:113], v[112:113], v[114:115]
	scratch_store_dwordx2 off, v[112:113], off offset:88
.LBB53_416:
	s_or_b64 exec, exec, s[4:5]
	scratch_load_dwordx2 v[112:113], off, off offset:80
	v_cmp_lt_u32_e64 s[0:1], 10, v0
	s_waitcnt vmcnt(0)
	ds_write_b64 v1, v[112:113]
	s_waitcnt lgkmcnt(0)
	; wave barrier
	s_and_saveexec_b64 s[4:5], s[0:1]
	s_cbranch_execz .LBB53_426
; %bb.417:
	s_andn2_b64 vcc, exec, s[6:7]
	s_cbranch_vccnz .LBB53_419
; %bb.418:
	scratch_load_dwordx2 v[112:113], v17, off
	ds_read_b64 v[114:115], v1
	s_waitcnt vmcnt(0) lgkmcnt(0)
	v_mul_f64 v[112:113], v[112:113], v[114:115]
	s_cbranch_execz .LBB53_420
	s_branch .LBB53_421
.LBB53_419:
                                        ; implicit-def: $vgpr112_vgpr113
.LBB53_420:
	ds_read_b64 v[112:113], v1
.LBB53_421:
	s_and_saveexec_b64 s[8:9], s[2:3]
	s_cbranch_execz .LBB53_425
; %bb.422:
	s_movk_i32 s15, 0x58
	v_add_u32_e32 v114, -11, v0
	s_movk_i32 s16, 0x208
	s_mov_b64 s[2:3], 0
.LBB53_423:                             ; =>This Inner Loop Header: Depth=1
	scratch_load_dwordx2 v[116:117], off, s15
	v_mov_b32_e32 v115, s16
	ds_read_b64 v[118:119], v115
	v_add_u32_e32 v114, -1, v114
	s_add_i32 s16, s16, 8
	s_add_i32 s15, s15, 8
	v_cmp_eq_u32_e32 vcc, 0, v114
	s_or_b64 s[2:3], vcc, s[2:3]
	s_waitcnt vmcnt(0) lgkmcnt(0)
	v_fmac_f64_e32 v[112:113], v[116:117], v[118:119]
	s_andn2_b64 exec, exec, s[2:3]
	s_cbranch_execnz .LBB53_423
; %bb.424:
	s_or_b64 exec, exec, s[2:3]
.LBB53_425:
	s_or_b64 exec, exec, s[8:9]
	v_mov_b32_e32 v114, 0
	ds_read_b64 v[114:115], v114 offset:80
	s_waitcnt lgkmcnt(0)
	v_mul_f64 v[112:113], v[112:113], v[114:115]
	scratch_store_dwordx2 off, v[112:113], off offset:80
.LBB53_426:
	s_or_b64 exec, exec, s[4:5]
	scratch_load_dwordx2 v[112:113], off, off offset:72
	v_cmp_lt_u32_e64 s[2:3], 9, v0
	s_waitcnt vmcnt(0)
	ds_write_b64 v1, v[112:113]
	s_waitcnt lgkmcnt(0)
	; wave barrier
	s_and_saveexec_b64 s[4:5], s[2:3]
	s_cbranch_execz .LBB53_436
; %bb.427:
	s_andn2_b64 vcc, exec, s[6:7]
	s_cbranch_vccnz .LBB53_429
; %bb.428:
	scratch_load_dwordx2 v[112:113], v17, off
	ds_read_b64 v[114:115], v1
	s_waitcnt vmcnt(0) lgkmcnt(0)
	v_mul_f64 v[112:113], v[112:113], v[114:115]
	s_cbranch_execz .LBB53_430
	s_branch .LBB53_431
.LBB53_429:
                                        ; implicit-def: $vgpr112_vgpr113
.LBB53_430:
	ds_read_b64 v[112:113], v1
.LBB53_431:
	s_and_saveexec_b64 s[8:9], s[0:1]
	s_cbranch_execz .LBB53_435
; %bb.432:
	v_add_u32_e32 v114, -10, v0
	s_movk_i32 s15, 0x200
	s_mov_b64 s[0:1], 0
.LBB53_433:                             ; =>This Inner Loop Header: Depth=1
	scratch_load_dwordx2 v[116:117], off, s14
	v_mov_b32_e32 v115, s15
	ds_read_b64 v[118:119], v115
	v_add_u32_e32 v114, -1, v114
	s_add_i32 s15, s15, 8
	s_add_i32 s14, s14, 8
	v_cmp_eq_u32_e32 vcc, 0, v114
	s_or_b64 s[0:1], vcc, s[0:1]
	s_waitcnt vmcnt(0) lgkmcnt(0)
	v_fmac_f64_e32 v[112:113], v[116:117], v[118:119]
	s_andn2_b64 exec, exec, s[0:1]
	s_cbranch_execnz .LBB53_433
; %bb.434:
	s_or_b64 exec, exec, s[0:1]
.LBB53_435:
	s_or_b64 exec, exec, s[8:9]
	v_mov_b32_e32 v114, 0
	ds_read_b64 v[114:115], v114 offset:72
	s_waitcnt lgkmcnt(0)
	v_mul_f64 v[112:113], v[112:113], v[114:115]
	scratch_store_dwordx2 off, v[112:113], off offset:72
.LBB53_436:
	s_or_b64 exec, exec, s[4:5]
	scratch_load_dwordx2 v[112:113], off, off offset:64
	v_cmp_lt_u32_e64 s[0:1], 8, v0
	s_waitcnt vmcnt(0)
	ds_write_b64 v1, v[112:113]
	s_waitcnt lgkmcnt(0)
	; wave barrier
	s_and_saveexec_b64 s[4:5], s[0:1]
	s_cbranch_execz .LBB53_446
; %bb.437:
	s_andn2_b64 vcc, exec, s[6:7]
	s_cbranch_vccnz .LBB53_439
; %bb.438:
	scratch_load_dwordx2 v[112:113], v17, off
	ds_read_b64 v[114:115], v1
	s_waitcnt vmcnt(0) lgkmcnt(0)
	v_mul_f64 v[112:113], v[112:113], v[114:115]
	s_cbranch_execz .LBB53_440
	s_branch .LBB53_441
.LBB53_439:
                                        ; implicit-def: $vgpr112_vgpr113
.LBB53_440:
	ds_read_b64 v[112:113], v1
.LBB53_441:
	s_and_saveexec_b64 s[8:9], s[2:3]
	s_cbranch_execz .LBB53_445
; %bb.442:
	s_movk_i32 s14, 0x48
	v_add_u32_e32 v114, -9, v0
	s_movk_i32 s15, 0x1f8
	s_mov_b64 s[2:3], 0
.LBB53_443:                             ; =>This Inner Loop Header: Depth=1
	scratch_load_dwordx2 v[116:117], off, s14
	v_mov_b32_e32 v115, s15
	ds_read_b64 v[118:119], v115
	v_add_u32_e32 v114, -1, v114
	s_add_i32 s15, s15, 8
	s_add_i32 s14, s14, 8
	v_cmp_eq_u32_e32 vcc, 0, v114
	s_or_b64 s[2:3], vcc, s[2:3]
	s_waitcnt vmcnt(0) lgkmcnt(0)
	v_fmac_f64_e32 v[112:113], v[116:117], v[118:119]
	s_andn2_b64 exec, exec, s[2:3]
	s_cbranch_execnz .LBB53_443
; %bb.444:
	s_or_b64 exec, exec, s[2:3]
.LBB53_445:
	s_or_b64 exec, exec, s[8:9]
	v_mov_b32_e32 v114, 0
	ds_read_b64 v[114:115], v114 offset:64
	s_waitcnt lgkmcnt(0)
	v_mul_f64 v[112:113], v[112:113], v[114:115]
	scratch_store_dwordx2 off, v[112:113], off offset:64
.LBB53_446:
	s_or_b64 exec, exec, s[4:5]
	scratch_load_dwordx2 v[112:113], off, off offset:56
	v_cmp_lt_u32_e64 s[2:3], 7, v0
	s_waitcnt vmcnt(0)
	ds_write_b64 v1, v[112:113]
	s_waitcnt lgkmcnt(0)
	; wave barrier
	s_and_saveexec_b64 s[4:5], s[2:3]
	s_cbranch_execz .LBB53_456
; %bb.447:
	s_andn2_b64 vcc, exec, s[6:7]
	s_cbranch_vccnz .LBB53_449
; %bb.448:
	scratch_load_dwordx2 v[112:113], v17, off
	ds_read_b64 v[114:115], v1
	s_waitcnt vmcnt(0) lgkmcnt(0)
	v_mul_f64 v[112:113], v[112:113], v[114:115]
	s_cbranch_execz .LBB53_450
	s_branch .LBB53_451
.LBB53_449:
                                        ; implicit-def: $vgpr112_vgpr113
.LBB53_450:
	ds_read_b64 v[112:113], v1
.LBB53_451:
	s_and_saveexec_b64 s[8:9], s[0:1]
	s_cbranch_execz .LBB53_455
; %bb.452:
	v_add_u32_e32 v114, -8, v0
	s_movk_i32 s14, 0x1f0
	s_mov_b64 s[0:1], 0
.LBB53_453:                             ; =>This Inner Loop Header: Depth=1
	scratch_load_dwordx2 v[116:117], off, s13
	v_mov_b32_e32 v115, s14
	ds_read_b64 v[118:119], v115
	v_add_u32_e32 v114, -1, v114
	s_add_i32 s14, s14, 8
	s_add_i32 s13, s13, 8
	v_cmp_eq_u32_e32 vcc, 0, v114
	s_or_b64 s[0:1], vcc, s[0:1]
	s_waitcnt vmcnt(0) lgkmcnt(0)
	v_fmac_f64_e32 v[112:113], v[116:117], v[118:119]
	s_andn2_b64 exec, exec, s[0:1]
	s_cbranch_execnz .LBB53_453
; %bb.454:
	s_or_b64 exec, exec, s[0:1]
.LBB53_455:
	s_or_b64 exec, exec, s[8:9]
	v_mov_b32_e32 v114, 0
	ds_read_b64 v[114:115], v114 offset:56
	s_waitcnt lgkmcnt(0)
	v_mul_f64 v[112:113], v[112:113], v[114:115]
	scratch_store_dwordx2 off, v[112:113], off offset:56
.LBB53_456:
	s_or_b64 exec, exec, s[4:5]
	scratch_load_dwordx2 v[112:113], off, off offset:48
	v_cmp_lt_u32_e64 s[0:1], 6, v0
	s_waitcnt vmcnt(0)
	ds_write_b64 v1, v[112:113]
	s_waitcnt lgkmcnt(0)
	; wave barrier
	s_and_saveexec_b64 s[4:5], s[0:1]
	s_cbranch_execz .LBB53_466
; %bb.457:
	s_andn2_b64 vcc, exec, s[6:7]
	s_cbranch_vccnz .LBB53_459
; %bb.458:
	scratch_load_dwordx2 v[112:113], v17, off
	ds_read_b64 v[114:115], v1
	s_waitcnt vmcnt(0) lgkmcnt(0)
	v_mul_f64 v[112:113], v[112:113], v[114:115]
	s_cbranch_execz .LBB53_460
	s_branch .LBB53_461
.LBB53_459:
                                        ; implicit-def: $vgpr112_vgpr113
.LBB53_460:
	ds_read_b64 v[112:113], v1
.LBB53_461:
	s_and_saveexec_b64 s[8:9], s[2:3]
	s_cbranch_execz .LBB53_465
; %bb.462:
	s_mov_b32 s13, 56
	v_add_u32_e32 v114, -7, v0
	s_movk_i32 s14, 0x1e8
	s_mov_b64 s[2:3], 0
.LBB53_463:                             ; =>This Inner Loop Header: Depth=1
	scratch_load_dwordx2 v[116:117], off, s13
	v_mov_b32_e32 v115, s14
	ds_read_b64 v[118:119], v115
	v_add_u32_e32 v114, -1, v114
	s_add_i32 s14, s14, 8
	s_add_i32 s13, s13, 8
	v_cmp_eq_u32_e32 vcc, 0, v114
	s_or_b64 s[2:3], vcc, s[2:3]
	s_waitcnt vmcnt(0) lgkmcnt(0)
	v_fmac_f64_e32 v[112:113], v[116:117], v[118:119]
	s_andn2_b64 exec, exec, s[2:3]
	s_cbranch_execnz .LBB53_463
; %bb.464:
	s_or_b64 exec, exec, s[2:3]
.LBB53_465:
	s_or_b64 exec, exec, s[8:9]
	v_mov_b32_e32 v114, 0
	ds_read_b64 v[114:115], v114 offset:48
	s_waitcnt lgkmcnt(0)
	v_mul_f64 v[112:113], v[112:113], v[114:115]
	scratch_store_dwordx2 off, v[112:113], off offset:48
.LBB53_466:
	s_or_b64 exec, exec, s[4:5]
	scratch_load_dwordx2 v[112:113], off, off offset:40
	v_cmp_lt_u32_e64 s[2:3], 5, v0
	s_waitcnt vmcnt(0)
	ds_write_b64 v1, v[112:113]
	s_waitcnt lgkmcnt(0)
	; wave barrier
	s_and_saveexec_b64 s[4:5], s[2:3]
	s_cbranch_execz .LBB53_476
; %bb.467:
	s_andn2_b64 vcc, exec, s[6:7]
	s_cbranch_vccnz .LBB53_469
; %bb.468:
	scratch_load_dwordx2 v[112:113], v17, off
	ds_read_b64 v[114:115], v1
	s_waitcnt vmcnt(0) lgkmcnt(0)
	v_mul_f64 v[112:113], v[112:113], v[114:115]
	s_cbranch_execz .LBB53_470
	s_branch .LBB53_471
.LBB53_469:
                                        ; implicit-def: $vgpr112_vgpr113
.LBB53_470:
	ds_read_b64 v[112:113], v1
.LBB53_471:
	s_and_saveexec_b64 s[8:9], s[0:1]
	s_cbranch_execz .LBB53_475
; %bb.472:
	v_add_u32_e32 v114, -6, v0
	s_movk_i32 s13, 0x1e0
	s_mov_b64 s[0:1], 0
.LBB53_473:                             ; =>This Inner Loop Header: Depth=1
	scratch_load_dwordx2 v[116:117], off, s12
	v_mov_b32_e32 v115, s13
	ds_read_b64 v[118:119], v115
	v_add_u32_e32 v114, -1, v114
	s_add_i32 s13, s13, 8
	s_add_i32 s12, s12, 8
	v_cmp_eq_u32_e32 vcc, 0, v114
	s_or_b64 s[0:1], vcc, s[0:1]
	s_waitcnt vmcnt(0) lgkmcnt(0)
	v_fmac_f64_e32 v[112:113], v[116:117], v[118:119]
	s_andn2_b64 exec, exec, s[0:1]
	s_cbranch_execnz .LBB53_473
; %bb.474:
	s_or_b64 exec, exec, s[0:1]
.LBB53_475:
	s_or_b64 exec, exec, s[8:9]
	v_mov_b32_e32 v114, 0
	ds_read_b64 v[114:115], v114 offset:40
	s_waitcnt lgkmcnt(0)
	v_mul_f64 v[112:113], v[112:113], v[114:115]
	scratch_store_dwordx2 off, v[112:113], off offset:40
.LBB53_476:
	s_or_b64 exec, exec, s[4:5]
	scratch_load_dwordx2 v[112:113], off, off offset:32
	v_cmp_lt_u32_e64 s[0:1], 4, v0
	s_waitcnt vmcnt(0)
	ds_write_b64 v1, v[112:113]
	s_waitcnt lgkmcnt(0)
	; wave barrier
	s_and_saveexec_b64 s[4:5], s[0:1]
	s_cbranch_execz .LBB53_486
; %bb.477:
	s_andn2_b64 vcc, exec, s[6:7]
	s_cbranch_vccnz .LBB53_479
; %bb.478:
	scratch_load_dwordx2 v[112:113], v17, off
	ds_read_b64 v[114:115], v1
	s_waitcnt vmcnt(0) lgkmcnt(0)
	v_mul_f64 v[112:113], v[112:113], v[114:115]
	s_cbranch_execz .LBB53_480
	s_branch .LBB53_481
.LBB53_479:
                                        ; implicit-def: $vgpr112_vgpr113
.LBB53_480:
	ds_read_b64 v[112:113], v1
.LBB53_481:
	s_and_saveexec_b64 s[8:9], s[2:3]
	s_cbranch_execz .LBB53_485
; %bb.482:
	s_mov_b32 s12, 40
	v_add_u32_e32 v114, -5, v0
	s_movk_i32 s13, 0x1d8
	s_mov_b64 s[2:3], 0
.LBB53_483:                             ; =>This Inner Loop Header: Depth=1
	scratch_load_dwordx2 v[116:117], off, s12
	v_mov_b32_e32 v115, s13
	ds_read_b64 v[118:119], v115
	v_add_u32_e32 v114, -1, v114
	s_add_i32 s13, s13, 8
	s_add_i32 s12, s12, 8
	v_cmp_eq_u32_e32 vcc, 0, v114
	s_or_b64 s[2:3], vcc, s[2:3]
	s_waitcnt vmcnt(0) lgkmcnt(0)
	v_fmac_f64_e32 v[112:113], v[116:117], v[118:119]
	s_andn2_b64 exec, exec, s[2:3]
	s_cbranch_execnz .LBB53_483
; %bb.484:
	s_or_b64 exec, exec, s[2:3]
.LBB53_485:
	s_or_b64 exec, exec, s[8:9]
	v_mov_b32_e32 v114, 0
	ds_read_b64 v[114:115], v114 offset:32
	s_waitcnt lgkmcnt(0)
	v_mul_f64 v[112:113], v[112:113], v[114:115]
	scratch_store_dwordx2 off, v[112:113], off offset:32
.LBB53_486:
	s_or_b64 exec, exec, s[4:5]
	scratch_load_dwordx2 v[112:113], off, off offset:24
	v_cmp_lt_u32_e64 s[2:3], 3, v0
	s_waitcnt vmcnt(0)
	ds_write_b64 v1, v[112:113]
	s_waitcnt lgkmcnt(0)
	; wave barrier
	s_and_saveexec_b64 s[4:5], s[2:3]
	s_cbranch_execz .LBB53_496
; %bb.487:
	s_andn2_b64 vcc, exec, s[6:7]
	s_cbranch_vccnz .LBB53_489
; %bb.488:
	scratch_load_dwordx2 v[112:113], v17, off
	ds_read_b64 v[114:115], v1
	s_waitcnt vmcnt(0) lgkmcnt(0)
	v_mul_f64 v[112:113], v[112:113], v[114:115]
	s_cbranch_execz .LBB53_490
	s_branch .LBB53_491
.LBB53_489:
                                        ; implicit-def: $vgpr112_vgpr113
.LBB53_490:
	ds_read_b64 v[112:113], v1
.LBB53_491:
	s_and_saveexec_b64 s[8:9], s[0:1]
	s_cbranch_execz .LBB53_495
; %bb.492:
	v_add_u32_e32 v114, -4, v0
	s_movk_i32 s12, 0x1d0
	s_mov_b64 s[0:1], 0
.LBB53_493:                             ; =>This Inner Loop Header: Depth=1
	scratch_load_dwordx2 v[116:117], off, s11
	v_mov_b32_e32 v115, s12
	ds_read_b64 v[118:119], v115
	v_add_u32_e32 v114, -1, v114
	s_add_i32 s12, s12, 8
	s_add_i32 s11, s11, 8
	v_cmp_eq_u32_e32 vcc, 0, v114
	s_or_b64 s[0:1], vcc, s[0:1]
	s_waitcnt vmcnt(0) lgkmcnt(0)
	v_fmac_f64_e32 v[112:113], v[116:117], v[118:119]
	s_andn2_b64 exec, exec, s[0:1]
	s_cbranch_execnz .LBB53_493
; %bb.494:
	s_or_b64 exec, exec, s[0:1]
.LBB53_495:
	s_or_b64 exec, exec, s[8:9]
	v_mov_b32_e32 v114, 0
	ds_read_b64 v[114:115], v114 offset:24
	s_waitcnt lgkmcnt(0)
	v_mul_f64 v[112:113], v[112:113], v[114:115]
	scratch_store_dwordx2 off, v[112:113], off offset:24
.LBB53_496:
	s_or_b64 exec, exec, s[4:5]
	scratch_load_dwordx2 v[112:113], off, off offset:16
	v_cmp_lt_u32_e64 s[0:1], 2, v0
	s_waitcnt vmcnt(0)
	ds_write_b64 v1, v[112:113]
	s_waitcnt lgkmcnt(0)
	; wave barrier
	s_and_saveexec_b64 s[4:5], s[0:1]
	s_cbranch_execz .LBB53_506
; %bb.497:
	s_andn2_b64 vcc, exec, s[6:7]
	s_cbranch_vccnz .LBB53_499
; %bb.498:
	scratch_load_dwordx2 v[112:113], v17, off
	ds_read_b64 v[114:115], v1
	s_waitcnt vmcnt(0) lgkmcnt(0)
	v_mul_f64 v[112:113], v[112:113], v[114:115]
	s_cbranch_execz .LBB53_500
	s_branch .LBB53_501
.LBB53_499:
                                        ; implicit-def: $vgpr112_vgpr113
.LBB53_500:
	ds_read_b64 v[112:113], v1
.LBB53_501:
	s_and_saveexec_b64 s[8:9], s[2:3]
	s_cbranch_execz .LBB53_505
; %bb.502:
	s_mov_b32 s11, 24
	v_add_u32_e32 v114, -3, v0
	s_movk_i32 s12, 0x1c8
	s_mov_b64 s[2:3], 0
.LBB53_503:                             ; =>This Inner Loop Header: Depth=1
	scratch_load_dwordx2 v[116:117], off, s11
	v_mov_b32_e32 v115, s12
	ds_read_b64 v[118:119], v115
	v_add_u32_e32 v114, -1, v114
	s_add_i32 s12, s12, 8
	s_add_i32 s11, s11, 8
	v_cmp_eq_u32_e32 vcc, 0, v114
	s_or_b64 s[2:3], vcc, s[2:3]
	s_waitcnt vmcnt(0) lgkmcnt(0)
	v_fmac_f64_e32 v[112:113], v[116:117], v[118:119]
	s_andn2_b64 exec, exec, s[2:3]
	s_cbranch_execnz .LBB53_503
; %bb.504:
	s_or_b64 exec, exec, s[2:3]
.LBB53_505:
	s_or_b64 exec, exec, s[8:9]
	v_mov_b32_e32 v114, 0
	ds_read_b64 v[114:115], v114 offset:16
	s_waitcnt lgkmcnt(0)
	v_mul_f64 v[112:113], v[112:113], v[114:115]
	scratch_store_dwordx2 off, v[112:113], off offset:16
.LBB53_506:
	s_or_b64 exec, exec, s[4:5]
	scratch_load_dwordx2 v[112:113], off, off offset:8
	v_cmp_lt_u32_e64 s[2:3], 1, v0
	s_waitcnt vmcnt(0)
	ds_write_b64 v1, v[112:113]
	s_waitcnt lgkmcnt(0)
	; wave barrier
	s_and_saveexec_b64 s[4:5], s[2:3]
	s_cbranch_execz .LBB53_516
; %bb.507:
	s_andn2_b64 vcc, exec, s[6:7]
	s_cbranch_vccnz .LBB53_509
; %bb.508:
	scratch_load_dwordx2 v[112:113], v17, off
	ds_read_b64 v[114:115], v1
	s_waitcnt vmcnt(0) lgkmcnt(0)
	v_mul_f64 v[112:113], v[112:113], v[114:115]
	s_cbranch_execz .LBB53_510
	s_branch .LBB53_511
.LBB53_509:
                                        ; implicit-def: $vgpr112_vgpr113
.LBB53_510:
	ds_read_b64 v[112:113], v1
.LBB53_511:
	s_and_saveexec_b64 s[8:9], s[0:1]
	s_cbranch_execz .LBB53_515
; %bb.512:
	v_add_u32_e32 v114, -2, v0
	s_movk_i32 s11, 0x1c0
	s_mov_b64 s[0:1], 0
.LBB53_513:                             ; =>This Inner Loop Header: Depth=1
	scratch_load_dwordx2 v[116:117], off, s10
	v_mov_b32_e32 v115, s11
	ds_read_b64 v[118:119], v115
	v_add_u32_e32 v114, -1, v114
	s_add_i32 s11, s11, 8
	s_add_i32 s10, s10, 8
	v_cmp_eq_u32_e32 vcc, 0, v114
	s_or_b64 s[0:1], vcc, s[0:1]
	s_waitcnt vmcnt(0) lgkmcnt(0)
	v_fmac_f64_e32 v[112:113], v[116:117], v[118:119]
	s_andn2_b64 exec, exec, s[0:1]
	s_cbranch_execnz .LBB53_513
; %bb.514:
	s_or_b64 exec, exec, s[0:1]
.LBB53_515:
	s_or_b64 exec, exec, s[8:9]
	v_mov_b32_e32 v114, 0
	ds_read_b64 v[114:115], v114 offset:8
	s_waitcnt lgkmcnt(0)
	v_mul_f64 v[112:113], v[112:113], v[114:115]
	scratch_store_dwordx2 off, v[112:113], off offset:8
.LBB53_516:
	s_or_b64 exec, exec, s[4:5]
	scratch_load_dwordx2 v[112:113], off, off
	v_cmp_ne_u32_e32 vcc, 0, v0
	s_waitcnt vmcnt(0)
	ds_write_b64 v1, v[112:113]
	s_waitcnt lgkmcnt(0)
	; wave barrier
	s_and_saveexec_b64 s[0:1], vcc
	s_cbranch_execz .LBB53_526
; %bb.517:
	s_andn2_b64 vcc, exec, s[6:7]
	s_cbranch_vccnz .LBB53_519
; %bb.518:
	scratch_load_dwordx2 v[112:113], v17, off
	ds_read_b64 v[114:115], v1
	s_waitcnt vmcnt(0) lgkmcnt(0)
	v_mul_f64 v[112:113], v[112:113], v[114:115]
	s_cbranch_execz .LBB53_520
	s_branch .LBB53_521
.LBB53_519:
                                        ; implicit-def: $vgpr112_vgpr113
.LBB53_520:
	ds_read_b64 v[112:113], v1
.LBB53_521:
	s_and_saveexec_b64 s[4:5], s[2:3]
	s_cbranch_execz .LBB53_525
; %bb.522:
	s_or_b32 s8, 0, 8
	v_add_u32_e32 v114, -1, v0
	s_movk_i32 s9, 0x1b8
	s_mov_b64 s[2:3], 0
.LBB53_523:                             ; =>This Inner Loop Header: Depth=1
	scratch_load_dwordx2 v[116:117], off, s8
	v_mov_b32_e32 v115, s9
	ds_read_b64 v[118:119], v115
	v_add_u32_e32 v114, -1, v114
	s_add_i32 s9, s9, 8
	s_add_i32 s8, s8, 8
	v_cmp_eq_u32_e32 vcc, 0, v114
	s_or_b64 s[2:3], vcc, s[2:3]
	s_waitcnt vmcnt(0) lgkmcnt(0)
	v_fmac_f64_e32 v[112:113], v[116:117], v[118:119]
	s_andn2_b64 exec, exec, s[2:3]
	s_cbranch_execnz .LBB53_523
; %bb.524:
	s_or_b64 exec, exec, s[2:3]
.LBB53_525:
	s_or_b64 exec, exec, s[4:5]
	v_mov_b32_e32 v114, 0
	ds_read_b64 v[114:115], v114
	s_waitcnt lgkmcnt(0)
	v_mul_f64 v[112:113], v[112:113], v[114:115]
	scratch_store_dwordx2 off, v[112:113], off
.LBB53_526:
	s_or_b64 exec, exec, s[0:1]
	s_mov_b64 s[0:1], 0
.LBB53_527:
	s_and_b64 vcc, exec, s[0:1]
	s_cbranch_vccz .LBB53_1049
; %bb.528:
	scratch_load_dwordx2 v[112:113], off, off offset:8
	v_cmp_eq_u32_e64 s[2:3], 0, v0
	s_waitcnt vmcnt(0)
	ds_write_b64 v1, v[112:113]
	s_waitcnt lgkmcnt(0)
	; wave barrier
	s_and_saveexec_b64 s[0:1], s[2:3]
	s_cbranch_execz .LBB53_534
; %bb.529:
	s_and_b64 vcc, exec, s[6:7]
	s_cbranch_vccz .LBB53_531
; %bb.530:
	scratch_load_dwordx2 v[112:113], v17, off
	ds_read_b64 v[114:115], v1
	s_waitcnt vmcnt(0) lgkmcnt(0)
	v_mul_f64 v[112:113], v[112:113], v[114:115]
	s_cbranch_execz .LBB53_532
	s_branch .LBB53_533
.LBB53_531:
                                        ; implicit-def: $vgpr112_vgpr113
.LBB53_532:
	ds_read_b64 v[112:113], v1
.LBB53_533:
	v_mov_b32_e32 v114, 0
	ds_read_b64 v[114:115], v114 offset:8
	s_waitcnt lgkmcnt(0)
	v_mul_f64 v[112:113], v[112:113], v[114:115]
	scratch_store_dwordx2 off, v[112:113], off offset:8
.LBB53_534:
	s_or_b64 exec, exec, s[0:1]
	scratch_load_dwordx2 v[112:113], off, off offset:16
	v_cndmask_b32_e64 v114, 0, 1, s[6:7]
	v_cmp_gt_u32_e32 vcc, 2, v0
	v_cmp_ne_u32_e64 s[0:1], 1, v114
	s_waitcnt vmcnt(0)
	ds_write_b64 v1, v[112:113]
	s_waitcnt lgkmcnt(0)
	; wave barrier
	s_and_saveexec_b64 s[4:5], vcc
	s_cbranch_execz .LBB53_540
; %bb.535:
	s_and_b64 vcc, exec, s[0:1]
	s_cbranch_vccnz .LBB53_537
; %bb.536:
	scratch_load_dwordx2 v[112:113], v17, off
	ds_read_b64 v[114:115], v1
	s_waitcnt vmcnt(0) lgkmcnt(0)
	v_mul_f64 v[112:113], v[112:113], v[114:115]
	s_cbranch_execz .LBB53_538
	s_branch .LBB53_539
.LBB53_537:
                                        ; implicit-def: $vgpr112_vgpr113
.LBB53_538:
	ds_read_b64 v[112:113], v1
.LBB53_539:
	scratch_load_dwordx2 v[118:119], off, off offset:8
	v_mov_b32_e32 v114, 0
	ds_read2_b64 v[114:117], v114 offset0:2 offset1:55
	s_waitcnt vmcnt(0) lgkmcnt(0)
	v_fma_f64 v[116:117], v[118:119], v[116:117], v[112:113]
	v_cndmask_b32_e64 v113, v113, v117, s[2:3]
	v_cndmask_b32_e64 v112, v112, v116, s[2:3]
	v_mul_f64 v[112:113], v[112:113], v[114:115]
	scratch_store_dwordx2 off, v[112:113], off offset:16
.LBB53_540:
	s_or_b64 exec, exec, s[4:5]
	scratch_load_dwordx2 v[112:113], off, off offset:24
	v_cmp_gt_u32_e32 vcc, 3, v0
	s_waitcnt vmcnt(0)
	ds_write_b64 v1, v[112:113]
	s_waitcnt lgkmcnt(0)
	; wave barrier
	s_and_saveexec_b64 s[4:5], vcc
	s_cbranch_execz .LBB53_548
; %bb.541:
	s_and_b64 vcc, exec, s[0:1]
	s_cbranch_vccnz .LBB53_543
; %bb.542:
	scratch_load_dwordx2 v[112:113], v17, off
	ds_read_b64 v[114:115], v1
	s_waitcnt vmcnt(0) lgkmcnt(0)
	v_mul_f64 v[112:113], v[112:113], v[114:115]
	s_cbranch_execz .LBB53_544
	s_branch .LBB53_545
.LBB53_543:
                                        ; implicit-def: $vgpr112_vgpr113
.LBB53_544:
	ds_read_b64 v[112:113], v1
.LBB53_545:
	v_cmp_ne_u32_e32 vcc, 2, v0
	s_and_saveexec_b64 s[6:7], vcc
	s_cbranch_execz .LBB53_547
; %bb.546:
	scratch_load_dwordx2 v[114:115], v17, off offset:8
	scratch_load_dwordx2 v[116:117], off, off offset:16
	ds_read_b64 v[118:119], v1 offset:8
	v_mov_b32_e32 v120, 0
	ds_read_b64 v[120:121], v120 offset:448
	s_waitcnt vmcnt(1) lgkmcnt(1)
	v_fmac_f64_e32 v[112:113], v[114:115], v[118:119]
	s_waitcnt vmcnt(0) lgkmcnt(0)
	v_fma_f64 v[114:115], v[116:117], v[120:121], v[112:113]
	v_cndmask_b32_e64 v113, v113, v115, s[2:3]
	v_cndmask_b32_e64 v112, v112, v114, s[2:3]
.LBB53_547:
	s_or_b64 exec, exec, s[6:7]
	v_mov_b32_e32 v114, 0
	ds_read_b64 v[114:115], v114 offset:24
	s_waitcnt lgkmcnt(0)
	v_mul_f64 v[112:113], v[112:113], v[114:115]
	scratch_store_dwordx2 off, v[112:113], off offset:24
.LBB53_548:
	s_or_b64 exec, exec, s[4:5]
	scratch_load_dwordx2 v[112:113], off, off offset:32
	v_cmp_gt_u32_e32 vcc, 4, v0
	s_waitcnt vmcnt(0)
	ds_write_b64 v1, v[112:113]
	s_waitcnt lgkmcnt(0)
	; wave barrier
	s_and_saveexec_b64 s[2:3], vcc
	s_cbranch_execz .LBB53_558
; %bb.549:
	s_and_b64 vcc, exec, s[0:1]
	s_cbranch_vccnz .LBB53_551
; %bb.550:
	scratch_load_dwordx2 v[112:113], v17, off
	ds_read_b64 v[114:115], v1
	s_waitcnt vmcnt(0) lgkmcnt(0)
	v_mul_f64 v[112:113], v[112:113], v[114:115]
	s_cbranch_execz .LBB53_552
	s_branch .LBB53_553
.LBB53_551:
                                        ; implicit-def: $vgpr112_vgpr113
.LBB53_552:
	ds_read_b64 v[112:113], v1
.LBB53_553:
	v_cmp_ne_u32_e32 vcc, 3, v0
	s_and_saveexec_b64 s[4:5], vcc
	s_cbranch_execz .LBB53_557
; %bb.554:
	s_mov_b32 s6, 0
	v_add_u32_e32 v114, 0x1b8, v16
	v_add3_u32 v115, v16, s6, 8
	s_mov_b64 s[6:7], 0
	v_mov_b32_e32 v116, v0
.LBB53_555:                             ; =>This Inner Loop Header: Depth=1
	scratch_load_dwordx2 v[118:119], v115, off
	ds_read_b64 v[120:121], v114
	v_add_u32_e32 v116, 1, v116
	v_cmp_lt_u32_e32 vcc, 2, v116
	v_add_u32_e32 v114, 8, v114
	v_add_u32_e32 v115, 8, v115
	s_or_b64 s[6:7], vcc, s[6:7]
	s_waitcnt vmcnt(0) lgkmcnt(0)
	v_fmac_f64_e32 v[112:113], v[118:119], v[120:121]
	s_andn2_b64 exec, exec, s[6:7]
	s_cbranch_execnz .LBB53_555
; %bb.556:
	s_or_b64 exec, exec, s[6:7]
.LBB53_557:
	s_or_b64 exec, exec, s[4:5]
	v_mov_b32_e32 v114, 0
	ds_read_b64 v[114:115], v114 offset:32
	s_waitcnt lgkmcnt(0)
	v_mul_f64 v[112:113], v[112:113], v[114:115]
	scratch_store_dwordx2 off, v[112:113], off offset:32
.LBB53_558:
	s_or_b64 exec, exec, s[2:3]
	scratch_load_dwordx2 v[112:113], off, off offset:40
	v_cmp_gt_u32_e32 vcc, 5, v0
	s_waitcnt vmcnt(0)
	ds_write_b64 v1, v[112:113]
	s_waitcnt lgkmcnt(0)
	; wave barrier
	s_and_saveexec_b64 s[2:3], vcc
	s_cbranch_execz .LBB53_568
; %bb.559:
	s_and_b64 vcc, exec, s[0:1]
	s_cbranch_vccnz .LBB53_561
; %bb.560:
	scratch_load_dwordx2 v[112:113], v17, off
	ds_read_b64 v[114:115], v1
	s_waitcnt vmcnt(0) lgkmcnt(0)
	v_mul_f64 v[112:113], v[112:113], v[114:115]
	s_cbranch_execz .LBB53_562
	s_branch .LBB53_563
.LBB53_561:
                                        ; implicit-def: $vgpr112_vgpr113
.LBB53_562:
	ds_read_b64 v[112:113], v1
.LBB53_563:
	v_cmp_ne_u32_e32 vcc, 4, v0
	s_and_saveexec_b64 s[4:5], vcc
	s_cbranch_execz .LBB53_567
; %bb.564:
	s_mov_b32 s6, 0
	v_add_u32_e32 v114, 0x1b8, v16
	v_add3_u32 v115, v16, s6, 8
	s_mov_b64 s[6:7], 0
	v_mov_b32_e32 v116, v0
.LBB53_565:                             ; =>This Inner Loop Header: Depth=1
	scratch_load_dwordx2 v[118:119], v115, off
	ds_read_b64 v[120:121], v114
	v_add_u32_e32 v116, 1, v116
	v_cmp_lt_u32_e32 vcc, 3, v116
	v_add_u32_e32 v114, 8, v114
	v_add_u32_e32 v115, 8, v115
	s_or_b64 s[6:7], vcc, s[6:7]
	s_waitcnt vmcnt(0) lgkmcnt(0)
	v_fmac_f64_e32 v[112:113], v[118:119], v[120:121]
	s_andn2_b64 exec, exec, s[6:7]
	s_cbranch_execnz .LBB53_565
; %bb.566:
	s_or_b64 exec, exec, s[6:7]
.LBB53_567:
	s_or_b64 exec, exec, s[4:5]
	v_mov_b32_e32 v114, 0
	ds_read_b64 v[114:115], v114 offset:40
	s_waitcnt lgkmcnt(0)
	v_mul_f64 v[112:113], v[112:113], v[114:115]
	scratch_store_dwordx2 off, v[112:113], off offset:40
.LBB53_568:
	;; [unrolled: 55-line block ×45, first 2 shown]
	s_or_b64 exec, exec, s[2:3]
	scratch_load_dwordx2 v[112:113], off, off offset:392
	v_cmp_gt_u32_e32 vcc, 49, v0
	s_waitcnt vmcnt(0)
	ds_write_b64 v1, v[112:113]
	s_waitcnt lgkmcnt(0)
	; wave barrier
	s_and_saveexec_b64 s[2:3], vcc
	s_cbranch_execz .LBB53_1008
; %bb.999:
	s_and_b64 vcc, exec, s[0:1]
	s_cbranch_vccnz .LBB53_1001
; %bb.1000:
	scratch_load_dwordx2 v[112:113], v17, off
	ds_read_b64 v[114:115], v1
	s_waitcnt vmcnt(0) lgkmcnt(0)
	v_mul_f64 v[112:113], v[112:113], v[114:115]
	s_cbranch_execz .LBB53_1002
	s_branch .LBB53_1003
.LBB53_1001:
                                        ; implicit-def: $vgpr112_vgpr113
.LBB53_1002:
	ds_read_b64 v[112:113], v1
.LBB53_1003:
	v_cmp_ne_u32_e32 vcc, 48, v0
	s_and_saveexec_b64 s[4:5], vcc
	s_cbranch_execz .LBB53_1007
; %bb.1004:
	s_mov_b32 s6, 0
	v_add_u32_e32 v114, 0x1b8, v16
	v_add3_u32 v115, v16, s6, 8
	s_mov_b64 s[6:7], 0
	v_mov_b32_e32 v116, v0
.LBB53_1005:                            ; =>This Inner Loop Header: Depth=1
	scratch_load_dwordx2 v[118:119], v115, off
	ds_read_b64 v[120:121], v114
	v_add_u32_e32 v116, 1, v116
	v_cmp_lt_u32_e32 vcc, 47, v116
	v_add_u32_e32 v114, 8, v114
	v_add_u32_e32 v115, 8, v115
	s_or_b64 s[6:7], vcc, s[6:7]
	s_waitcnt vmcnt(0) lgkmcnt(0)
	v_fmac_f64_e32 v[112:113], v[118:119], v[120:121]
	s_andn2_b64 exec, exec, s[6:7]
	s_cbranch_execnz .LBB53_1005
; %bb.1006:
	s_or_b64 exec, exec, s[6:7]
.LBB53_1007:
	s_or_b64 exec, exec, s[4:5]
	v_mov_b32_e32 v114, 0
	ds_read_b64 v[114:115], v114 offset:392
	s_waitcnt lgkmcnt(0)
	v_mul_f64 v[112:113], v[112:113], v[114:115]
	scratch_store_dwordx2 off, v[112:113], off offset:392
.LBB53_1008:
	s_or_b64 exec, exec, s[2:3]
	scratch_load_dwordx2 v[112:113], off, off offset:400
	v_cmp_gt_u32_e32 vcc, 50, v0
	s_waitcnt vmcnt(0)
	ds_write_b64 v1, v[112:113]
	s_waitcnt lgkmcnt(0)
	; wave barrier
	s_and_saveexec_b64 s[2:3], vcc
	s_cbranch_execz .LBB53_1018
; %bb.1009:
	s_and_b64 vcc, exec, s[0:1]
	s_cbranch_vccnz .LBB53_1011
; %bb.1010:
	scratch_load_dwordx2 v[112:113], v17, off
	ds_read_b64 v[114:115], v1
	s_waitcnt vmcnt(0) lgkmcnt(0)
	v_mul_f64 v[112:113], v[112:113], v[114:115]
	s_cbranch_execz .LBB53_1012
	s_branch .LBB53_1013
.LBB53_1011:
                                        ; implicit-def: $vgpr112_vgpr113
.LBB53_1012:
	ds_read_b64 v[112:113], v1
.LBB53_1013:
	v_cmp_ne_u32_e32 vcc, 49, v0
	s_and_saveexec_b64 s[4:5], vcc
	s_cbranch_execz .LBB53_1017
; %bb.1014:
	s_mov_b32 s6, 0
	v_add_u32_e32 v114, 0x1b8, v16
	v_add3_u32 v115, v16, s6, 8
	s_mov_b64 s[6:7], 0
	v_mov_b32_e32 v116, v0
.LBB53_1015:                            ; =>This Inner Loop Header: Depth=1
	scratch_load_dwordx2 v[118:119], v115, off
	ds_read_b64 v[120:121], v114
	v_add_u32_e32 v116, 1, v116
	v_cmp_lt_u32_e32 vcc, 48, v116
	v_add_u32_e32 v114, 8, v114
	v_add_u32_e32 v115, 8, v115
	s_or_b64 s[6:7], vcc, s[6:7]
	s_waitcnt vmcnt(0) lgkmcnt(0)
	v_fmac_f64_e32 v[112:113], v[118:119], v[120:121]
	s_andn2_b64 exec, exec, s[6:7]
	s_cbranch_execnz .LBB53_1015
; %bb.1016:
	s_or_b64 exec, exec, s[6:7]
.LBB53_1017:
	s_or_b64 exec, exec, s[4:5]
	v_mov_b32_e32 v114, 0
	ds_read_b64 v[114:115], v114 offset:400
	s_waitcnt lgkmcnt(0)
	v_mul_f64 v[112:113], v[112:113], v[114:115]
	scratch_store_dwordx2 off, v[112:113], off offset:400
.LBB53_1018:
	s_or_b64 exec, exec, s[2:3]
	scratch_load_dwordx2 v[112:113], off, off offset:408
	v_cmp_gt_u32_e32 vcc, 51, v0
	s_waitcnt vmcnt(0)
	ds_write_b64 v1, v[112:113]
	s_waitcnt lgkmcnt(0)
	; wave barrier
	s_and_saveexec_b64 s[2:3], vcc
	s_cbranch_execz .LBB53_1028
; %bb.1019:
	s_and_b64 vcc, exec, s[0:1]
	s_cbranch_vccnz .LBB53_1021
; %bb.1020:
	scratch_load_dwordx2 v[112:113], v17, off
	ds_read_b64 v[114:115], v1
	s_waitcnt vmcnt(0) lgkmcnt(0)
	v_mul_f64 v[112:113], v[112:113], v[114:115]
	s_cbranch_execz .LBB53_1022
	s_branch .LBB53_1023
.LBB53_1021:
                                        ; implicit-def: $vgpr112_vgpr113
.LBB53_1022:
	ds_read_b64 v[112:113], v1
.LBB53_1023:
	v_cmp_ne_u32_e32 vcc, 50, v0
	s_and_saveexec_b64 s[4:5], vcc
	s_cbranch_execz .LBB53_1027
; %bb.1024:
	s_mov_b32 s6, 0
	v_add_u32_e32 v114, 0x1b8, v16
	v_add3_u32 v115, v16, s6, 8
	s_mov_b64 s[6:7], 0
	v_mov_b32_e32 v116, v0
.LBB53_1025:                            ; =>This Inner Loop Header: Depth=1
	scratch_load_dwordx2 v[118:119], v115, off
	ds_read_b64 v[120:121], v114
	v_add_u32_e32 v116, 1, v116
	v_cmp_lt_u32_e32 vcc, 49, v116
	v_add_u32_e32 v114, 8, v114
	v_add_u32_e32 v115, 8, v115
	s_or_b64 s[6:7], vcc, s[6:7]
	s_waitcnt vmcnt(0) lgkmcnt(0)
	v_fmac_f64_e32 v[112:113], v[118:119], v[120:121]
	s_andn2_b64 exec, exec, s[6:7]
	s_cbranch_execnz .LBB53_1025
; %bb.1026:
	s_or_b64 exec, exec, s[6:7]
.LBB53_1027:
	s_or_b64 exec, exec, s[4:5]
	v_mov_b32_e32 v114, 0
	ds_read_b64 v[114:115], v114 offset:408
	s_waitcnt lgkmcnt(0)
	v_mul_f64 v[112:113], v[112:113], v[114:115]
	scratch_store_dwordx2 off, v[112:113], off offset:408
.LBB53_1028:
	s_or_b64 exec, exec, s[2:3]
	scratch_load_dwordx2 v[112:113], off, off offset:416
	v_cmp_gt_u32_e64 s[2:3], 52, v0
	s_waitcnt vmcnt(0)
	ds_write_b64 v1, v[112:113]
	s_waitcnt lgkmcnt(0)
	; wave barrier
	s_and_saveexec_b64 s[4:5], s[2:3]
	s_cbranch_execz .LBB53_1038
; %bb.1029:
	s_and_b64 vcc, exec, s[0:1]
	s_cbranch_vccnz .LBB53_1031
; %bb.1030:
	scratch_load_dwordx2 v[112:113], v17, off
	ds_read_b64 v[114:115], v1
	s_waitcnt vmcnt(0) lgkmcnt(0)
	v_mul_f64 v[112:113], v[112:113], v[114:115]
	s_cbranch_execz .LBB53_1032
	s_branch .LBB53_1033
.LBB53_1031:
                                        ; implicit-def: $vgpr112_vgpr113
.LBB53_1032:
	ds_read_b64 v[112:113], v1
.LBB53_1033:
	v_cmp_ne_u32_e32 vcc, 51, v0
	s_and_saveexec_b64 s[6:7], vcc
	s_cbranch_execz .LBB53_1037
; %bb.1034:
	s_mov_b32 s8, 0
	v_add_u32_e32 v114, 0x1b8, v16
	v_add3_u32 v115, v16, s8, 8
	s_mov_b64 s[8:9], 0
	v_mov_b32_e32 v116, v0
.LBB53_1035:                            ; =>This Inner Loop Header: Depth=1
	scratch_load_dwordx2 v[118:119], v115, off
	ds_read_b64 v[120:121], v114
	v_add_u32_e32 v116, 1, v116
	v_cmp_lt_u32_e32 vcc, 50, v116
	v_add_u32_e32 v114, 8, v114
	v_add_u32_e32 v115, 8, v115
	s_or_b64 s[8:9], vcc, s[8:9]
	s_waitcnt vmcnt(0) lgkmcnt(0)
	v_fmac_f64_e32 v[112:113], v[118:119], v[120:121]
	s_andn2_b64 exec, exec, s[8:9]
	s_cbranch_execnz .LBB53_1035
; %bb.1036:
	s_or_b64 exec, exec, s[8:9]
.LBB53_1037:
	s_or_b64 exec, exec, s[6:7]
	v_mov_b32_e32 v114, 0
	ds_read_b64 v[114:115], v114 offset:416
	s_waitcnt lgkmcnt(0)
	v_mul_f64 v[112:113], v[112:113], v[114:115]
	scratch_store_dwordx2 off, v[112:113], off offset:416
.LBB53_1038:
	s_or_b64 exec, exec, s[4:5]
	scratch_load_dwordx2 v[112:113], off, off offset:424
	v_cmp_ne_u32_e32 vcc, 53, v0
	s_waitcnt vmcnt(0)
	ds_write_b64 v1, v[112:113]
	s_waitcnt lgkmcnt(0)
	; wave barrier
	s_and_saveexec_b64 s[4:5], vcc
	s_cbranch_execz .LBB53_1048
; %bb.1039:
	s_and_b64 vcc, exec, s[0:1]
	s_cbranch_vccnz .LBB53_1041
; %bb.1040:
	scratch_load_dwordx2 v[112:113], v17, off
	ds_read_b64 v[114:115], v1
	s_waitcnt vmcnt(0) lgkmcnt(0)
	v_mul_f64 v[112:113], v[112:113], v[114:115]
	s_cbranch_execz .LBB53_1042
	s_branch .LBB53_1043
.LBB53_1041:
                                        ; implicit-def: $vgpr112_vgpr113
.LBB53_1042:
	ds_read_b64 v[112:113], v1
.LBB53_1043:
	s_and_saveexec_b64 s[0:1], s[2:3]
	s_cbranch_execz .LBB53_1047
; %bb.1044:
	s_mov_b32 s2, 0
	v_add_u32_e32 v1, 0x1b8, v16
	v_add3_u32 v16, v16, s2, 8
	s_mov_b64 s[2:3], 0
.LBB53_1045:                            ; =>This Inner Loop Header: Depth=1
	scratch_load_dwordx2 v[114:115], v16, off
	ds_read_b64 v[116:117], v1
	v_add_u32_e32 v0, 1, v0
	v_cmp_lt_u32_e32 vcc, 51, v0
	v_add_u32_e32 v1, 8, v1
	v_add_u32_e32 v16, 8, v16
	s_or_b64 s[2:3], vcc, s[2:3]
	s_waitcnt vmcnt(0) lgkmcnt(0)
	v_fmac_f64_e32 v[112:113], v[114:115], v[116:117]
	s_andn2_b64 exec, exec, s[2:3]
	s_cbranch_execnz .LBB53_1045
; %bb.1046:
	s_or_b64 exec, exec, s[2:3]
.LBB53_1047:
	s_or_b64 exec, exec, s[0:1]
	v_mov_b32_e32 v0, 0
	ds_read_b64 v[0:1], v0 offset:424
	s_waitcnt lgkmcnt(0)
	v_mul_f64 v[0:1], v[112:113], v[0:1]
	scratch_store_dwordx2 off, v[0:1], off offset:424
.LBB53_1048:
	s_or_b64 exec, exec, s[4:5]
.LBB53_1049:
	scratch_load_dwordx4 v[112:115], off, off
	s_waitcnt vmcnt(0)
	global_store_dwordx2 v[2:3], v[112:113], off
	global_store_dwordx2 v[4:5], v[114:115], off
	scratch_load_dwordx4 v[0:3], off, off offset:16
	s_waitcnt vmcnt(0)
	global_store_dwordx2 v[6:7], v[0:1], off
	global_store_dwordx2 v[8:9], v[2:3], off
	scratch_load_dwordx4 v[0:3], off, off offset:32
	;; [unrolled: 4-line block ×26, first 2 shown]
	s_waitcnt vmcnt(0)
	global_store_dwordx2 v[94:95], v[0:1], off
	global_store_dwordx2 v[98:99], v[2:3], off
.LBB53_1050:
	s_endpgm
	.section	.rodata,"a",@progbits
	.p2align	6, 0x0
	.amdhsa_kernel _ZN9rocsolver6v33100L18trti2_kernel_smallILi54EdPdEEv13rocblas_fill_17rocblas_diagonal_T1_iil
		.amdhsa_group_segment_fixed_size 864
		.amdhsa_private_segment_fixed_size 448
		.amdhsa_kernarg_size 32
		.amdhsa_user_sgpr_count 2
		.amdhsa_user_sgpr_dispatch_ptr 0
		.amdhsa_user_sgpr_queue_ptr 0
		.amdhsa_user_sgpr_kernarg_segment_ptr 1
		.amdhsa_user_sgpr_dispatch_id 0
		.amdhsa_user_sgpr_kernarg_preload_length 0
		.amdhsa_user_sgpr_kernarg_preload_offset 0
		.amdhsa_user_sgpr_private_segment_size 0
		.amdhsa_uses_dynamic_stack 0
		.amdhsa_enable_private_segment 1
		.amdhsa_system_sgpr_workgroup_id_x 1
		.amdhsa_system_sgpr_workgroup_id_y 0
		.amdhsa_system_sgpr_workgroup_id_z 0
		.amdhsa_system_sgpr_workgroup_info 0
		.amdhsa_system_vgpr_workitem_id 0
		.amdhsa_next_free_vgpr 122
		.amdhsa_next_free_sgpr 38
		.amdhsa_accum_offset 124
		.amdhsa_reserve_vcc 1
		.amdhsa_float_round_mode_32 0
		.amdhsa_float_round_mode_16_64 0
		.amdhsa_float_denorm_mode_32 3
		.amdhsa_float_denorm_mode_16_64 3
		.amdhsa_dx10_clamp 1
		.amdhsa_ieee_mode 1
		.amdhsa_fp16_overflow 0
		.amdhsa_tg_split 0
		.amdhsa_exception_fp_ieee_invalid_op 0
		.amdhsa_exception_fp_denorm_src 0
		.amdhsa_exception_fp_ieee_div_zero 0
		.amdhsa_exception_fp_ieee_overflow 0
		.amdhsa_exception_fp_ieee_underflow 0
		.amdhsa_exception_fp_ieee_inexact 0
		.amdhsa_exception_int_div_zero 0
	.end_amdhsa_kernel
	.section	.text._ZN9rocsolver6v33100L18trti2_kernel_smallILi54EdPdEEv13rocblas_fill_17rocblas_diagonal_T1_iil,"axG",@progbits,_ZN9rocsolver6v33100L18trti2_kernel_smallILi54EdPdEEv13rocblas_fill_17rocblas_diagonal_T1_iil,comdat
.Lfunc_end53:
	.size	_ZN9rocsolver6v33100L18trti2_kernel_smallILi54EdPdEEv13rocblas_fill_17rocblas_diagonal_T1_iil, .Lfunc_end53-_ZN9rocsolver6v33100L18trti2_kernel_smallILi54EdPdEEv13rocblas_fill_17rocblas_diagonal_T1_iil
                                        ; -- End function
	.set _ZN9rocsolver6v33100L18trti2_kernel_smallILi54EdPdEEv13rocblas_fill_17rocblas_diagonal_T1_iil.num_vgpr, 122
	.set _ZN9rocsolver6v33100L18trti2_kernel_smallILi54EdPdEEv13rocblas_fill_17rocblas_diagonal_T1_iil.num_agpr, 0
	.set _ZN9rocsolver6v33100L18trti2_kernel_smallILi54EdPdEEv13rocblas_fill_17rocblas_diagonal_T1_iil.numbered_sgpr, 38
	.set _ZN9rocsolver6v33100L18trti2_kernel_smallILi54EdPdEEv13rocblas_fill_17rocblas_diagonal_T1_iil.num_named_barrier, 0
	.set _ZN9rocsolver6v33100L18trti2_kernel_smallILi54EdPdEEv13rocblas_fill_17rocblas_diagonal_T1_iil.private_seg_size, 448
	.set _ZN9rocsolver6v33100L18trti2_kernel_smallILi54EdPdEEv13rocblas_fill_17rocblas_diagonal_T1_iil.uses_vcc, 1
	.set _ZN9rocsolver6v33100L18trti2_kernel_smallILi54EdPdEEv13rocblas_fill_17rocblas_diagonal_T1_iil.uses_flat_scratch, 0
	.set _ZN9rocsolver6v33100L18trti2_kernel_smallILi54EdPdEEv13rocblas_fill_17rocblas_diagonal_T1_iil.has_dyn_sized_stack, 0
	.set _ZN9rocsolver6v33100L18trti2_kernel_smallILi54EdPdEEv13rocblas_fill_17rocblas_diagonal_T1_iil.has_recursion, 0
	.set _ZN9rocsolver6v33100L18trti2_kernel_smallILi54EdPdEEv13rocblas_fill_17rocblas_diagonal_T1_iil.has_indirect_call, 0
	.section	.AMDGPU.csdata,"",@progbits
; Kernel info:
; codeLenInByte = 25760
; TotalNumSgprs: 44
; NumVgprs: 122
; NumAgprs: 0
; TotalNumVgprs: 122
; ScratchSize: 448
; MemoryBound: 0
; FloatMode: 240
; IeeeMode: 1
; LDSByteSize: 864 bytes/workgroup (compile time only)
; SGPRBlocks: 5
; VGPRBlocks: 15
; NumSGPRsForWavesPerEU: 44
; NumVGPRsForWavesPerEU: 122
; AccumOffset: 124
; Occupancy: 4
; WaveLimiterHint : 0
; COMPUTE_PGM_RSRC2:SCRATCH_EN: 1
; COMPUTE_PGM_RSRC2:USER_SGPR: 2
; COMPUTE_PGM_RSRC2:TRAP_HANDLER: 0
; COMPUTE_PGM_RSRC2:TGID_X_EN: 1
; COMPUTE_PGM_RSRC2:TGID_Y_EN: 0
; COMPUTE_PGM_RSRC2:TGID_Z_EN: 0
; COMPUTE_PGM_RSRC2:TIDIG_COMP_CNT: 0
; COMPUTE_PGM_RSRC3_GFX90A:ACCUM_OFFSET: 30
; COMPUTE_PGM_RSRC3_GFX90A:TG_SPLIT: 0
	.section	.text._ZN9rocsolver6v33100L18trti2_kernel_smallILi55EdPdEEv13rocblas_fill_17rocblas_diagonal_T1_iil,"axG",@progbits,_ZN9rocsolver6v33100L18trti2_kernel_smallILi55EdPdEEv13rocblas_fill_17rocblas_diagonal_T1_iil,comdat
	.globl	_ZN9rocsolver6v33100L18trti2_kernel_smallILi55EdPdEEv13rocblas_fill_17rocblas_diagonal_T1_iil ; -- Begin function _ZN9rocsolver6v33100L18trti2_kernel_smallILi55EdPdEEv13rocblas_fill_17rocblas_diagonal_T1_iil
	.p2align	8
	.type	_ZN9rocsolver6v33100L18trti2_kernel_smallILi55EdPdEEv13rocblas_fill_17rocblas_diagonal_T1_iil,@function
_ZN9rocsolver6v33100L18trti2_kernel_smallILi55EdPdEEv13rocblas_fill_17rocblas_diagonal_T1_iil: ; @_ZN9rocsolver6v33100L18trti2_kernel_smallILi55EdPdEEv13rocblas_fill_17rocblas_diagonal_T1_iil
; %bb.0:
	v_cmp_gt_u32_e32 vcc, 55, v0
	s_and_saveexec_b64 s[4:5], vcc
	s_cbranch_execz .LBB54_1070
; %bb.1:
	s_load_dwordx8 s[4:11], s[0:1], 0x0
	s_ashr_i32 s3, s2, 31
	v_lshlrev_b32_e32 v10, 3, v0
	v_mov_b32_e32 v11, 0
	s_waitcnt lgkmcnt(0)
	s_ashr_i32 s1, s8, 31
	s_mov_b32 s0, s8
	s_mul_hi_u32 s8, s10, s2
	s_mul_i32 s3, s10, s3
	s_add_i32 s3, s8, s3
	s_mul_i32 s8, s11, s2
	s_add_i32 s3, s3, s8
	s_mul_i32 s2, s10, s2
	s_lshl_b64 s[2:3], s[2:3], 3
	s_add_u32 s2, s6, s2
	s_addc_u32 s3, s7, s3
	s_lshl_b64 s[0:1], s[0:1], 3
	s_add_u32 s0, s2, s0
	s_addc_u32 s1, s3, s1
	v_lshl_add_u64 v[2:3], s[0:1], 0, v[10:11]
	s_ashr_i32 s3, s9, 31
	s_mov_b32 s2, s9
	v_lshl_add_u64 v[4:5], s[2:3], 3, v[2:3]
	global_load_dwordx2 v[6:7], v10, s[0:1]
	global_load_dwordx2 v[8:9], v[4:5], off
	s_add_i32 s2, s9, s9
	s_cmpk_lg_i32 s5, 0x84
	s_cselect_b64 s[6:7], -1, 0
	s_cmpk_eq_i32 s5, 0x84
	s_waitcnt vmcnt(0)
	scratch_store_dwordx4 off, v[6:9], off
	s_nop 1
	v_add_u32_e32 v8, s2, v0
	v_add_u32_e32 v12, s9, v8
	v_ashrrev_i32_e32 v9, 31, v8
	v_ashrrev_i32_e32 v13, 31, v12
	v_lshl_add_u64 v[6:7], v[8:9], 3, s[0:1]
	v_lshl_add_u64 v[8:9], v[12:13], 3, s[0:1]
	global_load_dwordx2 v[14:15], v[6:7], off
	global_load_dwordx2 v[16:17], v[8:9], off
	s_waitcnt vmcnt(0)
	scratch_store_dwordx4 off, v[14:17], off offset:16
	s_nop 1
	v_add_u32_e32 v14, s9, v12
	v_add_u32_e32 v16, s9, v14
	v_ashrrev_i32_e32 v15, 31, v14
	v_ashrrev_i32_e32 v17, 31, v16
	v_lshl_add_u64 v[12:13], v[14:15], 3, s[0:1]
	v_lshl_add_u64 v[14:15], v[16:17], 3, s[0:1]
	global_load_dwordx2 v[18:19], v[12:13], off
	global_load_dwordx2 v[20:21], v[14:15], off
	s_waitcnt vmcnt(0)
	scratch_store_dwordx4 off, v[18:21], off offset:32
	;; [unrolled: 11-line block ×24, first 2 shown]
	s_nop 1
	v_add_u32_e32 v106, s9, v104
	v_ashrrev_i32_e32 v107, 31, v106
	v_lshl_add_u64 v[104:105], v[106:107], 3, s[0:1]
	v_add_u32_e32 v106, s9, v106
	v_ashrrev_i32_e32 v107, 31, v106
	v_lshl_add_u64 v[108:109], v[106:107], 3, s[0:1]
	global_load_dwordx2 v[110:111], v[104:105], off
	global_load_dwordx2 v[112:113], v[108:109], off
	v_add_u32_e32 v106, s9, v106
	v_ashrrev_i32_e32 v107, 31, v106
	s_waitcnt vmcnt(0)
	scratch_store_dwordx4 off, v[110:113], off offset:400
	s_nop 1
	v_lshl_add_u64 v[110:111], v[106:107], 3, s[0:1]
	v_add_u32_e32 v106, s9, v106
	v_ashrrev_i32_e32 v107, 31, v106
	v_lshl_add_u64 v[112:113], v[106:107], 3, s[0:1]
	global_load_dwordx2 v[114:115], v[110:111], off
	global_load_dwordx2 v[116:117], v[112:113], off
	v_add_u32_e32 v106, s9, v106
	v_ashrrev_i32_e32 v107, 31, v106
	v_lshl_add_u64 v[106:107], v[106:107], 3, s[0:1]
	s_waitcnt vmcnt(0)
	scratch_store_dwordx4 off, v[114:117], off offset:416
	global_load_dwordx2 v[114:115], v[106:107], off
	s_waitcnt vmcnt(0)
	scratch_store_dwordx2 off, v[114:115], off offset:432
	v_mov_b64_e32 v[114:115], -1.0
	s_cbranch_scc1 .LBB54_3
; %bb.2:
	scratch_load_dwordx2 v[114:115], v10, off
	s_waitcnt vmcnt(0)
	v_div_scale_f64 v[116:117], s[0:1], v[114:115], v[114:115], 1.0
	v_rcp_f64_e32 v[118:119], v[116:117]
	v_div_scale_f64 v[120:121], vcc, 1.0, v[114:115], 1.0
	v_fma_f64 v[122:123], -v[116:117], v[118:119], 1.0
	v_fmac_f64_e32 v[118:119], v[118:119], v[122:123]
	v_fma_f64 v[122:123], -v[116:117], v[118:119], 1.0
	v_fmac_f64_e32 v[118:119], v[118:119], v[122:123]
	v_mul_f64 v[122:123], v[120:121], v[118:119]
	v_fma_f64 v[116:117], -v[116:117], v[122:123], v[120:121]
	v_div_fmas_f64 v[116:117], v[116:117], v[118:119], v[122:123]
	v_div_fixup_f64 v[114:115], v[116:117], v[114:115], 1.0
	scratch_store_dwordx2 v10, v[114:115], off
	v_xor_b32_e32 v115, 0x80000000, v115
.LBB54_3:
	s_cmpk_eq_i32 s4, 0x79
	v_add_u32_e32 v1, 0x1c0, v10
	v_mov_b32_e32 v11, v10
	s_mov_b64 s[0:1], -1
	ds_write_b64 v10, v[114:115]
	s_cbranch_scc1 .LBB54_537
; %bb.4:
	scratch_load_dwordx2 v[114:115], off, off offset:424
	s_movk_i32 s8, 0x50
	s_movk_i32 s9, 0x60
	;; [unrolled: 1-line block ×22, first 2 shown]
	v_cmp_eq_u32_e64 s[0:1], 54, v0
	s_waitcnt vmcnt(0)
	ds_write_b64 v1, v[114:115]
	s_waitcnt lgkmcnt(0)
	; wave barrier
	s_and_saveexec_b64 s[2:3], s[0:1]
	s_cbranch_execz .LBB54_10
; %bb.5:
	s_and_b64 vcc, exec, s[6:7]
	s_cbranch_vccz .LBB54_7
; %bb.6:
	scratch_load_dwordx2 v[114:115], v11, off
	ds_read_b64 v[116:117], v1
	s_waitcnt vmcnt(0) lgkmcnt(0)
	v_mul_f64 v[114:115], v[114:115], v[116:117]
	s_cbranch_execz .LBB54_8
	s_branch .LBB54_9
.LBB54_7:
                                        ; implicit-def: $vgpr114_vgpr115
.LBB54_8:
	ds_read_b64 v[114:115], v1
.LBB54_9:
	v_mov_b32_e32 v116, 0
	ds_read_b64 v[116:117], v116 offset:424
	s_waitcnt lgkmcnt(0)
	v_mul_f64 v[114:115], v[114:115], v[116:117]
	scratch_store_dwordx2 off, v[114:115], off offset:424
.LBB54_10:
	s_or_b64 exec, exec, s[2:3]
	scratch_load_dwordx2 v[114:115], off, off offset:416
	s_mov_b32 s10, 16
	s_mov_b32 s11, 32
	;; [unrolled: 1-line block ×6, first 2 shown]
	v_cmp_lt_u32_e64 s[4:5], 52, v0
	s_waitcnt vmcnt(0)
	ds_write_b64 v1, v[114:115]
	s_waitcnt lgkmcnt(0)
	; wave barrier
	s_and_saveexec_b64 s[2:3], s[4:5]
	s_cbranch_execz .LBB54_16
; %bb.11:
	s_andn2_b64 vcc, exec, s[6:7]
	s_cbranch_vccnz .LBB54_13
; %bb.12:
	scratch_load_dwordx2 v[114:115], v11, off
	ds_read_b64 v[116:117], v1
	s_waitcnt vmcnt(0) lgkmcnt(0)
	v_mul_f64 v[114:115], v[114:115], v[116:117]
	s_cbranch_execz .LBB54_14
	s_branch .LBB54_15
.LBB54_13:
                                        ; implicit-def: $vgpr114_vgpr115
.LBB54_14:
	ds_read_b64 v[114:115], v1
.LBB54_15:
	scratch_load_dwordx2 v[120:121], off, off offset:424
	v_mov_b32_e32 v116, 0
	ds_read2_b64 v[116:119], v116 offset0:52 offset1:109
	s_waitcnt vmcnt(0) lgkmcnt(0)
	v_fma_f64 v[118:119], v[120:121], v[118:119], v[114:115]
	v_cndmask_b32_e64 v115, v115, v119, s[0:1]
	v_cndmask_b32_e64 v114, v114, v118, s[0:1]
	v_mul_f64 v[114:115], v[114:115], v[116:117]
	scratch_store_dwordx2 off, v[114:115], off offset:416
.LBB54_16:
	s_or_b64 exec, exec, s[2:3]
	scratch_load_dwordx2 v[114:115], off, off offset:408
	v_cmp_lt_u32_e64 s[2:3], 51, v0
	s_waitcnt vmcnt(0)
	ds_write_b64 v1, v[114:115]
	s_waitcnt lgkmcnt(0)
	; wave barrier
	s_and_saveexec_b64 s[0:1], s[2:3]
	s_cbranch_execz .LBB54_26
; %bb.17:
	s_andn2_b64 vcc, exec, s[6:7]
	s_cbranch_vccnz .LBB54_19
; %bb.18:
	scratch_load_dwordx2 v[114:115], v11, off
	ds_read_b64 v[116:117], v1
	s_waitcnt vmcnt(0) lgkmcnt(0)
	v_mul_f64 v[114:115], v[114:115], v[116:117]
	s_cbranch_execz .LBB54_20
	s_branch .LBB54_21
.LBB54_19:
                                        ; implicit-def: $vgpr114_vgpr115
.LBB54_20:
	ds_read_b64 v[114:115], v1
.LBB54_21:
	s_and_saveexec_b64 s[8:9], s[4:5]
	s_cbranch_execz .LBB54_25
; %bb.22:
	v_subrev_u32_e32 v116, 52, v0
	s_movk_i32 s37, 0x360
	s_mov_b64 s[4:5], 0
.LBB54_23:                              ; =>This Inner Loop Header: Depth=1
	scratch_load_dwordx2 v[118:119], off, s36
	v_mov_b32_e32 v117, s37
	ds_read_b64 v[120:121], v117
	v_add_u32_e32 v116, -1, v116
	s_add_i32 s37, s37, 8
	s_add_i32 s36, s36, 8
	v_cmp_eq_u32_e32 vcc, 0, v116
	s_or_b64 s[4:5], vcc, s[4:5]
	s_waitcnt vmcnt(0) lgkmcnt(0)
	v_fmac_f64_e32 v[114:115], v[118:119], v[120:121]
	s_andn2_b64 exec, exec, s[4:5]
	s_cbranch_execnz .LBB54_23
; %bb.24:
	s_or_b64 exec, exec, s[4:5]
.LBB54_25:
	s_or_b64 exec, exec, s[8:9]
	v_mov_b32_e32 v116, 0
	ds_read_b64 v[116:117], v116 offset:408
	s_waitcnt lgkmcnt(0)
	v_mul_f64 v[114:115], v[114:115], v[116:117]
	scratch_store_dwordx2 off, v[114:115], off offset:408
.LBB54_26:
	s_or_b64 exec, exec, s[0:1]
	scratch_load_dwordx2 v[114:115], off, off offset:400
	v_cmp_lt_u32_e64 s[0:1], 50, v0
	s_waitcnt vmcnt(0)
	ds_write_b64 v1, v[114:115]
	s_waitcnt lgkmcnt(0)
	; wave barrier
	s_and_saveexec_b64 s[4:5], s[0:1]
	s_cbranch_execz .LBB54_36
; %bb.27:
	s_andn2_b64 vcc, exec, s[6:7]
	s_cbranch_vccnz .LBB54_29
; %bb.28:
	scratch_load_dwordx2 v[114:115], v11, off
	ds_read_b64 v[116:117], v1
	s_waitcnt vmcnt(0) lgkmcnt(0)
	v_mul_f64 v[114:115], v[114:115], v[116:117]
	s_cbranch_execz .LBB54_30
	s_branch .LBB54_31
.LBB54_29:
                                        ; implicit-def: $vgpr114_vgpr115
.LBB54_30:
	ds_read_b64 v[114:115], v1
.LBB54_31:
	s_and_saveexec_b64 s[8:9], s[2:3]
	s_cbranch_execz .LBB54_35
; %bb.32:
	s_movk_i32 s36, 0x198
	v_subrev_u32_e32 v116, 51, v0
	s_movk_i32 s37, 0x358
	s_mov_b64 s[2:3], 0
.LBB54_33:                              ; =>This Inner Loop Header: Depth=1
	scratch_load_dwordx2 v[118:119], off, s36
	v_mov_b32_e32 v117, s37
	ds_read_b64 v[120:121], v117
	v_add_u32_e32 v116, -1, v116
	s_add_i32 s37, s37, 8
	s_add_i32 s36, s36, 8
	v_cmp_eq_u32_e32 vcc, 0, v116
	s_or_b64 s[2:3], vcc, s[2:3]
	s_waitcnt vmcnt(0) lgkmcnt(0)
	v_fmac_f64_e32 v[114:115], v[118:119], v[120:121]
	s_andn2_b64 exec, exec, s[2:3]
	s_cbranch_execnz .LBB54_33
; %bb.34:
	s_or_b64 exec, exec, s[2:3]
.LBB54_35:
	s_or_b64 exec, exec, s[8:9]
	v_mov_b32_e32 v116, 0
	ds_read_b64 v[116:117], v116 offset:400
	s_waitcnt lgkmcnt(0)
	v_mul_f64 v[114:115], v[114:115], v[116:117]
	scratch_store_dwordx2 off, v[114:115], off offset:400
.LBB54_36:
	s_or_b64 exec, exec, s[4:5]
	scratch_load_dwordx2 v[114:115], off, off offset:392
	v_cmp_lt_u32_e64 s[2:3], 49, v0
	s_waitcnt vmcnt(0)
	ds_write_b64 v1, v[114:115]
	s_waitcnt lgkmcnt(0)
	; wave barrier
	s_and_saveexec_b64 s[4:5], s[2:3]
	s_cbranch_execz .LBB54_46
; %bb.37:
	s_andn2_b64 vcc, exec, s[6:7]
	s_cbranch_vccnz .LBB54_39
; %bb.38:
	scratch_load_dwordx2 v[114:115], v11, off
	ds_read_b64 v[116:117], v1
	s_waitcnt vmcnt(0) lgkmcnt(0)
	v_mul_f64 v[114:115], v[114:115], v[116:117]
	s_cbranch_execz .LBB54_40
	s_branch .LBB54_41
.LBB54_39:
                                        ; implicit-def: $vgpr114_vgpr115
.LBB54_40:
	ds_read_b64 v[114:115], v1
.LBB54_41:
	s_and_saveexec_b64 s[8:9], s[0:1]
	s_cbranch_execz .LBB54_45
; %bb.42:
	v_subrev_u32_e32 v116, 50, v0
	s_movk_i32 s36, 0x350
	s_mov_b64 s[0:1], 0
.LBB54_43:                              ; =>This Inner Loop Header: Depth=1
	scratch_load_dwordx2 v[118:119], off, s35
	v_mov_b32_e32 v117, s36
	ds_read_b64 v[120:121], v117
	v_add_u32_e32 v116, -1, v116
	s_add_i32 s36, s36, 8
	s_add_i32 s35, s35, 8
	v_cmp_eq_u32_e32 vcc, 0, v116
	s_or_b64 s[0:1], vcc, s[0:1]
	s_waitcnt vmcnt(0) lgkmcnt(0)
	v_fmac_f64_e32 v[114:115], v[118:119], v[120:121]
	s_andn2_b64 exec, exec, s[0:1]
	s_cbranch_execnz .LBB54_43
; %bb.44:
	s_or_b64 exec, exec, s[0:1]
.LBB54_45:
	s_or_b64 exec, exec, s[8:9]
	v_mov_b32_e32 v116, 0
	ds_read_b64 v[116:117], v116 offset:392
	s_waitcnt lgkmcnt(0)
	v_mul_f64 v[114:115], v[114:115], v[116:117]
	scratch_store_dwordx2 off, v[114:115], off offset:392
.LBB54_46:
	s_or_b64 exec, exec, s[4:5]
	scratch_load_dwordx2 v[114:115], off, off offset:384
	v_cmp_lt_u32_e64 s[0:1], 48, v0
	s_waitcnt vmcnt(0)
	ds_write_b64 v1, v[114:115]
	s_waitcnt lgkmcnt(0)
	; wave barrier
	s_and_saveexec_b64 s[4:5], s[0:1]
	s_cbranch_execz .LBB54_56
; %bb.47:
	s_andn2_b64 vcc, exec, s[6:7]
	s_cbranch_vccnz .LBB54_49
; %bb.48:
	scratch_load_dwordx2 v[114:115], v11, off
	ds_read_b64 v[116:117], v1
	s_waitcnt vmcnt(0) lgkmcnt(0)
	v_mul_f64 v[114:115], v[114:115], v[116:117]
	s_cbranch_execz .LBB54_50
	s_branch .LBB54_51
.LBB54_49:
                                        ; implicit-def: $vgpr114_vgpr115
.LBB54_50:
	ds_read_b64 v[114:115], v1
.LBB54_51:
	s_and_saveexec_b64 s[8:9], s[2:3]
	s_cbranch_execz .LBB54_55
; %bb.52:
	s_movk_i32 s35, 0x188
	v_subrev_u32_e32 v116, 49, v0
	s_movk_i32 s36, 0x348
	s_mov_b64 s[2:3], 0
.LBB54_53:                              ; =>This Inner Loop Header: Depth=1
	scratch_load_dwordx2 v[118:119], off, s35
	v_mov_b32_e32 v117, s36
	ds_read_b64 v[120:121], v117
	v_add_u32_e32 v116, -1, v116
	s_add_i32 s36, s36, 8
	s_add_i32 s35, s35, 8
	v_cmp_eq_u32_e32 vcc, 0, v116
	s_or_b64 s[2:3], vcc, s[2:3]
	s_waitcnt vmcnt(0) lgkmcnt(0)
	v_fmac_f64_e32 v[114:115], v[118:119], v[120:121]
	s_andn2_b64 exec, exec, s[2:3]
	s_cbranch_execnz .LBB54_53
; %bb.54:
	s_or_b64 exec, exec, s[2:3]
.LBB54_55:
	s_or_b64 exec, exec, s[8:9]
	v_mov_b32_e32 v116, 0
	ds_read_b64 v[116:117], v116 offset:384
	s_waitcnt lgkmcnt(0)
	v_mul_f64 v[114:115], v[114:115], v[116:117]
	scratch_store_dwordx2 off, v[114:115], off offset:384
.LBB54_56:
	s_or_b64 exec, exec, s[4:5]
	scratch_load_dwordx2 v[114:115], off, off offset:376
	v_cmp_lt_u32_e64 s[2:3], 47, v0
	s_waitcnt vmcnt(0)
	ds_write_b64 v1, v[114:115]
	s_waitcnt lgkmcnt(0)
	; wave barrier
	s_and_saveexec_b64 s[4:5], s[2:3]
	s_cbranch_execz .LBB54_66
; %bb.57:
	s_andn2_b64 vcc, exec, s[6:7]
	s_cbranch_vccnz .LBB54_59
; %bb.58:
	scratch_load_dwordx2 v[114:115], v11, off
	ds_read_b64 v[116:117], v1
	s_waitcnt vmcnt(0) lgkmcnt(0)
	v_mul_f64 v[114:115], v[114:115], v[116:117]
	s_cbranch_execz .LBB54_60
	s_branch .LBB54_61
.LBB54_59:
                                        ; implicit-def: $vgpr114_vgpr115
.LBB54_60:
	ds_read_b64 v[114:115], v1
.LBB54_61:
	s_and_saveexec_b64 s[8:9], s[0:1]
	s_cbranch_execz .LBB54_65
; %bb.62:
	v_subrev_u32_e32 v116, 48, v0
	s_movk_i32 s35, 0x340
	s_mov_b64 s[0:1], 0
.LBB54_63:                              ; =>This Inner Loop Header: Depth=1
	scratch_load_dwordx2 v[118:119], off, s34
	v_mov_b32_e32 v117, s35
	ds_read_b64 v[120:121], v117
	v_add_u32_e32 v116, -1, v116
	s_add_i32 s35, s35, 8
	s_add_i32 s34, s34, 8
	v_cmp_eq_u32_e32 vcc, 0, v116
	s_or_b64 s[0:1], vcc, s[0:1]
	s_waitcnt vmcnt(0) lgkmcnt(0)
	v_fmac_f64_e32 v[114:115], v[118:119], v[120:121]
	s_andn2_b64 exec, exec, s[0:1]
	s_cbranch_execnz .LBB54_63
; %bb.64:
	s_or_b64 exec, exec, s[0:1]
.LBB54_65:
	s_or_b64 exec, exec, s[8:9]
	v_mov_b32_e32 v116, 0
	ds_read_b64 v[116:117], v116 offset:376
	s_waitcnt lgkmcnt(0)
	v_mul_f64 v[114:115], v[114:115], v[116:117]
	scratch_store_dwordx2 off, v[114:115], off offset:376
.LBB54_66:
	s_or_b64 exec, exec, s[4:5]
	scratch_load_dwordx2 v[114:115], off, off offset:368
	v_cmp_lt_u32_e64 s[0:1], 46, v0
	s_waitcnt vmcnt(0)
	ds_write_b64 v1, v[114:115]
	s_waitcnt lgkmcnt(0)
	; wave barrier
	s_and_saveexec_b64 s[4:5], s[0:1]
	s_cbranch_execz .LBB54_76
; %bb.67:
	s_andn2_b64 vcc, exec, s[6:7]
	s_cbranch_vccnz .LBB54_69
; %bb.68:
	scratch_load_dwordx2 v[114:115], v11, off
	ds_read_b64 v[116:117], v1
	s_waitcnt vmcnt(0) lgkmcnt(0)
	v_mul_f64 v[114:115], v[114:115], v[116:117]
	s_cbranch_execz .LBB54_70
	s_branch .LBB54_71
.LBB54_69:
                                        ; implicit-def: $vgpr114_vgpr115
.LBB54_70:
	ds_read_b64 v[114:115], v1
.LBB54_71:
	s_and_saveexec_b64 s[8:9], s[2:3]
	s_cbranch_execz .LBB54_75
; %bb.72:
	s_movk_i32 s34, 0x178
	v_subrev_u32_e32 v116, 47, v0
	s_movk_i32 s35, 0x338
	s_mov_b64 s[2:3], 0
.LBB54_73:                              ; =>This Inner Loop Header: Depth=1
	scratch_load_dwordx2 v[118:119], off, s34
	v_mov_b32_e32 v117, s35
	ds_read_b64 v[120:121], v117
	v_add_u32_e32 v116, -1, v116
	s_add_i32 s35, s35, 8
	s_add_i32 s34, s34, 8
	v_cmp_eq_u32_e32 vcc, 0, v116
	s_or_b64 s[2:3], vcc, s[2:3]
	s_waitcnt vmcnt(0) lgkmcnt(0)
	v_fmac_f64_e32 v[114:115], v[118:119], v[120:121]
	s_andn2_b64 exec, exec, s[2:3]
	s_cbranch_execnz .LBB54_73
; %bb.74:
	s_or_b64 exec, exec, s[2:3]
.LBB54_75:
	s_or_b64 exec, exec, s[8:9]
	v_mov_b32_e32 v116, 0
	ds_read_b64 v[116:117], v116 offset:368
	s_waitcnt lgkmcnt(0)
	v_mul_f64 v[114:115], v[114:115], v[116:117]
	scratch_store_dwordx2 off, v[114:115], off offset:368
.LBB54_76:
	s_or_b64 exec, exec, s[4:5]
	scratch_load_dwordx2 v[114:115], off, off offset:360
	v_cmp_lt_u32_e64 s[2:3], 45, v0
	s_waitcnt vmcnt(0)
	ds_write_b64 v1, v[114:115]
	s_waitcnt lgkmcnt(0)
	; wave barrier
	s_and_saveexec_b64 s[4:5], s[2:3]
	s_cbranch_execz .LBB54_86
; %bb.77:
	s_andn2_b64 vcc, exec, s[6:7]
	s_cbranch_vccnz .LBB54_79
; %bb.78:
	scratch_load_dwordx2 v[114:115], v11, off
	ds_read_b64 v[116:117], v1
	s_waitcnt vmcnt(0) lgkmcnt(0)
	v_mul_f64 v[114:115], v[114:115], v[116:117]
	s_cbranch_execz .LBB54_80
	s_branch .LBB54_81
.LBB54_79:
                                        ; implicit-def: $vgpr114_vgpr115
.LBB54_80:
	ds_read_b64 v[114:115], v1
.LBB54_81:
	s_and_saveexec_b64 s[8:9], s[0:1]
	s_cbranch_execz .LBB54_85
; %bb.82:
	v_subrev_u32_e32 v116, 46, v0
	s_movk_i32 s34, 0x330
	s_mov_b64 s[0:1], 0
.LBB54_83:                              ; =>This Inner Loop Header: Depth=1
	scratch_load_dwordx2 v[118:119], off, s33
	v_mov_b32_e32 v117, s34
	ds_read_b64 v[120:121], v117
	v_add_u32_e32 v116, -1, v116
	s_add_i32 s34, s34, 8
	s_add_i32 s33, s33, 8
	v_cmp_eq_u32_e32 vcc, 0, v116
	s_or_b64 s[0:1], vcc, s[0:1]
	s_waitcnt vmcnt(0) lgkmcnt(0)
	v_fmac_f64_e32 v[114:115], v[118:119], v[120:121]
	s_andn2_b64 exec, exec, s[0:1]
	s_cbranch_execnz .LBB54_83
; %bb.84:
	s_or_b64 exec, exec, s[0:1]
.LBB54_85:
	s_or_b64 exec, exec, s[8:9]
	v_mov_b32_e32 v116, 0
	ds_read_b64 v[116:117], v116 offset:360
	s_waitcnt lgkmcnt(0)
	v_mul_f64 v[114:115], v[114:115], v[116:117]
	scratch_store_dwordx2 off, v[114:115], off offset:360
.LBB54_86:
	s_or_b64 exec, exec, s[4:5]
	scratch_load_dwordx2 v[114:115], off, off offset:352
	v_cmp_lt_u32_e64 s[0:1], 44, v0
	s_waitcnt vmcnt(0)
	ds_write_b64 v1, v[114:115]
	s_waitcnt lgkmcnt(0)
	; wave barrier
	s_and_saveexec_b64 s[4:5], s[0:1]
	s_cbranch_execz .LBB54_96
; %bb.87:
	s_andn2_b64 vcc, exec, s[6:7]
	s_cbranch_vccnz .LBB54_89
; %bb.88:
	scratch_load_dwordx2 v[114:115], v11, off
	ds_read_b64 v[116:117], v1
	s_waitcnt vmcnt(0) lgkmcnt(0)
	v_mul_f64 v[114:115], v[114:115], v[116:117]
	s_cbranch_execz .LBB54_90
	s_branch .LBB54_91
.LBB54_89:
                                        ; implicit-def: $vgpr114_vgpr115
.LBB54_90:
	ds_read_b64 v[114:115], v1
.LBB54_91:
	s_and_saveexec_b64 s[8:9], s[2:3]
	s_cbranch_execz .LBB54_95
; %bb.92:
	s_movk_i32 s33, 0x168
	v_subrev_u32_e32 v116, 45, v0
	s_movk_i32 s34, 0x328
	s_mov_b64 s[2:3], 0
.LBB54_93:                              ; =>This Inner Loop Header: Depth=1
	scratch_load_dwordx2 v[118:119], off, s33
	v_mov_b32_e32 v117, s34
	ds_read_b64 v[120:121], v117
	v_add_u32_e32 v116, -1, v116
	s_add_i32 s34, s34, 8
	s_add_i32 s33, s33, 8
	v_cmp_eq_u32_e32 vcc, 0, v116
	s_or_b64 s[2:3], vcc, s[2:3]
	s_waitcnt vmcnt(0) lgkmcnt(0)
	v_fmac_f64_e32 v[114:115], v[118:119], v[120:121]
	s_andn2_b64 exec, exec, s[2:3]
	s_cbranch_execnz .LBB54_93
; %bb.94:
	s_or_b64 exec, exec, s[2:3]
.LBB54_95:
	s_or_b64 exec, exec, s[8:9]
	v_mov_b32_e32 v116, 0
	ds_read_b64 v[116:117], v116 offset:352
	s_waitcnt lgkmcnt(0)
	v_mul_f64 v[114:115], v[114:115], v[116:117]
	scratch_store_dwordx2 off, v[114:115], off offset:352
.LBB54_96:
	s_or_b64 exec, exec, s[4:5]
	scratch_load_dwordx2 v[114:115], off, off offset:344
	v_cmp_lt_u32_e64 s[2:3], 43, v0
	s_waitcnt vmcnt(0)
	ds_write_b64 v1, v[114:115]
	s_waitcnt lgkmcnt(0)
	; wave barrier
	s_and_saveexec_b64 s[4:5], s[2:3]
	s_cbranch_execz .LBB54_106
; %bb.97:
	s_andn2_b64 vcc, exec, s[6:7]
	s_cbranch_vccnz .LBB54_99
; %bb.98:
	scratch_load_dwordx2 v[114:115], v11, off
	ds_read_b64 v[116:117], v1
	s_waitcnt vmcnt(0) lgkmcnt(0)
	v_mul_f64 v[114:115], v[114:115], v[116:117]
	s_cbranch_execz .LBB54_100
	s_branch .LBB54_101
.LBB54_99:
                                        ; implicit-def: $vgpr114_vgpr115
.LBB54_100:
	ds_read_b64 v[114:115], v1
.LBB54_101:
	s_and_saveexec_b64 s[8:9], s[0:1]
	s_cbranch_execz .LBB54_105
; %bb.102:
	v_subrev_u32_e32 v116, 44, v0
	s_movk_i32 s33, 0x320
	s_mov_b64 s[0:1], 0
.LBB54_103:                             ; =>This Inner Loop Header: Depth=1
	scratch_load_dwordx2 v[118:119], off, s31
	v_mov_b32_e32 v117, s33
	ds_read_b64 v[120:121], v117
	v_add_u32_e32 v116, -1, v116
	s_add_i32 s33, s33, 8
	s_add_i32 s31, s31, 8
	v_cmp_eq_u32_e32 vcc, 0, v116
	s_or_b64 s[0:1], vcc, s[0:1]
	s_waitcnt vmcnt(0) lgkmcnt(0)
	v_fmac_f64_e32 v[114:115], v[118:119], v[120:121]
	s_andn2_b64 exec, exec, s[0:1]
	s_cbranch_execnz .LBB54_103
; %bb.104:
	s_or_b64 exec, exec, s[0:1]
.LBB54_105:
	s_or_b64 exec, exec, s[8:9]
	v_mov_b32_e32 v116, 0
	ds_read_b64 v[116:117], v116 offset:344
	s_waitcnt lgkmcnt(0)
	v_mul_f64 v[114:115], v[114:115], v[116:117]
	scratch_store_dwordx2 off, v[114:115], off offset:344
.LBB54_106:
	s_or_b64 exec, exec, s[4:5]
	scratch_load_dwordx2 v[114:115], off, off offset:336
	v_cmp_lt_u32_e64 s[0:1], 42, v0
	s_waitcnt vmcnt(0)
	ds_write_b64 v1, v[114:115]
	s_waitcnt lgkmcnt(0)
	; wave barrier
	s_and_saveexec_b64 s[4:5], s[0:1]
	s_cbranch_execz .LBB54_116
; %bb.107:
	s_andn2_b64 vcc, exec, s[6:7]
	s_cbranch_vccnz .LBB54_109
; %bb.108:
	scratch_load_dwordx2 v[114:115], v11, off
	ds_read_b64 v[116:117], v1
	s_waitcnt vmcnt(0) lgkmcnt(0)
	v_mul_f64 v[114:115], v[114:115], v[116:117]
	s_cbranch_execz .LBB54_110
	s_branch .LBB54_111
.LBB54_109:
                                        ; implicit-def: $vgpr114_vgpr115
.LBB54_110:
	ds_read_b64 v[114:115], v1
.LBB54_111:
	s_and_saveexec_b64 s[8:9], s[2:3]
	s_cbranch_execz .LBB54_115
; %bb.112:
	s_movk_i32 s31, 0x158
	v_subrev_u32_e32 v116, 43, v0
	s_movk_i32 s33, 0x318
	s_mov_b64 s[2:3], 0
.LBB54_113:                             ; =>This Inner Loop Header: Depth=1
	scratch_load_dwordx2 v[118:119], off, s31
	v_mov_b32_e32 v117, s33
	ds_read_b64 v[120:121], v117
	v_add_u32_e32 v116, -1, v116
	s_add_i32 s33, s33, 8
	s_add_i32 s31, s31, 8
	v_cmp_eq_u32_e32 vcc, 0, v116
	s_or_b64 s[2:3], vcc, s[2:3]
	s_waitcnt vmcnt(0) lgkmcnt(0)
	v_fmac_f64_e32 v[114:115], v[118:119], v[120:121]
	s_andn2_b64 exec, exec, s[2:3]
	s_cbranch_execnz .LBB54_113
; %bb.114:
	s_or_b64 exec, exec, s[2:3]
.LBB54_115:
	s_or_b64 exec, exec, s[8:9]
	v_mov_b32_e32 v116, 0
	ds_read_b64 v[116:117], v116 offset:336
	s_waitcnt lgkmcnt(0)
	v_mul_f64 v[114:115], v[114:115], v[116:117]
	scratch_store_dwordx2 off, v[114:115], off offset:336
.LBB54_116:
	s_or_b64 exec, exec, s[4:5]
	scratch_load_dwordx2 v[114:115], off, off offset:328
	v_cmp_lt_u32_e64 s[2:3], 41, v0
	s_waitcnt vmcnt(0)
	ds_write_b64 v1, v[114:115]
	s_waitcnt lgkmcnt(0)
	; wave barrier
	s_and_saveexec_b64 s[4:5], s[2:3]
	s_cbranch_execz .LBB54_126
; %bb.117:
	s_andn2_b64 vcc, exec, s[6:7]
	s_cbranch_vccnz .LBB54_119
; %bb.118:
	scratch_load_dwordx2 v[114:115], v11, off
	ds_read_b64 v[116:117], v1
	s_waitcnt vmcnt(0) lgkmcnt(0)
	v_mul_f64 v[114:115], v[114:115], v[116:117]
	s_cbranch_execz .LBB54_120
	s_branch .LBB54_121
.LBB54_119:
                                        ; implicit-def: $vgpr114_vgpr115
.LBB54_120:
	ds_read_b64 v[114:115], v1
.LBB54_121:
	s_and_saveexec_b64 s[8:9], s[0:1]
	s_cbranch_execz .LBB54_125
; %bb.122:
	v_subrev_u32_e32 v116, 42, v0
	s_movk_i32 s31, 0x310
	s_mov_b64 s[0:1], 0
.LBB54_123:                             ; =>This Inner Loop Header: Depth=1
	scratch_load_dwordx2 v[118:119], off, s30
	v_mov_b32_e32 v117, s31
	ds_read_b64 v[120:121], v117
	v_add_u32_e32 v116, -1, v116
	s_add_i32 s31, s31, 8
	s_add_i32 s30, s30, 8
	v_cmp_eq_u32_e32 vcc, 0, v116
	s_or_b64 s[0:1], vcc, s[0:1]
	s_waitcnt vmcnt(0) lgkmcnt(0)
	v_fmac_f64_e32 v[114:115], v[118:119], v[120:121]
	s_andn2_b64 exec, exec, s[0:1]
	s_cbranch_execnz .LBB54_123
; %bb.124:
	s_or_b64 exec, exec, s[0:1]
.LBB54_125:
	s_or_b64 exec, exec, s[8:9]
	v_mov_b32_e32 v116, 0
	ds_read_b64 v[116:117], v116 offset:328
	s_waitcnt lgkmcnt(0)
	v_mul_f64 v[114:115], v[114:115], v[116:117]
	scratch_store_dwordx2 off, v[114:115], off offset:328
.LBB54_126:
	s_or_b64 exec, exec, s[4:5]
	scratch_load_dwordx2 v[114:115], off, off offset:320
	v_cmp_lt_u32_e64 s[0:1], 40, v0
	s_waitcnt vmcnt(0)
	ds_write_b64 v1, v[114:115]
	s_waitcnt lgkmcnt(0)
	; wave barrier
	s_and_saveexec_b64 s[4:5], s[0:1]
	s_cbranch_execz .LBB54_136
; %bb.127:
	s_andn2_b64 vcc, exec, s[6:7]
	s_cbranch_vccnz .LBB54_129
; %bb.128:
	scratch_load_dwordx2 v[114:115], v11, off
	ds_read_b64 v[116:117], v1
	s_waitcnt vmcnt(0) lgkmcnt(0)
	v_mul_f64 v[114:115], v[114:115], v[116:117]
	s_cbranch_execz .LBB54_130
	s_branch .LBB54_131
.LBB54_129:
                                        ; implicit-def: $vgpr114_vgpr115
.LBB54_130:
	ds_read_b64 v[114:115], v1
.LBB54_131:
	s_and_saveexec_b64 s[8:9], s[2:3]
	s_cbranch_execz .LBB54_135
; %bb.132:
	s_movk_i32 s30, 0x148
	v_subrev_u32_e32 v116, 41, v0
	s_movk_i32 s31, 0x308
	s_mov_b64 s[2:3], 0
.LBB54_133:                             ; =>This Inner Loop Header: Depth=1
	scratch_load_dwordx2 v[118:119], off, s30
	v_mov_b32_e32 v117, s31
	ds_read_b64 v[120:121], v117
	v_add_u32_e32 v116, -1, v116
	s_add_i32 s31, s31, 8
	s_add_i32 s30, s30, 8
	v_cmp_eq_u32_e32 vcc, 0, v116
	s_or_b64 s[2:3], vcc, s[2:3]
	s_waitcnt vmcnt(0) lgkmcnt(0)
	v_fmac_f64_e32 v[114:115], v[118:119], v[120:121]
	s_andn2_b64 exec, exec, s[2:3]
	s_cbranch_execnz .LBB54_133
; %bb.134:
	s_or_b64 exec, exec, s[2:3]
.LBB54_135:
	s_or_b64 exec, exec, s[8:9]
	v_mov_b32_e32 v116, 0
	ds_read_b64 v[116:117], v116 offset:320
	s_waitcnt lgkmcnt(0)
	v_mul_f64 v[114:115], v[114:115], v[116:117]
	scratch_store_dwordx2 off, v[114:115], off offset:320
.LBB54_136:
	s_or_b64 exec, exec, s[4:5]
	scratch_load_dwordx2 v[114:115], off, off offset:312
	v_cmp_lt_u32_e64 s[2:3], 39, v0
	s_waitcnt vmcnt(0)
	ds_write_b64 v1, v[114:115]
	s_waitcnt lgkmcnt(0)
	; wave barrier
	s_and_saveexec_b64 s[4:5], s[2:3]
	s_cbranch_execz .LBB54_146
; %bb.137:
	s_andn2_b64 vcc, exec, s[6:7]
	s_cbranch_vccnz .LBB54_139
; %bb.138:
	scratch_load_dwordx2 v[114:115], v11, off
	ds_read_b64 v[116:117], v1
	s_waitcnt vmcnt(0) lgkmcnt(0)
	v_mul_f64 v[114:115], v[114:115], v[116:117]
	s_cbranch_execz .LBB54_140
	s_branch .LBB54_141
.LBB54_139:
                                        ; implicit-def: $vgpr114_vgpr115
.LBB54_140:
	ds_read_b64 v[114:115], v1
.LBB54_141:
	s_and_saveexec_b64 s[8:9], s[0:1]
	s_cbranch_execz .LBB54_145
; %bb.142:
	v_subrev_u32_e32 v116, 40, v0
	s_movk_i32 s30, 0x300
	s_mov_b64 s[0:1], 0
.LBB54_143:                             ; =>This Inner Loop Header: Depth=1
	scratch_load_dwordx2 v[118:119], off, s29
	v_mov_b32_e32 v117, s30
	ds_read_b64 v[120:121], v117
	v_add_u32_e32 v116, -1, v116
	s_add_i32 s30, s30, 8
	s_add_i32 s29, s29, 8
	v_cmp_eq_u32_e32 vcc, 0, v116
	s_or_b64 s[0:1], vcc, s[0:1]
	s_waitcnt vmcnt(0) lgkmcnt(0)
	v_fmac_f64_e32 v[114:115], v[118:119], v[120:121]
	s_andn2_b64 exec, exec, s[0:1]
	s_cbranch_execnz .LBB54_143
; %bb.144:
	s_or_b64 exec, exec, s[0:1]
.LBB54_145:
	s_or_b64 exec, exec, s[8:9]
	v_mov_b32_e32 v116, 0
	ds_read_b64 v[116:117], v116 offset:312
	s_waitcnt lgkmcnt(0)
	v_mul_f64 v[114:115], v[114:115], v[116:117]
	scratch_store_dwordx2 off, v[114:115], off offset:312
.LBB54_146:
	s_or_b64 exec, exec, s[4:5]
	scratch_load_dwordx2 v[114:115], off, off offset:304
	v_cmp_lt_u32_e64 s[0:1], 38, v0
	s_waitcnt vmcnt(0)
	ds_write_b64 v1, v[114:115]
	s_waitcnt lgkmcnt(0)
	; wave barrier
	s_and_saveexec_b64 s[4:5], s[0:1]
	s_cbranch_execz .LBB54_156
; %bb.147:
	s_andn2_b64 vcc, exec, s[6:7]
	s_cbranch_vccnz .LBB54_149
; %bb.148:
	scratch_load_dwordx2 v[114:115], v11, off
	ds_read_b64 v[116:117], v1
	s_waitcnt vmcnt(0) lgkmcnt(0)
	v_mul_f64 v[114:115], v[114:115], v[116:117]
	s_cbranch_execz .LBB54_150
	s_branch .LBB54_151
.LBB54_149:
                                        ; implicit-def: $vgpr114_vgpr115
.LBB54_150:
	ds_read_b64 v[114:115], v1
.LBB54_151:
	s_and_saveexec_b64 s[8:9], s[2:3]
	s_cbranch_execz .LBB54_155
; %bb.152:
	s_movk_i32 s29, 0x138
	v_subrev_u32_e32 v116, 39, v0
	s_movk_i32 s30, 0x2f8
	s_mov_b64 s[2:3], 0
.LBB54_153:                             ; =>This Inner Loop Header: Depth=1
	scratch_load_dwordx2 v[118:119], off, s29
	v_mov_b32_e32 v117, s30
	ds_read_b64 v[120:121], v117
	v_add_u32_e32 v116, -1, v116
	s_add_i32 s30, s30, 8
	s_add_i32 s29, s29, 8
	v_cmp_eq_u32_e32 vcc, 0, v116
	s_or_b64 s[2:3], vcc, s[2:3]
	s_waitcnt vmcnt(0) lgkmcnt(0)
	v_fmac_f64_e32 v[114:115], v[118:119], v[120:121]
	s_andn2_b64 exec, exec, s[2:3]
	s_cbranch_execnz .LBB54_153
; %bb.154:
	s_or_b64 exec, exec, s[2:3]
.LBB54_155:
	s_or_b64 exec, exec, s[8:9]
	v_mov_b32_e32 v116, 0
	ds_read_b64 v[116:117], v116 offset:304
	s_waitcnt lgkmcnt(0)
	v_mul_f64 v[114:115], v[114:115], v[116:117]
	scratch_store_dwordx2 off, v[114:115], off offset:304
.LBB54_156:
	s_or_b64 exec, exec, s[4:5]
	scratch_load_dwordx2 v[114:115], off, off offset:296
	v_cmp_lt_u32_e64 s[2:3], 37, v0
	s_waitcnt vmcnt(0)
	ds_write_b64 v1, v[114:115]
	s_waitcnt lgkmcnt(0)
	; wave barrier
	s_and_saveexec_b64 s[4:5], s[2:3]
	s_cbranch_execz .LBB54_166
; %bb.157:
	s_andn2_b64 vcc, exec, s[6:7]
	s_cbranch_vccnz .LBB54_159
; %bb.158:
	scratch_load_dwordx2 v[114:115], v11, off
	ds_read_b64 v[116:117], v1
	s_waitcnt vmcnt(0) lgkmcnt(0)
	v_mul_f64 v[114:115], v[114:115], v[116:117]
	s_cbranch_execz .LBB54_160
	s_branch .LBB54_161
.LBB54_159:
                                        ; implicit-def: $vgpr114_vgpr115
.LBB54_160:
	ds_read_b64 v[114:115], v1
.LBB54_161:
	s_and_saveexec_b64 s[8:9], s[0:1]
	s_cbranch_execz .LBB54_165
; %bb.162:
	v_subrev_u32_e32 v116, 38, v0
	s_movk_i32 s29, 0x2f0
	s_mov_b64 s[0:1], 0
.LBB54_163:                             ; =>This Inner Loop Header: Depth=1
	scratch_load_dwordx2 v[118:119], off, s28
	v_mov_b32_e32 v117, s29
	ds_read_b64 v[120:121], v117
	v_add_u32_e32 v116, -1, v116
	s_add_i32 s29, s29, 8
	s_add_i32 s28, s28, 8
	v_cmp_eq_u32_e32 vcc, 0, v116
	s_or_b64 s[0:1], vcc, s[0:1]
	s_waitcnt vmcnt(0) lgkmcnt(0)
	v_fmac_f64_e32 v[114:115], v[118:119], v[120:121]
	s_andn2_b64 exec, exec, s[0:1]
	s_cbranch_execnz .LBB54_163
; %bb.164:
	s_or_b64 exec, exec, s[0:1]
.LBB54_165:
	s_or_b64 exec, exec, s[8:9]
	v_mov_b32_e32 v116, 0
	ds_read_b64 v[116:117], v116 offset:296
	s_waitcnt lgkmcnt(0)
	v_mul_f64 v[114:115], v[114:115], v[116:117]
	scratch_store_dwordx2 off, v[114:115], off offset:296
.LBB54_166:
	s_or_b64 exec, exec, s[4:5]
	scratch_load_dwordx2 v[114:115], off, off offset:288
	v_cmp_lt_u32_e64 s[0:1], 36, v0
	s_waitcnt vmcnt(0)
	ds_write_b64 v1, v[114:115]
	s_waitcnt lgkmcnt(0)
	; wave barrier
	s_and_saveexec_b64 s[4:5], s[0:1]
	s_cbranch_execz .LBB54_176
; %bb.167:
	s_andn2_b64 vcc, exec, s[6:7]
	s_cbranch_vccnz .LBB54_169
; %bb.168:
	scratch_load_dwordx2 v[114:115], v11, off
	ds_read_b64 v[116:117], v1
	s_waitcnt vmcnt(0) lgkmcnt(0)
	v_mul_f64 v[114:115], v[114:115], v[116:117]
	s_cbranch_execz .LBB54_170
	s_branch .LBB54_171
.LBB54_169:
                                        ; implicit-def: $vgpr114_vgpr115
.LBB54_170:
	ds_read_b64 v[114:115], v1
.LBB54_171:
	s_and_saveexec_b64 s[8:9], s[2:3]
	s_cbranch_execz .LBB54_175
; %bb.172:
	s_movk_i32 s28, 0x128
	v_subrev_u32_e32 v116, 37, v0
	s_movk_i32 s29, 0x2e8
	s_mov_b64 s[2:3], 0
.LBB54_173:                             ; =>This Inner Loop Header: Depth=1
	scratch_load_dwordx2 v[118:119], off, s28
	v_mov_b32_e32 v117, s29
	ds_read_b64 v[120:121], v117
	v_add_u32_e32 v116, -1, v116
	s_add_i32 s29, s29, 8
	s_add_i32 s28, s28, 8
	v_cmp_eq_u32_e32 vcc, 0, v116
	s_or_b64 s[2:3], vcc, s[2:3]
	s_waitcnt vmcnt(0) lgkmcnt(0)
	v_fmac_f64_e32 v[114:115], v[118:119], v[120:121]
	s_andn2_b64 exec, exec, s[2:3]
	s_cbranch_execnz .LBB54_173
; %bb.174:
	s_or_b64 exec, exec, s[2:3]
.LBB54_175:
	s_or_b64 exec, exec, s[8:9]
	v_mov_b32_e32 v116, 0
	ds_read_b64 v[116:117], v116 offset:288
	s_waitcnt lgkmcnt(0)
	v_mul_f64 v[114:115], v[114:115], v[116:117]
	scratch_store_dwordx2 off, v[114:115], off offset:288
.LBB54_176:
	s_or_b64 exec, exec, s[4:5]
	scratch_load_dwordx2 v[114:115], off, off offset:280
	v_cmp_lt_u32_e64 s[2:3], 35, v0
	s_waitcnt vmcnt(0)
	ds_write_b64 v1, v[114:115]
	s_waitcnt lgkmcnt(0)
	; wave barrier
	s_and_saveexec_b64 s[4:5], s[2:3]
	s_cbranch_execz .LBB54_186
; %bb.177:
	s_andn2_b64 vcc, exec, s[6:7]
	s_cbranch_vccnz .LBB54_179
; %bb.178:
	scratch_load_dwordx2 v[114:115], v11, off
	ds_read_b64 v[116:117], v1
	s_waitcnt vmcnt(0) lgkmcnt(0)
	v_mul_f64 v[114:115], v[114:115], v[116:117]
	s_cbranch_execz .LBB54_180
	s_branch .LBB54_181
.LBB54_179:
                                        ; implicit-def: $vgpr114_vgpr115
.LBB54_180:
	ds_read_b64 v[114:115], v1
.LBB54_181:
	s_and_saveexec_b64 s[8:9], s[0:1]
	s_cbranch_execz .LBB54_185
; %bb.182:
	v_subrev_u32_e32 v116, 36, v0
	s_movk_i32 s28, 0x2e0
	s_mov_b64 s[0:1], 0
.LBB54_183:                             ; =>This Inner Loop Header: Depth=1
	scratch_load_dwordx2 v[118:119], off, s27
	v_mov_b32_e32 v117, s28
	ds_read_b64 v[120:121], v117
	v_add_u32_e32 v116, -1, v116
	s_add_i32 s28, s28, 8
	s_add_i32 s27, s27, 8
	v_cmp_eq_u32_e32 vcc, 0, v116
	s_or_b64 s[0:1], vcc, s[0:1]
	s_waitcnt vmcnt(0) lgkmcnt(0)
	v_fmac_f64_e32 v[114:115], v[118:119], v[120:121]
	s_andn2_b64 exec, exec, s[0:1]
	s_cbranch_execnz .LBB54_183
; %bb.184:
	s_or_b64 exec, exec, s[0:1]
.LBB54_185:
	s_or_b64 exec, exec, s[8:9]
	v_mov_b32_e32 v116, 0
	ds_read_b64 v[116:117], v116 offset:280
	s_waitcnt lgkmcnt(0)
	v_mul_f64 v[114:115], v[114:115], v[116:117]
	scratch_store_dwordx2 off, v[114:115], off offset:280
.LBB54_186:
	s_or_b64 exec, exec, s[4:5]
	scratch_load_dwordx2 v[114:115], off, off offset:272
	v_cmp_lt_u32_e64 s[0:1], 34, v0
	s_waitcnt vmcnt(0)
	ds_write_b64 v1, v[114:115]
	s_waitcnt lgkmcnt(0)
	; wave barrier
	s_and_saveexec_b64 s[4:5], s[0:1]
	s_cbranch_execz .LBB54_196
; %bb.187:
	s_andn2_b64 vcc, exec, s[6:7]
	s_cbranch_vccnz .LBB54_189
; %bb.188:
	scratch_load_dwordx2 v[114:115], v11, off
	ds_read_b64 v[116:117], v1
	s_waitcnt vmcnt(0) lgkmcnt(0)
	v_mul_f64 v[114:115], v[114:115], v[116:117]
	s_cbranch_execz .LBB54_190
	s_branch .LBB54_191
.LBB54_189:
                                        ; implicit-def: $vgpr114_vgpr115
.LBB54_190:
	ds_read_b64 v[114:115], v1
.LBB54_191:
	s_and_saveexec_b64 s[8:9], s[2:3]
	s_cbranch_execz .LBB54_195
; %bb.192:
	s_movk_i32 s27, 0x118
	v_subrev_u32_e32 v116, 35, v0
	s_movk_i32 s28, 0x2d8
	s_mov_b64 s[2:3], 0
.LBB54_193:                             ; =>This Inner Loop Header: Depth=1
	scratch_load_dwordx2 v[118:119], off, s27
	v_mov_b32_e32 v117, s28
	ds_read_b64 v[120:121], v117
	v_add_u32_e32 v116, -1, v116
	s_add_i32 s28, s28, 8
	s_add_i32 s27, s27, 8
	v_cmp_eq_u32_e32 vcc, 0, v116
	s_or_b64 s[2:3], vcc, s[2:3]
	s_waitcnt vmcnt(0) lgkmcnt(0)
	v_fmac_f64_e32 v[114:115], v[118:119], v[120:121]
	s_andn2_b64 exec, exec, s[2:3]
	s_cbranch_execnz .LBB54_193
; %bb.194:
	s_or_b64 exec, exec, s[2:3]
.LBB54_195:
	s_or_b64 exec, exec, s[8:9]
	v_mov_b32_e32 v116, 0
	ds_read_b64 v[116:117], v116 offset:272
	s_waitcnt lgkmcnt(0)
	v_mul_f64 v[114:115], v[114:115], v[116:117]
	scratch_store_dwordx2 off, v[114:115], off offset:272
.LBB54_196:
	s_or_b64 exec, exec, s[4:5]
	scratch_load_dwordx2 v[114:115], off, off offset:264
	v_cmp_lt_u32_e64 s[2:3], 33, v0
	s_waitcnt vmcnt(0)
	ds_write_b64 v1, v[114:115]
	s_waitcnt lgkmcnt(0)
	; wave barrier
	s_and_saveexec_b64 s[4:5], s[2:3]
	s_cbranch_execz .LBB54_206
; %bb.197:
	s_andn2_b64 vcc, exec, s[6:7]
	s_cbranch_vccnz .LBB54_199
; %bb.198:
	scratch_load_dwordx2 v[114:115], v11, off
	ds_read_b64 v[116:117], v1
	s_waitcnt vmcnt(0) lgkmcnt(0)
	v_mul_f64 v[114:115], v[114:115], v[116:117]
	s_cbranch_execz .LBB54_200
	s_branch .LBB54_201
.LBB54_199:
                                        ; implicit-def: $vgpr114_vgpr115
.LBB54_200:
	ds_read_b64 v[114:115], v1
.LBB54_201:
	s_and_saveexec_b64 s[8:9], s[0:1]
	s_cbranch_execz .LBB54_205
; %bb.202:
	v_subrev_u32_e32 v116, 34, v0
	s_movk_i32 s27, 0x2d0
	s_mov_b64 s[0:1], 0
.LBB54_203:                             ; =>This Inner Loop Header: Depth=1
	scratch_load_dwordx2 v[118:119], off, s26
	v_mov_b32_e32 v117, s27
	ds_read_b64 v[120:121], v117
	v_add_u32_e32 v116, -1, v116
	s_add_i32 s27, s27, 8
	s_add_i32 s26, s26, 8
	v_cmp_eq_u32_e32 vcc, 0, v116
	s_or_b64 s[0:1], vcc, s[0:1]
	s_waitcnt vmcnt(0) lgkmcnt(0)
	v_fmac_f64_e32 v[114:115], v[118:119], v[120:121]
	s_andn2_b64 exec, exec, s[0:1]
	s_cbranch_execnz .LBB54_203
; %bb.204:
	s_or_b64 exec, exec, s[0:1]
.LBB54_205:
	s_or_b64 exec, exec, s[8:9]
	v_mov_b32_e32 v116, 0
	ds_read_b64 v[116:117], v116 offset:264
	s_waitcnt lgkmcnt(0)
	v_mul_f64 v[114:115], v[114:115], v[116:117]
	scratch_store_dwordx2 off, v[114:115], off offset:264
.LBB54_206:
	s_or_b64 exec, exec, s[4:5]
	scratch_load_dwordx2 v[114:115], off, off offset:256
	v_cmp_lt_u32_e64 s[0:1], 32, v0
	s_waitcnt vmcnt(0)
	ds_write_b64 v1, v[114:115]
	s_waitcnt lgkmcnt(0)
	; wave barrier
	s_and_saveexec_b64 s[4:5], s[0:1]
	s_cbranch_execz .LBB54_216
; %bb.207:
	s_andn2_b64 vcc, exec, s[6:7]
	s_cbranch_vccnz .LBB54_209
; %bb.208:
	scratch_load_dwordx2 v[114:115], v11, off
	ds_read_b64 v[116:117], v1
	s_waitcnt vmcnt(0) lgkmcnt(0)
	v_mul_f64 v[114:115], v[114:115], v[116:117]
	s_cbranch_execz .LBB54_210
	s_branch .LBB54_211
.LBB54_209:
                                        ; implicit-def: $vgpr114_vgpr115
.LBB54_210:
	ds_read_b64 v[114:115], v1
.LBB54_211:
	s_and_saveexec_b64 s[8:9], s[2:3]
	s_cbranch_execz .LBB54_215
; %bb.212:
	s_movk_i32 s26, 0x108
	v_subrev_u32_e32 v116, 33, v0
	s_movk_i32 s27, 0x2c8
	s_mov_b64 s[2:3], 0
.LBB54_213:                             ; =>This Inner Loop Header: Depth=1
	scratch_load_dwordx2 v[118:119], off, s26
	v_mov_b32_e32 v117, s27
	ds_read_b64 v[120:121], v117
	v_add_u32_e32 v116, -1, v116
	s_add_i32 s27, s27, 8
	s_add_i32 s26, s26, 8
	v_cmp_eq_u32_e32 vcc, 0, v116
	s_or_b64 s[2:3], vcc, s[2:3]
	s_waitcnt vmcnt(0) lgkmcnt(0)
	v_fmac_f64_e32 v[114:115], v[118:119], v[120:121]
	s_andn2_b64 exec, exec, s[2:3]
	s_cbranch_execnz .LBB54_213
; %bb.214:
	s_or_b64 exec, exec, s[2:3]
.LBB54_215:
	s_or_b64 exec, exec, s[8:9]
	v_mov_b32_e32 v116, 0
	ds_read_b64 v[116:117], v116 offset:256
	s_waitcnt lgkmcnt(0)
	v_mul_f64 v[114:115], v[114:115], v[116:117]
	scratch_store_dwordx2 off, v[114:115], off offset:256
.LBB54_216:
	s_or_b64 exec, exec, s[4:5]
	scratch_load_dwordx2 v[114:115], off, off offset:248
	v_cmp_lt_u32_e64 s[2:3], 31, v0
	s_waitcnt vmcnt(0)
	ds_write_b64 v1, v[114:115]
	s_waitcnt lgkmcnt(0)
	; wave barrier
	s_and_saveexec_b64 s[4:5], s[2:3]
	s_cbranch_execz .LBB54_226
; %bb.217:
	s_andn2_b64 vcc, exec, s[6:7]
	s_cbranch_vccnz .LBB54_219
; %bb.218:
	scratch_load_dwordx2 v[114:115], v11, off
	ds_read_b64 v[116:117], v1
	s_waitcnt vmcnt(0) lgkmcnt(0)
	v_mul_f64 v[114:115], v[114:115], v[116:117]
	s_cbranch_execz .LBB54_220
	s_branch .LBB54_221
.LBB54_219:
                                        ; implicit-def: $vgpr114_vgpr115
.LBB54_220:
	ds_read_b64 v[114:115], v1
.LBB54_221:
	s_and_saveexec_b64 s[8:9], s[0:1]
	s_cbranch_execz .LBB54_225
; %bb.222:
	v_subrev_u32_e32 v116, 32, v0
	s_movk_i32 s26, 0x2c0
	s_mov_b64 s[0:1], 0
.LBB54_223:                             ; =>This Inner Loop Header: Depth=1
	scratch_load_dwordx2 v[118:119], off, s25
	v_mov_b32_e32 v117, s26
	ds_read_b64 v[120:121], v117
	v_add_u32_e32 v116, -1, v116
	s_add_i32 s26, s26, 8
	s_add_i32 s25, s25, 8
	v_cmp_eq_u32_e32 vcc, 0, v116
	s_or_b64 s[0:1], vcc, s[0:1]
	s_waitcnt vmcnt(0) lgkmcnt(0)
	v_fmac_f64_e32 v[114:115], v[118:119], v[120:121]
	s_andn2_b64 exec, exec, s[0:1]
	s_cbranch_execnz .LBB54_223
; %bb.224:
	s_or_b64 exec, exec, s[0:1]
.LBB54_225:
	s_or_b64 exec, exec, s[8:9]
	v_mov_b32_e32 v116, 0
	ds_read_b64 v[116:117], v116 offset:248
	s_waitcnt lgkmcnt(0)
	v_mul_f64 v[114:115], v[114:115], v[116:117]
	scratch_store_dwordx2 off, v[114:115], off offset:248
.LBB54_226:
	s_or_b64 exec, exec, s[4:5]
	scratch_load_dwordx2 v[114:115], off, off offset:240
	v_cmp_lt_u32_e64 s[0:1], 30, v0
	s_waitcnt vmcnt(0)
	ds_write_b64 v1, v[114:115]
	s_waitcnt lgkmcnt(0)
	; wave barrier
	s_and_saveexec_b64 s[4:5], s[0:1]
	s_cbranch_execz .LBB54_236
; %bb.227:
	s_andn2_b64 vcc, exec, s[6:7]
	s_cbranch_vccnz .LBB54_229
; %bb.228:
	scratch_load_dwordx2 v[114:115], v11, off
	ds_read_b64 v[116:117], v1
	s_waitcnt vmcnt(0) lgkmcnt(0)
	v_mul_f64 v[114:115], v[114:115], v[116:117]
	s_cbranch_execz .LBB54_230
	s_branch .LBB54_231
.LBB54_229:
                                        ; implicit-def: $vgpr114_vgpr115
.LBB54_230:
	ds_read_b64 v[114:115], v1
.LBB54_231:
	s_and_saveexec_b64 s[8:9], s[2:3]
	s_cbranch_execz .LBB54_235
; %bb.232:
	s_movk_i32 s25, 0xf8
	v_subrev_u32_e32 v116, 31, v0
	s_movk_i32 s26, 0x2b8
	s_mov_b64 s[2:3], 0
.LBB54_233:                             ; =>This Inner Loop Header: Depth=1
	scratch_load_dwordx2 v[118:119], off, s25
	v_mov_b32_e32 v117, s26
	ds_read_b64 v[120:121], v117
	v_add_u32_e32 v116, -1, v116
	s_add_i32 s26, s26, 8
	s_add_i32 s25, s25, 8
	v_cmp_eq_u32_e32 vcc, 0, v116
	s_or_b64 s[2:3], vcc, s[2:3]
	s_waitcnt vmcnt(0) lgkmcnt(0)
	v_fmac_f64_e32 v[114:115], v[118:119], v[120:121]
	s_andn2_b64 exec, exec, s[2:3]
	s_cbranch_execnz .LBB54_233
; %bb.234:
	s_or_b64 exec, exec, s[2:3]
.LBB54_235:
	s_or_b64 exec, exec, s[8:9]
	v_mov_b32_e32 v116, 0
	ds_read_b64 v[116:117], v116 offset:240
	s_waitcnt lgkmcnt(0)
	v_mul_f64 v[114:115], v[114:115], v[116:117]
	scratch_store_dwordx2 off, v[114:115], off offset:240
.LBB54_236:
	s_or_b64 exec, exec, s[4:5]
	scratch_load_dwordx2 v[114:115], off, off offset:232
	v_cmp_lt_u32_e64 s[2:3], 29, v0
	s_waitcnt vmcnt(0)
	ds_write_b64 v1, v[114:115]
	s_waitcnt lgkmcnt(0)
	; wave barrier
	s_and_saveexec_b64 s[4:5], s[2:3]
	s_cbranch_execz .LBB54_246
; %bb.237:
	s_andn2_b64 vcc, exec, s[6:7]
	s_cbranch_vccnz .LBB54_239
; %bb.238:
	scratch_load_dwordx2 v[114:115], v11, off
	ds_read_b64 v[116:117], v1
	s_waitcnt vmcnt(0) lgkmcnt(0)
	v_mul_f64 v[114:115], v[114:115], v[116:117]
	s_cbranch_execz .LBB54_240
	s_branch .LBB54_241
.LBB54_239:
                                        ; implicit-def: $vgpr114_vgpr115
.LBB54_240:
	ds_read_b64 v[114:115], v1
.LBB54_241:
	s_and_saveexec_b64 s[8:9], s[0:1]
	s_cbranch_execz .LBB54_245
; %bb.242:
	v_subrev_u32_e32 v116, 30, v0
	s_movk_i32 s25, 0x2b0
	s_mov_b64 s[0:1], 0
.LBB54_243:                             ; =>This Inner Loop Header: Depth=1
	scratch_load_dwordx2 v[118:119], off, s24
	v_mov_b32_e32 v117, s25
	ds_read_b64 v[120:121], v117
	v_add_u32_e32 v116, -1, v116
	s_add_i32 s25, s25, 8
	s_add_i32 s24, s24, 8
	v_cmp_eq_u32_e32 vcc, 0, v116
	s_or_b64 s[0:1], vcc, s[0:1]
	s_waitcnt vmcnt(0) lgkmcnt(0)
	v_fmac_f64_e32 v[114:115], v[118:119], v[120:121]
	s_andn2_b64 exec, exec, s[0:1]
	s_cbranch_execnz .LBB54_243
; %bb.244:
	s_or_b64 exec, exec, s[0:1]
.LBB54_245:
	s_or_b64 exec, exec, s[8:9]
	v_mov_b32_e32 v116, 0
	ds_read_b64 v[116:117], v116 offset:232
	s_waitcnt lgkmcnt(0)
	v_mul_f64 v[114:115], v[114:115], v[116:117]
	scratch_store_dwordx2 off, v[114:115], off offset:232
.LBB54_246:
	s_or_b64 exec, exec, s[4:5]
	scratch_load_dwordx2 v[114:115], off, off offset:224
	v_cmp_lt_u32_e64 s[0:1], 28, v0
	s_waitcnt vmcnt(0)
	ds_write_b64 v1, v[114:115]
	s_waitcnt lgkmcnt(0)
	; wave barrier
	s_and_saveexec_b64 s[4:5], s[0:1]
	s_cbranch_execz .LBB54_256
; %bb.247:
	s_andn2_b64 vcc, exec, s[6:7]
	s_cbranch_vccnz .LBB54_249
; %bb.248:
	scratch_load_dwordx2 v[114:115], v11, off
	ds_read_b64 v[116:117], v1
	s_waitcnt vmcnt(0) lgkmcnt(0)
	v_mul_f64 v[114:115], v[114:115], v[116:117]
	s_cbranch_execz .LBB54_250
	s_branch .LBB54_251
.LBB54_249:
                                        ; implicit-def: $vgpr114_vgpr115
.LBB54_250:
	ds_read_b64 v[114:115], v1
.LBB54_251:
	s_and_saveexec_b64 s[8:9], s[2:3]
	s_cbranch_execz .LBB54_255
; %bb.252:
	s_movk_i32 s24, 0xe8
	v_subrev_u32_e32 v116, 29, v0
	s_movk_i32 s25, 0x2a8
	s_mov_b64 s[2:3], 0
.LBB54_253:                             ; =>This Inner Loop Header: Depth=1
	scratch_load_dwordx2 v[118:119], off, s24
	v_mov_b32_e32 v117, s25
	ds_read_b64 v[120:121], v117
	v_add_u32_e32 v116, -1, v116
	s_add_i32 s25, s25, 8
	s_add_i32 s24, s24, 8
	v_cmp_eq_u32_e32 vcc, 0, v116
	s_or_b64 s[2:3], vcc, s[2:3]
	s_waitcnt vmcnt(0) lgkmcnt(0)
	v_fmac_f64_e32 v[114:115], v[118:119], v[120:121]
	s_andn2_b64 exec, exec, s[2:3]
	s_cbranch_execnz .LBB54_253
; %bb.254:
	s_or_b64 exec, exec, s[2:3]
.LBB54_255:
	s_or_b64 exec, exec, s[8:9]
	v_mov_b32_e32 v116, 0
	ds_read_b64 v[116:117], v116 offset:224
	s_waitcnt lgkmcnt(0)
	v_mul_f64 v[114:115], v[114:115], v[116:117]
	scratch_store_dwordx2 off, v[114:115], off offset:224
.LBB54_256:
	s_or_b64 exec, exec, s[4:5]
	scratch_load_dwordx2 v[114:115], off, off offset:216
	v_cmp_lt_u32_e64 s[2:3], 27, v0
	s_waitcnt vmcnt(0)
	ds_write_b64 v1, v[114:115]
	s_waitcnt lgkmcnt(0)
	; wave barrier
	s_and_saveexec_b64 s[4:5], s[2:3]
	s_cbranch_execz .LBB54_266
; %bb.257:
	s_andn2_b64 vcc, exec, s[6:7]
	s_cbranch_vccnz .LBB54_259
; %bb.258:
	scratch_load_dwordx2 v[114:115], v11, off
	ds_read_b64 v[116:117], v1
	s_waitcnt vmcnt(0) lgkmcnt(0)
	v_mul_f64 v[114:115], v[114:115], v[116:117]
	s_cbranch_execz .LBB54_260
	s_branch .LBB54_261
.LBB54_259:
                                        ; implicit-def: $vgpr114_vgpr115
.LBB54_260:
	ds_read_b64 v[114:115], v1
.LBB54_261:
	s_and_saveexec_b64 s[8:9], s[0:1]
	s_cbranch_execz .LBB54_265
; %bb.262:
	v_subrev_u32_e32 v116, 28, v0
	s_movk_i32 s24, 0x2a0
	s_mov_b64 s[0:1], 0
.LBB54_263:                             ; =>This Inner Loop Header: Depth=1
	scratch_load_dwordx2 v[118:119], off, s23
	v_mov_b32_e32 v117, s24
	ds_read_b64 v[120:121], v117
	v_add_u32_e32 v116, -1, v116
	s_add_i32 s24, s24, 8
	s_add_i32 s23, s23, 8
	v_cmp_eq_u32_e32 vcc, 0, v116
	s_or_b64 s[0:1], vcc, s[0:1]
	s_waitcnt vmcnt(0) lgkmcnt(0)
	v_fmac_f64_e32 v[114:115], v[118:119], v[120:121]
	s_andn2_b64 exec, exec, s[0:1]
	s_cbranch_execnz .LBB54_263
; %bb.264:
	s_or_b64 exec, exec, s[0:1]
.LBB54_265:
	s_or_b64 exec, exec, s[8:9]
	v_mov_b32_e32 v116, 0
	ds_read_b64 v[116:117], v116 offset:216
	s_waitcnt lgkmcnt(0)
	v_mul_f64 v[114:115], v[114:115], v[116:117]
	scratch_store_dwordx2 off, v[114:115], off offset:216
.LBB54_266:
	s_or_b64 exec, exec, s[4:5]
	scratch_load_dwordx2 v[114:115], off, off offset:208
	v_cmp_lt_u32_e64 s[0:1], 26, v0
	s_waitcnt vmcnt(0)
	ds_write_b64 v1, v[114:115]
	s_waitcnt lgkmcnt(0)
	; wave barrier
	s_and_saveexec_b64 s[4:5], s[0:1]
	s_cbranch_execz .LBB54_276
; %bb.267:
	s_andn2_b64 vcc, exec, s[6:7]
	s_cbranch_vccnz .LBB54_269
; %bb.268:
	scratch_load_dwordx2 v[114:115], v11, off
	ds_read_b64 v[116:117], v1
	s_waitcnt vmcnt(0) lgkmcnt(0)
	v_mul_f64 v[114:115], v[114:115], v[116:117]
	s_cbranch_execz .LBB54_270
	s_branch .LBB54_271
.LBB54_269:
                                        ; implicit-def: $vgpr114_vgpr115
.LBB54_270:
	ds_read_b64 v[114:115], v1
.LBB54_271:
	s_and_saveexec_b64 s[8:9], s[2:3]
	s_cbranch_execz .LBB54_275
; %bb.272:
	s_movk_i32 s23, 0xd8
	v_subrev_u32_e32 v116, 27, v0
	s_movk_i32 s24, 0x298
	s_mov_b64 s[2:3], 0
.LBB54_273:                             ; =>This Inner Loop Header: Depth=1
	scratch_load_dwordx2 v[118:119], off, s23
	v_mov_b32_e32 v117, s24
	ds_read_b64 v[120:121], v117
	v_add_u32_e32 v116, -1, v116
	s_add_i32 s24, s24, 8
	s_add_i32 s23, s23, 8
	v_cmp_eq_u32_e32 vcc, 0, v116
	s_or_b64 s[2:3], vcc, s[2:3]
	s_waitcnt vmcnt(0) lgkmcnt(0)
	v_fmac_f64_e32 v[114:115], v[118:119], v[120:121]
	s_andn2_b64 exec, exec, s[2:3]
	s_cbranch_execnz .LBB54_273
; %bb.274:
	s_or_b64 exec, exec, s[2:3]
.LBB54_275:
	s_or_b64 exec, exec, s[8:9]
	v_mov_b32_e32 v116, 0
	ds_read_b64 v[116:117], v116 offset:208
	s_waitcnt lgkmcnt(0)
	v_mul_f64 v[114:115], v[114:115], v[116:117]
	scratch_store_dwordx2 off, v[114:115], off offset:208
.LBB54_276:
	s_or_b64 exec, exec, s[4:5]
	scratch_load_dwordx2 v[114:115], off, off offset:200
	v_cmp_lt_u32_e64 s[2:3], 25, v0
	s_waitcnt vmcnt(0)
	ds_write_b64 v1, v[114:115]
	s_waitcnt lgkmcnt(0)
	; wave barrier
	s_and_saveexec_b64 s[4:5], s[2:3]
	s_cbranch_execz .LBB54_286
; %bb.277:
	s_andn2_b64 vcc, exec, s[6:7]
	s_cbranch_vccnz .LBB54_279
; %bb.278:
	scratch_load_dwordx2 v[114:115], v11, off
	ds_read_b64 v[116:117], v1
	s_waitcnt vmcnt(0) lgkmcnt(0)
	v_mul_f64 v[114:115], v[114:115], v[116:117]
	s_cbranch_execz .LBB54_280
	s_branch .LBB54_281
.LBB54_279:
                                        ; implicit-def: $vgpr114_vgpr115
.LBB54_280:
	ds_read_b64 v[114:115], v1
.LBB54_281:
	s_and_saveexec_b64 s[8:9], s[0:1]
	s_cbranch_execz .LBB54_285
; %bb.282:
	v_subrev_u32_e32 v116, 26, v0
	s_movk_i32 s23, 0x290
	s_mov_b64 s[0:1], 0
.LBB54_283:                             ; =>This Inner Loop Header: Depth=1
	scratch_load_dwordx2 v[118:119], off, s22
	v_mov_b32_e32 v117, s23
	ds_read_b64 v[120:121], v117
	v_add_u32_e32 v116, -1, v116
	s_add_i32 s23, s23, 8
	s_add_i32 s22, s22, 8
	v_cmp_eq_u32_e32 vcc, 0, v116
	s_or_b64 s[0:1], vcc, s[0:1]
	s_waitcnt vmcnt(0) lgkmcnt(0)
	v_fmac_f64_e32 v[114:115], v[118:119], v[120:121]
	s_andn2_b64 exec, exec, s[0:1]
	s_cbranch_execnz .LBB54_283
; %bb.284:
	s_or_b64 exec, exec, s[0:1]
.LBB54_285:
	s_or_b64 exec, exec, s[8:9]
	v_mov_b32_e32 v116, 0
	ds_read_b64 v[116:117], v116 offset:200
	s_waitcnt lgkmcnt(0)
	v_mul_f64 v[114:115], v[114:115], v[116:117]
	scratch_store_dwordx2 off, v[114:115], off offset:200
.LBB54_286:
	s_or_b64 exec, exec, s[4:5]
	scratch_load_dwordx2 v[114:115], off, off offset:192
	v_cmp_lt_u32_e64 s[0:1], 24, v0
	s_waitcnt vmcnt(0)
	ds_write_b64 v1, v[114:115]
	s_waitcnt lgkmcnt(0)
	; wave barrier
	s_and_saveexec_b64 s[4:5], s[0:1]
	s_cbranch_execz .LBB54_296
; %bb.287:
	s_andn2_b64 vcc, exec, s[6:7]
	s_cbranch_vccnz .LBB54_289
; %bb.288:
	scratch_load_dwordx2 v[114:115], v11, off
	ds_read_b64 v[116:117], v1
	s_waitcnt vmcnt(0) lgkmcnt(0)
	v_mul_f64 v[114:115], v[114:115], v[116:117]
	s_cbranch_execz .LBB54_290
	s_branch .LBB54_291
.LBB54_289:
                                        ; implicit-def: $vgpr114_vgpr115
.LBB54_290:
	ds_read_b64 v[114:115], v1
.LBB54_291:
	s_and_saveexec_b64 s[8:9], s[2:3]
	s_cbranch_execz .LBB54_295
; %bb.292:
	s_movk_i32 s22, 0xc8
	v_subrev_u32_e32 v116, 25, v0
	s_movk_i32 s23, 0x288
	s_mov_b64 s[2:3], 0
.LBB54_293:                             ; =>This Inner Loop Header: Depth=1
	scratch_load_dwordx2 v[118:119], off, s22
	v_mov_b32_e32 v117, s23
	ds_read_b64 v[120:121], v117
	v_add_u32_e32 v116, -1, v116
	s_add_i32 s23, s23, 8
	s_add_i32 s22, s22, 8
	v_cmp_eq_u32_e32 vcc, 0, v116
	s_or_b64 s[2:3], vcc, s[2:3]
	s_waitcnt vmcnt(0) lgkmcnt(0)
	v_fmac_f64_e32 v[114:115], v[118:119], v[120:121]
	s_andn2_b64 exec, exec, s[2:3]
	s_cbranch_execnz .LBB54_293
; %bb.294:
	s_or_b64 exec, exec, s[2:3]
.LBB54_295:
	s_or_b64 exec, exec, s[8:9]
	v_mov_b32_e32 v116, 0
	ds_read_b64 v[116:117], v116 offset:192
	s_waitcnt lgkmcnt(0)
	v_mul_f64 v[114:115], v[114:115], v[116:117]
	scratch_store_dwordx2 off, v[114:115], off offset:192
.LBB54_296:
	s_or_b64 exec, exec, s[4:5]
	scratch_load_dwordx2 v[114:115], off, off offset:184
	v_cmp_lt_u32_e64 s[2:3], 23, v0
	s_waitcnt vmcnt(0)
	ds_write_b64 v1, v[114:115]
	s_waitcnt lgkmcnt(0)
	; wave barrier
	s_and_saveexec_b64 s[4:5], s[2:3]
	s_cbranch_execz .LBB54_306
; %bb.297:
	s_andn2_b64 vcc, exec, s[6:7]
	s_cbranch_vccnz .LBB54_299
; %bb.298:
	scratch_load_dwordx2 v[114:115], v11, off
	ds_read_b64 v[116:117], v1
	s_waitcnt vmcnt(0) lgkmcnt(0)
	v_mul_f64 v[114:115], v[114:115], v[116:117]
	s_cbranch_execz .LBB54_300
	s_branch .LBB54_301
.LBB54_299:
                                        ; implicit-def: $vgpr114_vgpr115
.LBB54_300:
	ds_read_b64 v[114:115], v1
.LBB54_301:
	s_and_saveexec_b64 s[8:9], s[0:1]
	s_cbranch_execz .LBB54_305
; %bb.302:
	v_subrev_u32_e32 v116, 24, v0
	s_movk_i32 s22, 0x280
	s_mov_b64 s[0:1], 0
.LBB54_303:                             ; =>This Inner Loop Header: Depth=1
	scratch_load_dwordx2 v[118:119], off, s21
	v_mov_b32_e32 v117, s22
	ds_read_b64 v[120:121], v117
	v_add_u32_e32 v116, -1, v116
	s_add_i32 s22, s22, 8
	s_add_i32 s21, s21, 8
	v_cmp_eq_u32_e32 vcc, 0, v116
	s_or_b64 s[0:1], vcc, s[0:1]
	s_waitcnt vmcnt(0) lgkmcnt(0)
	v_fmac_f64_e32 v[114:115], v[118:119], v[120:121]
	s_andn2_b64 exec, exec, s[0:1]
	s_cbranch_execnz .LBB54_303
; %bb.304:
	s_or_b64 exec, exec, s[0:1]
.LBB54_305:
	s_or_b64 exec, exec, s[8:9]
	v_mov_b32_e32 v116, 0
	ds_read_b64 v[116:117], v116 offset:184
	s_waitcnt lgkmcnt(0)
	v_mul_f64 v[114:115], v[114:115], v[116:117]
	scratch_store_dwordx2 off, v[114:115], off offset:184
.LBB54_306:
	s_or_b64 exec, exec, s[4:5]
	scratch_load_dwordx2 v[114:115], off, off offset:176
	v_cmp_lt_u32_e64 s[0:1], 22, v0
	s_waitcnt vmcnt(0)
	ds_write_b64 v1, v[114:115]
	s_waitcnt lgkmcnt(0)
	; wave barrier
	s_and_saveexec_b64 s[4:5], s[0:1]
	s_cbranch_execz .LBB54_316
; %bb.307:
	s_andn2_b64 vcc, exec, s[6:7]
	s_cbranch_vccnz .LBB54_309
; %bb.308:
	scratch_load_dwordx2 v[114:115], v11, off
	ds_read_b64 v[116:117], v1
	s_waitcnt vmcnt(0) lgkmcnt(0)
	v_mul_f64 v[114:115], v[114:115], v[116:117]
	s_cbranch_execz .LBB54_310
	s_branch .LBB54_311
.LBB54_309:
                                        ; implicit-def: $vgpr114_vgpr115
.LBB54_310:
	ds_read_b64 v[114:115], v1
.LBB54_311:
	s_and_saveexec_b64 s[8:9], s[2:3]
	s_cbranch_execz .LBB54_315
; %bb.312:
	s_movk_i32 s21, 0xb8
	v_subrev_u32_e32 v116, 23, v0
	s_movk_i32 s22, 0x278
	s_mov_b64 s[2:3], 0
.LBB54_313:                             ; =>This Inner Loop Header: Depth=1
	scratch_load_dwordx2 v[118:119], off, s21
	v_mov_b32_e32 v117, s22
	ds_read_b64 v[120:121], v117
	v_add_u32_e32 v116, -1, v116
	s_add_i32 s22, s22, 8
	s_add_i32 s21, s21, 8
	v_cmp_eq_u32_e32 vcc, 0, v116
	s_or_b64 s[2:3], vcc, s[2:3]
	s_waitcnt vmcnt(0) lgkmcnt(0)
	v_fmac_f64_e32 v[114:115], v[118:119], v[120:121]
	s_andn2_b64 exec, exec, s[2:3]
	s_cbranch_execnz .LBB54_313
; %bb.314:
	s_or_b64 exec, exec, s[2:3]
.LBB54_315:
	s_or_b64 exec, exec, s[8:9]
	v_mov_b32_e32 v116, 0
	ds_read_b64 v[116:117], v116 offset:176
	s_waitcnt lgkmcnt(0)
	v_mul_f64 v[114:115], v[114:115], v[116:117]
	scratch_store_dwordx2 off, v[114:115], off offset:176
.LBB54_316:
	s_or_b64 exec, exec, s[4:5]
	scratch_load_dwordx2 v[114:115], off, off offset:168
	v_cmp_lt_u32_e64 s[2:3], 21, v0
	s_waitcnt vmcnt(0)
	ds_write_b64 v1, v[114:115]
	s_waitcnt lgkmcnt(0)
	; wave barrier
	s_and_saveexec_b64 s[4:5], s[2:3]
	s_cbranch_execz .LBB54_326
; %bb.317:
	s_andn2_b64 vcc, exec, s[6:7]
	s_cbranch_vccnz .LBB54_319
; %bb.318:
	scratch_load_dwordx2 v[114:115], v11, off
	ds_read_b64 v[116:117], v1
	s_waitcnt vmcnt(0) lgkmcnt(0)
	v_mul_f64 v[114:115], v[114:115], v[116:117]
	s_cbranch_execz .LBB54_320
	s_branch .LBB54_321
.LBB54_319:
                                        ; implicit-def: $vgpr114_vgpr115
.LBB54_320:
	ds_read_b64 v[114:115], v1
.LBB54_321:
	s_and_saveexec_b64 s[8:9], s[0:1]
	s_cbranch_execz .LBB54_325
; %bb.322:
	v_subrev_u32_e32 v116, 22, v0
	s_movk_i32 s21, 0x270
	s_mov_b64 s[0:1], 0
.LBB54_323:                             ; =>This Inner Loop Header: Depth=1
	scratch_load_dwordx2 v[118:119], off, s20
	v_mov_b32_e32 v117, s21
	ds_read_b64 v[120:121], v117
	v_add_u32_e32 v116, -1, v116
	s_add_i32 s21, s21, 8
	s_add_i32 s20, s20, 8
	v_cmp_eq_u32_e32 vcc, 0, v116
	s_or_b64 s[0:1], vcc, s[0:1]
	s_waitcnt vmcnt(0) lgkmcnt(0)
	v_fmac_f64_e32 v[114:115], v[118:119], v[120:121]
	s_andn2_b64 exec, exec, s[0:1]
	s_cbranch_execnz .LBB54_323
; %bb.324:
	s_or_b64 exec, exec, s[0:1]
.LBB54_325:
	s_or_b64 exec, exec, s[8:9]
	v_mov_b32_e32 v116, 0
	ds_read_b64 v[116:117], v116 offset:168
	s_waitcnt lgkmcnt(0)
	v_mul_f64 v[114:115], v[114:115], v[116:117]
	scratch_store_dwordx2 off, v[114:115], off offset:168
.LBB54_326:
	s_or_b64 exec, exec, s[4:5]
	scratch_load_dwordx2 v[114:115], off, off offset:160
	v_cmp_lt_u32_e64 s[0:1], 20, v0
	s_waitcnt vmcnt(0)
	ds_write_b64 v1, v[114:115]
	s_waitcnt lgkmcnt(0)
	; wave barrier
	s_and_saveexec_b64 s[4:5], s[0:1]
	s_cbranch_execz .LBB54_336
; %bb.327:
	s_andn2_b64 vcc, exec, s[6:7]
	s_cbranch_vccnz .LBB54_329
; %bb.328:
	scratch_load_dwordx2 v[114:115], v11, off
	ds_read_b64 v[116:117], v1
	s_waitcnt vmcnt(0) lgkmcnt(0)
	v_mul_f64 v[114:115], v[114:115], v[116:117]
	s_cbranch_execz .LBB54_330
	s_branch .LBB54_331
.LBB54_329:
                                        ; implicit-def: $vgpr114_vgpr115
.LBB54_330:
	ds_read_b64 v[114:115], v1
.LBB54_331:
	s_and_saveexec_b64 s[8:9], s[2:3]
	s_cbranch_execz .LBB54_335
; %bb.332:
	s_movk_i32 s20, 0xa8
	v_subrev_u32_e32 v116, 21, v0
	s_movk_i32 s21, 0x268
	s_mov_b64 s[2:3], 0
.LBB54_333:                             ; =>This Inner Loop Header: Depth=1
	scratch_load_dwordx2 v[118:119], off, s20
	v_mov_b32_e32 v117, s21
	ds_read_b64 v[120:121], v117
	v_add_u32_e32 v116, -1, v116
	s_add_i32 s21, s21, 8
	s_add_i32 s20, s20, 8
	v_cmp_eq_u32_e32 vcc, 0, v116
	s_or_b64 s[2:3], vcc, s[2:3]
	s_waitcnt vmcnt(0) lgkmcnt(0)
	v_fmac_f64_e32 v[114:115], v[118:119], v[120:121]
	s_andn2_b64 exec, exec, s[2:3]
	s_cbranch_execnz .LBB54_333
; %bb.334:
	s_or_b64 exec, exec, s[2:3]
.LBB54_335:
	s_or_b64 exec, exec, s[8:9]
	v_mov_b32_e32 v116, 0
	ds_read_b64 v[116:117], v116 offset:160
	s_waitcnt lgkmcnt(0)
	v_mul_f64 v[114:115], v[114:115], v[116:117]
	scratch_store_dwordx2 off, v[114:115], off offset:160
.LBB54_336:
	s_or_b64 exec, exec, s[4:5]
	scratch_load_dwordx2 v[114:115], off, off offset:152
	v_cmp_lt_u32_e64 s[2:3], 19, v0
	s_waitcnt vmcnt(0)
	ds_write_b64 v1, v[114:115]
	s_waitcnt lgkmcnt(0)
	; wave barrier
	s_and_saveexec_b64 s[4:5], s[2:3]
	s_cbranch_execz .LBB54_346
; %bb.337:
	s_andn2_b64 vcc, exec, s[6:7]
	s_cbranch_vccnz .LBB54_339
; %bb.338:
	scratch_load_dwordx2 v[114:115], v11, off
	ds_read_b64 v[116:117], v1
	s_waitcnt vmcnt(0) lgkmcnt(0)
	v_mul_f64 v[114:115], v[114:115], v[116:117]
	s_cbranch_execz .LBB54_340
	s_branch .LBB54_341
.LBB54_339:
                                        ; implicit-def: $vgpr114_vgpr115
.LBB54_340:
	ds_read_b64 v[114:115], v1
.LBB54_341:
	s_and_saveexec_b64 s[8:9], s[0:1]
	s_cbranch_execz .LBB54_345
; %bb.342:
	v_subrev_u32_e32 v116, 20, v0
	s_movk_i32 s20, 0x260
	s_mov_b64 s[0:1], 0
.LBB54_343:                             ; =>This Inner Loop Header: Depth=1
	scratch_load_dwordx2 v[118:119], off, s19
	v_mov_b32_e32 v117, s20
	ds_read_b64 v[120:121], v117
	v_add_u32_e32 v116, -1, v116
	s_add_i32 s20, s20, 8
	s_add_i32 s19, s19, 8
	v_cmp_eq_u32_e32 vcc, 0, v116
	s_or_b64 s[0:1], vcc, s[0:1]
	s_waitcnt vmcnt(0) lgkmcnt(0)
	v_fmac_f64_e32 v[114:115], v[118:119], v[120:121]
	s_andn2_b64 exec, exec, s[0:1]
	s_cbranch_execnz .LBB54_343
; %bb.344:
	s_or_b64 exec, exec, s[0:1]
.LBB54_345:
	s_or_b64 exec, exec, s[8:9]
	v_mov_b32_e32 v116, 0
	ds_read_b64 v[116:117], v116 offset:152
	s_waitcnt lgkmcnt(0)
	v_mul_f64 v[114:115], v[114:115], v[116:117]
	scratch_store_dwordx2 off, v[114:115], off offset:152
.LBB54_346:
	s_or_b64 exec, exec, s[4:5]
	scratch_load_dwordx2 v[114:115], off, off offset:144
	v_cmp_lt_u32_e64 s[0:1], 18, v0
	s_waitcnt vmcnt(0)
	ds_write_b64 v1, v[114:115]
	s_waitcnt lgkmcnt(0)
	; wave barrier
	s_and_saveexec_b64 s[4:5], s[0:1]
	s_cbranch_execz .LBB54_356
; %bb.347:
	s_andn2_b64 vcc, exec, s[6:7]
	s_cbranch_vccnz .LBB54_349
; %bb.348:
	scratch_load_dwordx2 v[114:115], v11, off
	ds_read_b64 v[116:117], v1
	s_waitcnt vmcnt(0) lgkmcnt(0)
	v_mul_f64 v[114:115], v[114:115], v[116:117]
	s_cbranch_execz .LBB54_350
	s_branch .LBB54_351
.LBB54_349:
                                        ; implicit-def: $vgpr114_vgpr115
.LBB54_350:
	ds_read_b64 v[114:115], v1
.LBB54_351:
	s_and_saveexec_b64 s[8:9], s[2:3]
	s_cbranch_execz .LBB54_355
; %bb.352:
	s_movk_i32 s19, 0x98
	v_subrev_u32_e32 v116, 19, v0
	s_movk_i32 s20, 0x258
	s_mov_b64 s[2:3], 0
.LBB54_353:                             ; =>This Inner Loop Header: Depth=1
	scratch_load_dwordx2 v[118:119], off, s19
	v_mov_b32_e32 v117, s20
	ds_read_b64 v[120:121], v117
	v_add_u32_e32 v116, -1, v116
	s_add_i32 s20, s20, 8
	s_add_i32 s19, s19, 8
	v_cmp_eq_u32_e32 vcc, 0, v116
	s_or_b64 s[2:3], vcc, s[2:3]
	s_waitcnt vmcnt(0) lgkmcnt(0)
	v_fmac_f64_e32 v[114:115], v[118:119], v[120:121]
	s_andn2_b64 exec, exec, s[2:3]
	s_cbranch_execnz .LBB54_353
; %bb.354:
	s_or_b64 exec, exec, s[2:3]
.LBB54_355:
	s_or_b64 exec, exec, s[8:9]
	v_mov_b32_e32 v116, 0
	ds_read_b64 v[116:117], v116 offset:144
	s_waitcnt lgkmcnt(0)
	v_mul_f64 v[114:115], v[114:115], v[116:117]
	scratch_store_dwordx2 off, v[114:115], off offset:144
.LBB54_356:
	s_or_b64 exec, exec, s[4:5]
	scratch_load_dwordx2 v[114:115], off, off offset:136
	v_cmp_lt_u32_e64 s[2:3], 17, v0
	s_waitcnt vmcnt(0)
	ds_write_b64 v1, v[114:115]
	s_waitcnt lgkmcnt(0)
	; wave barrier
	s_and_saveexec_b64 s[4:5], s[2:3]
	s_cbranch_execz .LBB54_366
; %bb.357:
	s_andn2_b64 vcc, exec, s[6:7]
	s_cbranch_vccnz .LBB54_359
; %bb.358:
	scratch_load_dwordx2 v[114:115], v11, off
	ds_read_b64 v[116:117], v1
	s_waitcnt vmcnt(0) lgkmcnt(0)
	v_mul_f64 v[114:115], v[114:115], v[116:117]
	s_cbranch_execz .LBB54_360
	s_branch .LBB54_361
.LBB54_359:
                                        ; implicit-def: $vgpr114_vgpr115
.LBB54_360:
	ds_read_b64 v[114:115], v1
.LBB54_361:
	s_and_saveexec_b64 s[8:9], s[0:1]
	s_cbranch_execz .LBB54_365
; %bb.362:
	v_subrev_u32_e32 v116, 18, v0
	s_movk_i32 s19, 0x250
	s_mov_b64 s[0:1], 0
.LBB54_363:                             ; =>This Inner Loop Header: Depth=1
	scratch_load_dwordx2 v[118:119], off, s18
	v_mov_b32_e32 v117, s19
	ds_read_b64 v[120:121], v117
	v_add_u32_e32 v116, -1, v116
	s_add_i32 s19, s19, 8
	s_add_i32 s18, s18, 8
	v_cmp_eq_u32_e32 vcc, 0, v116
	s_or_b64 s[0:1], vcc, s[0:1]
	s_waitcnt vmcnt(0) lgkmcnt(0)
	v_fmac_f64_e32 v[114:115], v[118:119], v[120:121]
	s_andn2_b64 exec, exec, s[0:1]
	s_cbranch_execnz .LBB54_363
; %bb.364:
	s_or_b64 exec, exec, s[0:1]
.LBB54_365:
	s_or_b64 exec, exec, s[8:9]
	v_mov_b32_e32 v116, 0
	ds_read_b64 v[116:117], v116 offset:136
	s_waitcnt lgkmcnt(0)
	v_mul_f64 v[114:115], v[114:115], v[116:117]
	scratch_store_dwordx2 off, v[114:115], off offset:136
.LBB54_366:
	s_or_b64 exec, exec, s[4:5]
	scratch_load_dwordx2 v[114:115], off, off offset:128
	v_cmp_lt_u32_e64 s[0:1], 16, v0
	s_waitcnt vmcnt(0)
	ds_write_b64 v1, v[114:115]
	s_waitcnt lgkmcnt(0)
	; wave barrier
	s_and_saveexec_b64 s[4:5], s[0:1]
	s_cbranch_execz .LBB54_376
; %bb.367:
	s_andn2_b64 vcc, exec, s[6:7]
	s_cbranch_vccnz .LBB54_369
; %bb.368:
	scratch_load_dwordx2 v[114:115], v11, off
	ds_read_b64 v[116:117], v1
	s_waitcnt vmcnt(0) lgkmcnt(0)
	v_mul_f64 v[114:115], v[114:115], v[116:117]
	s_cbranch_execz .LBB54_370
	s_branch .LBB54_371
.LBB54_369:
                                        ; implicit-def: $vgpr114_vgpr115
.LBB54_370:
	ds_read_b64 v[114:115], v1
.LBB54_371:
	s_and_saveexec_b64 s[8:9], s[2:3]
	s_cbranch_execz .LBB54_375
; %bb.372:
	s_movk_i32 s18, 0x88
	v_subrev_u32_e32 v116, 17, v0
	s_movk_i32 s19, 0x248
	s_mov_b64 s[2:3], 0
.LBB54_373:                             ; =>This Inner Loop Header: Depth=1
	scratch_load_dwordx2 v[118:119], off, s18
	v_mov_b32_e32 v117, s19
	ds_read_b64 v[120:121], v117
	v_add_u32_e32 v116, -1, v116
	s_add_i32 s19, s19, 8
	s_add_i32 s18, s18, 8
	v_cmp_eq_u32_e32 vcc, 0, v116
	s_or_b64 s[2:3], vcc, s[2:3]
	s_waitcnt vmcnt(0) lgkmcnt(0)
	v_fmac_f64_e32 v[114:115], v[118:119], v[120:121]
	s_andn2_b64 exec, exec, s[2:3]
	s_cbranch_execnz .LBB54_373
; %bb.374:
	s_or_b64 exec, exec, s[2:3]
.LBB54_375:
	s_or_b64 exec, exec, s[8:9]
	v_mov_b32_e32 v116, 0
	ds_read_b64 v[116:117], v116 offset:128
	s_waitcnt lgkmcnt(0)
	v_mul_f64 v[114:115], v[114:115], v[116:117]
	scratch_store_dwordx2 off, v[114:115], off offset:128
.LBB54_376:
	s_or_b64 exec, exec, s[4:5]
	scratch_load_dwordx2 v[114:115], off, off offset:120
	v_cmp_lt_u32_e64 s[2:3], 15, v0
	s_waitcnt vmcnt(0)
	ds_write_b64 v1, v[114:115]
	s_waitcnt lgkmcnt(0)
	; wave barrier
	s_and_saveexec_b64 s[4:5], s[2:3]
	s_cbranch_execz .LBB54_386
; %bb.377:
	s_andn2_b64 vcc, exec, s[6:7]
	s_cbranch_vccnz .LBB54_379
; %bb.378:
	scratch_load_dwordx2 v[114:115], v11, off
	ds_read_b64 v[116:117], v1
	s_waitcnt vmcnt(0) lgkmcnt(0)
	v_mul_f64 v[114:115], v[114:115], v[116:117]
	s_cbranch_execz .LBB54_380
	s_branch .LBB54_381
.LBB54_379:
                                        ; implicit-def: $vgpr114_vgpr115
.LBB54_380:
	ds_read_b64 v[114:115], v1
.LBB54_381:
	s_and_saveexec_b64 s[8:9], s[0:1]
	s_cbranch_execz .LBB54_385
; %bb.382:
	v_add_u32_e32 v116, -16, v0
	s_movk_i32 s18, 0x240
	s_mov_b64 s[0:1], 0
.LBB54_383:                             ; =>This Inner Loop Header: Depth=1
	scratch_load_dwordx2 v[118:119], off, s17
	v_mov_b32_e32 v117, s18
	ds_read_b64 v[120:121], v117
	v_add_u32_e32 v116, -1, v116
	s_add_i32 s18, s18, 8
	s_add_i32 s17, s17, 8
	v_cmp_eq_u32_e32 vcc, 0, v116
	s_or_b64 s[0:1], vcc, s[0:1]
	s_waitcnt vmcnt(0) lgkmcnt(0)
	v_fmac_f64_e32 v[114:115], v[118:119], v[120:121]
	s_andn2_b64 exec, exec, s[0:1]
	s_cbranch_execnz .LBB54_383
; %bb.384:
	s_or_b64 exec, exec, s[0:1]
.LBB54_385:
	s_or_b64 exec, exec, s[8:9]
	v_mov_b32_e32 v116, 0
	ds_read_b64 v[116:117], v116 offset:120
	s_waitcnt lgkmcnt(0)
	v_mul_f64 v[114:115], v[114:115], v[116:117]
	scratch_store_dwordx2 off, v[114:115], off offset:120
.LBB54_386:
	s_or_b64 exec, exec, s[4:5]
	scratch_load_dwordx2 v[114:115], off, off offset:112
	v_cmp_lt_u32_e64 s[0:1], 14, v0
	s_waitcnt vmcnt(0)
	ds_write_b64 v1, v[114:115]
	s_waitcnt lgkmcnt(0)
	; wave barrier
	s_and_saveexec_b64 s[4:5], s[0:1]
	s_cbranch_execz .LBB54_396
; %bb.387:
	s_andn2_b64 vcc, exec, s[6:7]
	s_cbranch_vccnz .LBB54_389
; %bb.388:
	scratch_load_dwordx2 v[114:115], v11, off
	ds_read_b64 v[116:117], v1
	s_waitcnt vmcnt(0) lgkmcnt(0)
	v_mul_f64 v[114:115], v[114:115], v[116:117]
	s_cbranch_execz .LBB54_390
	s_branch .LBB54_391
.LBB54_389:
                                        ; implicit-def: $vgpr114_vgpr115
.LBB54_390:
	ds_read_b64 v[114:115], v1
.LBB54_391:
	s_and_saveexec_b64 s[8:9], s[2:3]
	s_cbranch_execz .LBB54_395
; %bb.392:
	s_movk_i32 s17, 0x78
	v_add_u32_e32 v116, -15, v0
	s_movk_i32 s18, 0x238
	s_mov_b64 s[2:3], 0
.LBB54_393:                             ; =>This Inner Loop Header: Depth=1
	scratch_load_dwordx2 v[118:119], off, s17
	v_mov_b32_e32 v117, s18
	ds_read_b64 v[120:121], v117
	v_add_u32_e32 v116, -1, v116
	s_add_i32 s18, s18, 8
	s_add_i32 s17, s17, 8
	v_cmp_eq_u32_e32 vcc, 0, v116
	s_or_b64 s[2:3], vcc, s[2:3]
	s_waitcnt vmcnt(0) lgkmcnt(0)
	v_fmac_f64_e32 v[114:115], v[118:119], v[120:121]
	s_andn2_b64 exec, exec, s[2:3]
	s_cbranch_execnz .LBB54_393
; %bb.394:
	s_or_b64 exec, exec, s[2:3]
.LBB54_395:
	s_or_b64 exec, exec, s[8:9]
	v_mov_b32_e32 v116, 0
	ds_read_b64 v[116:117], v116 offset:112
	s_waitcnt lgkmcnt(0)
	v_mul_f64 v[114:115], v[114:115], v[116:117]
	scratch_store_dwordx2 off, v[114:115], off offset:112
.LBB54_396:
	s_or_b64 exec, exec, s[4:5]
	scratch_load_dwordx2 v[114:115], off, off offset:104
	v_cmp_lt_u32_e64 s[2:3], 13, v0
	s_waitcnt vmcnt(0)
	ds_write_b64 v1, v[114:115]
	s_waitcnt lgkmcnt(0)
	; wave barrier
	s_and_saveexec_b64 s[4:5], s[2:3]
	s_cbranch_execz .LBB54_406
; %bb.397:
	s_andn2_b64 vcc, exec, s[6:7]
	s_cbranch_vccnz .LBB54_399
; %bb.398:
	scratch_load_dwordx2 v[114:115], v11, off
	ds_read_b64 v[116:117], v1
	s_waitcnt vmcnt(0) lgkmcnt(0)
	v_mul_f64 v[114:115], v[114:115], v[116:117]
	s_cbranch_execz .LBB54_400
	s_branch .LBB54_401
.LBB54_399:
                                        ; implicit-def: $vgpr114_vgpr115
.LBB54_400:
	ds_read_b64 v[114:115], v1
.LBB54_401:
	s_and_saveexec_b64 s[8:9], s[0:1]
	s_cbranch_execz .LBB54_405
; %bb.402:
	v_add_u32_e32 v116, -14, v0
	s_movk_i32 s17, 0x230
	s_mov_b64 s[0:1], 0
.LBB54_403:                             ; =>This Inner Loop Header: Depth=1
	scratch_load_dwordx2 v[118:119], off, s16
	v_mov_b32_e32 v117, s17
	ds_read_b64 v[120:121], v117
	v_add_u32_e32 v116, -1, v116
	s_add_i32 s17, s17, 8
	s_add_i32 s16, s16, 8
	v_cmp_eq_u32_e32 vcc, 0, v116
	s_or_b64 s[0:1], vcc, s[0:1]
	s_waitcnt vmcnt(0) lgkmcnt(0)
	v_fmac_f64_e32 v[114:115], v[118:119], v[120:121]
	s_andn2_b64 exec, exec, s[0:1]
	s_cbranch_execnz .LBB54_403
; %bb.404:
	s_or_b64 exec, exec, s[0:1]
.LBB54_405:
	s_or_b64 exec, exec, s[8:9]
	v_mov_b32_e32 v116, 0
	ds_read_b64 v[116:117], v116 offset:104
	s_waitcnt lgkmcnt(0)
	v_mul_f64 v[114:115], v[114:115], v[116:117]
	scratch_store_dwordx2 off, v[114:115], off offset:104
.LBB54_406:
	s_or_b64 exec, exec, s[4:5]
	scratch_load_dwordx2 v[114:115], off, off offset:96
	v_cmp_lt_u32_e64 s[0:1], 12, v0
	s_waitcnt vmcnt(0)
	ds_write_b64 v1, v[114:115]
	s_waitcnt lgkmcnt(0)
	; wave barrier
	s_and_saveexec_b64 s[4:5], s[0:1]
	s_cbranch_execz .LBB54_416
; %bb.407:
	s_andn2_b64 vcc, exec, s[6:7]
	s_cbranch_vccnz .LBB54_409
; %bb.408:
	scratch_load_dwordx2 v[114:115], v11, off
	ds_read_b64 v[116:117], v1
	s_waitcnt vmcnt(0) lgkmcnt(0)
	v_mul_f64 v[114:115], v[114:115], v[116:117]
	s_cbranch_execz .LBB54_410
	s_branch .LBB54_411
.LBB54_409:
                                        ; implicit-def: $vgpr114_vgpr115
.LBB54_410:
	ds_read_b64 v[114:115], v1
.LBB54_411:
	s_and_saveexec_b64 s[8:9], s[2:3]
	s_cbranch_execz .LBB54_415
; %bb.412:
	s_movk_i32 s16, 0x68
	v_add_u32_e32 v116, -13, v0
	s_movk_i32 s17, 0x228
	s_mov_b64 s[2:3], 0
.LBB54_413:                             ; =>This Inner Loop Header: Depth=1
	scratch_load_dwordx2 v[118:119], off, s16
	v_mov_b32_e32 v117, s17
	ds_read_b64 v[120:121], v117
	v_add_u32_e32 v116, -1, v116
	s_add_i32 s17, s17, 8
	s_add_i32 s16, s16, 8
	v_cmp_eq_u32_e32 vcc, 0, v116
	s_or_b64 s[2:3], vcc, s[2:3]
	s_waitcnt vmcnt(0) lgkmcnt(0)
	v_fmac_f64_e32 v[114:115], v[118:119], v[120:121]
	s_andn2_b64 exec, exec, s[2:3]
	s_cbranch_execnz .LBB54_413
; %bb.414:
	s_or_b64 exec, exec, s[2:3]
.LBB54_415:
	s_or_b64 exec, exec, s[8:9]
	v_mov_b32_e32 v116, 0
	ds_read_b64 v[116:117], v116 offset:96
	s_waitcnt lgkmcnt(0)
	v_mul_f64 v[114:115], v[114:115], v[116:117]
	scratch_store_dwordx2 off, v[114:115], off offset:96
.LBB54_416:
	s_or_b64 exec, exec, s[4:5]
	scratch_load_dwordx2 v[114:115], off, off offset:88
	v_cmp_lt_u32_e64 s[2:3], 11, v0
	s_waitcnt vmcnt(0)
	ds_write_b64 v1, v[114:115]
	s_waitcnt lgkmcnt(0)
	; wave barrier
	s_and_saveexec_b64 s[4:5], s[2:3]
	s_cbranch_execz .LBB54_426
; %bb.417:
	s_andn2_b64 vcc, exec, s[6:7]
	s_cbranch_vccnz .LBB54_419
; %bb.418:
	scratch_load_dwordx2 v[114:115], v11, off
	ds_read_b64 v[116:117], v1
	s_waitcnt vmcnt(0) lgkmcnt(0)
	v_mul_f64 v[114:115], v[114:115], v[116:117]
	s_cbranch_execz .LBB54_420
	s_branch .LBB54_421
.LBB54_419:
                                        ; implicit-def: $vgpr114_vgpr115
.LBB54_420:
	ds_read_b64 v[114:115], v1
.LBB54_421:
	s_and_saveexec_b64 s[8:9], s[0:1]
	s_cbranch_execz .LBB54_425
; %bb.422:
	v_add_u32_e32 v116, -12, v0
	s_movk_i32 s16, 0x220
	s_mov_b64 s[0:1], 0
.LBB54_423:                             ; =>This Inner Loop Header: Depth=1
	scratch_load_dwordx2 v[118:119], off, s15
	v_mov_b32_e32 v117, s16
	ds_read_b64 v[120:121], v117
	v_add_u32_e32 v116, -1, v116
	s_add_i32 s16, s16, 8
	s_add_i32 s15, s15, 8
	v_cmp_eq_u32_e32 vcc, 0, v116
	s_or_b64 s[0:1], vcc, s[0:1]
	s_waitcnt vmcnt(0) lgkmcnt(0)
	v_fmac_f64_e32 v[114:115], v[118:119], v[120:121]
	s_andn2_b64 exec, exec, s[0:1]
	s_cbranch_execnz .LBB54_423
; %bb.424:
	s_or_b64 exec, exec, s[0:1]
.LBB54_425:
	s_or_b64 exec, exec, s[8:9]
	v_mov_b32_e32 v116, 0
	ds_read_b64 v[116:117], v116 offset:88
	s_waitcnt lgkmcnt(0)
	v_mul_f64 v[114:115], v[114:115], v[116:117]
	scratch_store_dwordx2 off, v[114:115], off offset:88
.LBB54_426:
	s_or_b64 exec, exec, s[4:5]
	scratch_load_dwordx2 v[114:115], off, off offset:80
	v_cmp_lt_u32_e64 s[0:1], 10, v0
	s_waitcnt vmcnt(0)
	ds_write_b64 v1, v[114:115]
	s_waitcnt lgkmcnt(0)
	; wave barrier
	s_and_saveexec_b64 s[4:5], s[0:1]
	s_cbranch_execz .LBB54_436
; %bb.427:
	s_andn2_b64 vcc, exec, s[6:7]
	s_cbranch_vccnz .LBB54_429
; %bb.428:
	scratch_load_dwordx2 v[114:115], v11, off
	ds_read_b64 v[116:117], v1
	s_waitcnt vmcnt(0) lgkmcnt(0)
	v_mul_f64 v[114:115], v[114:115], v[116:117]
	s_cbranch_execz .LBB54_430
	s_branch .LBB54_431
.LBB54_429:
                                        ; implicit-def: $vgpr114_vgpr115
.LBB54_430:
	ds_read_b64 v[114:115], v1
.LBB54_431:
	s_and_saveexec_b64 s[8:9], s[2:3]
	s_cbranch_execz .LBB54_435
; %bb.432:
	s_movk_i32 s15, 0x58
	v_add_u32_e32 v116, -11, v0
	s_movk_i32 s16, 0x218
	s_mov_b64 s[2:3], 0
.LBB54_433:                             ; =>This Inner Loop Header: Depth=1
	scratch_load_dwordx2 v[118:119], off, s15
	v_mov_b32_e32 v117, s16
	ds_read_b64 v[120:121], v117
	v_add_u32_e32 v116, -1, v116
	s_add_i32 s16, s16, 8
	s_add_i32 s15, s15, 8
	v_cmp_eq_u32_e32 vcc, 0, v116
	s_or_b64 s[2:3], vcc, s[2:3]
	s_waitcnt vmcnt(0) lgkmcnt(0)
	v_fmac_f64_e32 v[114:115], v[118:119], v[120:121]
	s_andn2_b64 exec, exec, s[2:3]
	s_cbranch_execnz .LBB54_433
; %bb.434:
	s_or_b64 exec, exec, s[2:3]
.LBB54_435:
	s_or_b64 exec, exec, s[8:9]
	v_mov_b32_e32 v116, 0
	ds_read_b64 v[116:117], v116 offset:80
	s_waitcnt lgkmcnt(0)
	v_mul_f64 v[114:115], v[114:115], v[116:117]
	scratch_store_dwordx2 off, v[114:115], off offset:80
.LBB54_436:
	s_or_b64 exec, exec, s[4:5]
	scratch_load_dwordx2 v[114:115], off, off offset:72
	v_cmp_lt_u32_e64 s[2:3], 9, v0
	s_waitcnt vmcnt(0)
	ds_write_b64 v1, v[114:115]
	s_waitcnt lgkmcnt(0)
	; wave barrier
	s_and_saveexec_b64 s[4:5], s[2:3]
	s_cbranch_execz .LBB54_446
; %bb.437:
	s_andn2_b64 vcc, exec, s[6:7]
	s_cbranch_vccnz .LBB54_439
; %bb.438:
	scratch_load_dwordx2 v[114:115], v11, off
	ds_read_b64 v[116:117], v1
	s_waitcnt vmcnt(0) lgkmcnt(0)
	v_mul_f64 v[114:115], v[114:115], v[116:117]
	s_cbranch_execz .LBB54_440
	s_branch .LBB54_441
.LBB54_439:
                                        ; implicit-def: $vgpr114_vgpr115
.LBB54_440:
	ds_read_b64 v[114:115], v1
.LBB54_441:
	s_and_saveexec_b64 s[8:9], s[0:1]
	s_cbranch_execz .LBB54_445
; %bb.442:
	v_add_u32_e32 v116, -10, v0
	s_movk_i32 s15, 0x210
	s_mov_b64 s[0:1], 0
.LBB54_443:                             ; =>This Inner Loop Header: Depth=1
	scratch_load_dwordx2 v[118:119], off, s14
	v_mov_b32_e32 v117, s15
	ds_read_b64 v[120:121], v117
	v_add_u32_e32 v116, -1, v116
	s_add_i32 s15, s15, 8
	s_add_i32 s14, s14, 8
	v_cmp_eq_u32_e32 vcc, 0, v116
	s_or_b64 s[0:1], vcc, s[0:1]
	s_waitcnt vmcnt(0) lgkmcnt(0)
	v_fmac_f64_e32 v[114:115], v[118:119], v[120:121]
	s_andn2_b64 exec, exec, s[0:1]
	s_cbranch_execnz .LBB54_443
; %bb.444:
	s_or_b64 exec, exec, s[0:1]
.LBB54_445:
	s_or_b64 exec, exec, s[8:9]
	v_mov_b32_e32 v116, 0
	ds_read_b64 v[116:117], v116 offset:72
	s_waitcnt lgkmcnt(0)
	v_mul_f64 v[114:115], v[114:115], v[116:117]
	scratch_store_dwordx2 off, v[114:115], off offset:72
.LBB54_446:
	s_or_b64 exec, exec, s[4:5]
	scratch_load_dwordx2 v[114:115], off, off offset:64
	v_cmp_lt_u32_e64 s[0:1], 8, v0
	s_waitcnt vmcnt(0)
	ds_write_b64 v1, v[114:115]
	s_waitcnt lgkmcnt(0)
	; wave barrier
	s_and_saveexec_b64 s[4:5], s[0:1]
	s_cbranch_execz .LBB54_456
; %bb.447:
	s_andn2_b64 vcc, exec, s[6:7]
	s_cbranch_vccnz .LBB54_449
; %bb.448:
	scratch_load_dwordx2 v[114:115], v11, off
	ds_read_b64 v[116:117], v1
	s_waitcnt vmcnt(0) lgkmcnt(0)
	v_mul_f64 v[114:115], v[114:115], v[116:117]
	s_cbranch_execz .LBB54_450
	s_branch .LBB54_451
.LBB54_449:
                                        ; implicit-def: $vgpr114_vgpr115
.LBB54_450:
	ds_read_b64 v[114:115], v1
.LBB54_451:
	s_and_saveexec_b64 s[8:9], s[2:3]
	s_cbranch_execz .LBB54_455
; %bb.452:
	s_movk_i32 s14, 0x48
	v_add_u32_e32 v116, -9, v0
	s_movk_i32 s15, 0x208
	s_mov_b64 s[2:3], 0
.LBB54_453:                             ; =>This Inner Loop Header: Depth=1
	scratch_load_dwordx2 v[118:119], off, s14
	v_mov_b32_e32 v117, s15
	ds_read_b64 v[120:121], v117
	v_add_u32_e32 v116, -1, v116
	s_add_i32 s15, s15, 8
	s_add_i32 s14, s14, 8
	v_cmp_eq_u32_e32 vcc, 0, v116
	s_or_b64 s[2:3], vcc, s[2:3]
	s_waitcnt vmcnt(0) lgkmcnt(0)
	v_fmac_f64_e32 v[114:115], v[118:119], v[120:121]
	s_andn2_b64 exec, exec, s[2:3]
	s_cbranch_execnz .LBB54_453
; %bb.454:
	s_or_b64 exec, exec, s[2:3]
.LBB54_455:
	s_or_b64 exec, exec, s[8:9]
	v_mov_b32_e32 v116, 0
	ds_read_b64 v[116:117], v116 offset:64
	s_waitcnt lgkmcnt(0)
	v_mul_f64 v[114:115], v[114:115], v[116:117]
	scratch_store_dwordx2 off, v[114:115], off offset:64
.LBB54_456:
	s_or_b64 exec, exec, s[4:5]
	scratch_load_dwordx2 v[114:115], off, off offset:56
	v_cmp_lt_u32_e64 s[2:3], 7, v0
	s_waitcnt vmcnt(0)
	ds_write_b64 v1, v[114:115]
	s_waitcnt lgkmcnt(0)
	; wave barrier
	s_and_saveexec_b64 s[4:5], s[2:3]
	s_cbranch_execz .LBB54_466
; %bb.457:
	s_andn2_b64 vcc, exec, s[6:7]
	s_cbranch_vccnz .LBB54_459
; %bb.458:
	scratch_load_dwordx2 v[114:115], v11, off
	ds_read_b64 v[116:117], v1
	s_waitcnt vmcnt(0) lgkmcnt(0)
	v_mul_f64 v[114:115], v[114:115], v[116:117]
	s_cbranch_execz .LBB54_460
	s_branch .LBB54_461
.LBB54_459:
                                        ; implicit-def: $vgpr114_vgpr115
.LBB54_460:
	ds_read_b64 v[114:115], v1
.LBB54_461:
	s_and_saveexec_b64 s[8:9], s[0:1]
	s_cbranch_execz .LBB54_465
; %bb.462:
	v_add_u32_e32 v116, -8, v0
	s_movk_i32 s14, 0x200
	s_mov_b64 s[0:1], 0
.LBB54_463:                             ; =>This Inner Loop Header: Depth=1
	scratch_load_dwordx2 v[118:119], off, s13
	v_mov_b32_e32 v117, s14
	ds_read_b64 v[120:121], v117
	v_add_u32_e32 v116, -1, v116
	s_add_i32 s14, s14, 8
	s_add_i32 s13, s13, 8
	v_cmp_eq_u32_e32 vcc, 0, v116
	s_or_b64 s[0:1], vcc, s[0:1]
	s_waitcnt vmcnt(0) lgkmcnt(0)
	v_fmac_f64_e32 v[114:115], v[118:119], v[120:121]
	s_andn2_b64 exec, exec, s[0:1]
	s_cbranch_execnz .LBB54_463
; %bb.464:
	s_or_b64 exec, exec, s[0:1]
.LBB54_465:
	s_or_b64 exec, exec, s[8:9]
	v_mov_b32_e32 v116, 0
	ds_read_b64 v[116:117], v116 offset:56
	s_waitcnt lgkmcnt(0)
	v_mul_f64 v[114:115], v[114:115], v[116:117]
	scratch_store_dwordx2 off, v[114:115], off offset:56
.LBB54_466:
	s_or_b64 exec, exec, s[4:5]
	scratch_load_dwordx2 v[114:115], off, off offset:48
	v_cmp_lt_u32_e64 s[0:1], 6, v0
	s_waitcnt vmcnt(0)
	ds_write_b64 v1, v[114:115]
	s_waitcnt lgkmcnt(0)
	; wave barrier
	s_and_saveexec_b64 s[4:5], s[0:1]
	s_cbranch_execz .LBB54_476
; %bb.467:
	s_andn2_b64 vcc, exec, s[6:7]
	s_cbranch_vccnz .LBB54_469
; %bb.468:
	scratch_load_dwordx2 v[114:115], v11, off
	ds_read_b64 v[116:117], v1
	s_waitcnt vmcnt(0) lgkmcnt(0)
	v_mul_f64 v[114:115], v[114:115], v[116:117]
	s_cbranch_execz .LBB54_470
	s_branch .LBB54_471
.LBB54_469:
                                        ; implicit-def: $vgpr114_vgpr115
.LBB54_470:
	ds_read_b64 v[114:115], v1
.LBB54_471:
	s_and_saveexec_b64 s[8:9], s[2:3]
	s_cbranch_execz .LBB54_475
; %bb.472:
	s_mov_b32 s13, 56
	v_add_u32_e32 v116, -7, v0
	s_movk_i32 s14, 0x1f8
	s_mov_b64 s[2:3], 0
.LBB54_473:                             ; =>This Inner Loop Header: Depth=1
	scratch_load_dwordx2 v[118:119], off, s13
	v_mov_b32_e32 v117, s14
	ds_read_b64 v[120:121], v117
	v_add_u32_e32 v116, -1, v116
	s_add_i32 s14, s14, 8
	s_add_i32 s13, s13, 8
	v_cmp_eq_u32_e32 vcc, 0, v116
	s_or_b64 s[2:3], vcc, s[2:3]
	s_waitcnt vmcnt(0) lgkmcnt(0)
	v_fmac_f64_e32 v[114:115], v[118:119], v[120:121]
	s_andn2_b64 exec, exec, s[2:3]
	s_cbranch_execnz .LBB54_473
; %bb.474:
	s_or_b64 exec, exec, s[2:3]
.LBB54_475:
	s_or_b64 exec, exec, s[8:9]
	v_mov_b32_e32 v116, 0
	ds_read_b64 v[116:117], v116 offset:48
	s_waitcnt lgkmcnt(0)
	v_mul_f64 v[114:115], v[114:115], v[116:117]
	scratch_store_dwordx2 off, v[114:115], off offset:48
.LBB54_476:
	s_or_b64 exec, exec, s[4:5]
	scratch_load_dwordx2 v[114:115], off, off offset:40
	v_cmp_lt_u32_e64 s[2:3], 5, v0
	s_waitcnt vmcnt(0)
	ds_write_b64 v1, v[114:115]
	s_waitcnt lgkmcnt(0)
	; wave barrier
	s_and_saveexec_b64 s[4:5], s[2:3]
	s_cbranch_execz .LBB54_486
; %bb.477:
	s_andn2_b64 vcc, exec, s[6:7]
	s_cbranch_vccnz .LBB54_479
; %bb.478:
	scratch_load_dwordx2 v[114:115], v11, off
	ds_read_b64 v[116:117], v1
	s_waitcnt vmcnt(0) lgkmcnt(0)
	v_mul_f64 v[114:115], v[114:115], v[116:117]
	s_cbranch_execz .LBB54_480
	s_branch .LBB54_481
.LBB54_479:
                                        ; implicit-def: $vgpr114_vgpr115
.LBB54_480:
	ds_read_b64 v[114:115], v1
.LBB54_481:
	s_and_saveexec_b64 s[8:9], s[0:1]
	s_cbranch_execz .LBB54_485
; %bb.482:
	v_add_u32_e32 v116, -6, v0
	s_movk_i32 s13, 0x1f0
	s_mov_b64 s[0:1], 0
.LBB54_483:                             ; =>This Inner Loop Header: Depth=1
	scratch_load_dwordx2 v[118:119], off, s12
	v_mov_b32_e32 v117, s13
	ds_read_b64 v[120:121], v117
	v_add_u32_e32 v116, -1, v116
	s_add_i32 s13, s13, 8
	s_add_i32 s12, s12, 8
	v_cmp_eq_u32_e32 vcc, 0, v116
	s_or_b64 s[0:1], vcc, s[0:1]
	s_waitcnt vmcnt(0) lgkmcnt(0)
	v_fmac_f64_e32 v[114:115], v[118:119], v[120:121]
	s_andn2_b64 exec, exec, s[0:1]
	s_cbranch_execnz .LBB54_483
; %bb.484:
	s_or_b64 exec, exec, s[0:1]
.LBB54_485:
	s_or_b64 exec, exec, s[8:9]
	v_mov_b32_e32 v116, 0
	ds_read_b64 v[116:117], v116 offset:40
	s_waitcnt lgkmcnt(0)
	v_mul_f64 v[114:115], v[114:115], v[116:117]
	scratch_store_dwordx2 off, v[114:115], off offset:40
.LBB54_486:
	s_or_b64 exec, exec, s[4:5]
	scratch_load_dwordx2 v[114:115], off, off offset:32
	v_cmp_lt_u32_e64 s[0:1], 4, v0
	s_waitcnt vmcnt(0)
	ds_write_b64 v1, v[114:115]
	s_waitcnt lgkmcnt(0)
	; wave barrier
	s_and_saveexec_b64 s[4:5], s[0:1]
	s_cbranch_execz .LBB54_496
; %bb.487:
	s_andn2_b64 vcc, exec, s[6:7]
	s_cbranch_vccnz .LBB54_489
; %bb.488:
	scratch_load_dwordx2 v[114:115], v11, off
	ds_read_b64 v[116:117], v1
	s_waitcnt vmcnt(0) lgkmcnt(0)
	v_mul_f64 v[114:115], v[114:115], v[116:117]
	s_cbranch_execz .LBB54_490
	s_branch .LBB54_491
.LBB54_489:
                                        ; implicit-def: $vgpr114_vgpr115
.LBB54_490:
	ds_read_b64 v[114:115], v1
.LBB54_491:
	s_and_saveexec_b64 s[8:9], s[2:3]
	s_cbranch_execz .LBB54_495
; %bb.492:
	s_mov_b32 s12, 40
	v_add_u32_e32 v116, -5, v0
	s_movk_i32 s13, 0x1e8
	s_mov_b64 s[2:3], 0
.LBB54_493:                             ; =>This Inner Loop Header: Depth=1
	scratch_load_dwordx2 v[118:119], off, s12
	v_mov_b32_e32 v117, s13
	ds_read_b64 v[120:121], v117
	v_add_u32_e32 v116, -1, v116
	s_add_i32 s13, s13, 8
	s_add_i32 s12, s12, 8
	v_cmp_eq_u32_e32 vcc, 0, v116
	s_or_b64 s[2:3], vcc, s[2:3]
	s_waitcnt vmcnt(0) lgkmcnt(0)
	v_fmac_f64_e32 v[114:115], v[118:119], v[120:121]
	s_andn2_b64 exec, exec, s[2:3]
	s_cbranch_execnz .LBB54_493
; %bb.494:
	s_or_b64 exec, exec, s[2:3]
.LBB54_495:
	s_or_b64 exec, exec, s[8:9]
	v_mov_b32_e32 v116, 0
	ds_read_b64 v[116:117], v116 offset:32
	s_waitcnt lgkmcnt(0)
	v_mul_f64 v[114:115], v[114:115], v[116:117]
	scratch_store_dwordx2 off, v[114:115], off offset:32
.LBB54_496:
	s_or_b64 exec, exec, s[4:5]
	scratch_load_dwordx2 v[114:115], off, off offset:24
	v_cmp_lt_u32_e64 s[2:3], 3, v0
	s_waitcnt vmcnt(0)
	ds_write_b64 v1, v[114:115]
	s_waitcnt lgkmcnt(0)
	; wave barrier
	s_and_saveexec_b64 s[4:5], s[2:3]
	s_cbranch_execz .LBB54_506
; %bb.497:
	s_andn2_b64 vcc, exec, s[6:7]
	s_cbranch_vccnz .LBB54_499
; %bb.498:
	scratch_load_dwordx2 v[114:115], v11, off
	ds_read_b64 v[116:117], v1
	s_waitcnt vmcnt(0) lgkmcnt(0)
	v_mul_f64 v[114:115], v[114:115], v[116:117]
	s_cbranch_execz .LBB54_500
	s_branch .LBB54_501
.LBB54_499:
                                        ; implicit-def: $vgpr114_vgpr115
.LBB54_500:
	ds_read_b64 v[114:115], v1
.LBB54_501:
	s_and_saveexec_b64 s[8:9], s[0:1]
	s_cbranch_execz .LBB54_505
; %bb.502:
	v_add_u32_e32 v116, -4, v0
	s_movk_i32 s12, 0x1e0
	s_mov_b64 s[0:1], 0
.LBB54_503:                             ; =>This Inner Loop Header: Depth=1
	scratch_load_dwordx2 v[118:119], off, s11
	v_mov_b32_e32 v117, s12
	ds_read_b64 v[120:121], v117
	v_add_u32_e32 v116, -1, v116
	s_add_i32 s12, s12, 8
	s_add_i32 s11, s11, 8
	v_cmp_eq_u32_e32 vcc, 0, v116
	s_or_b64 s[0:1], vcc, s[0:1]
	s_waitcnt vmcnt(0) lgkmcnt(0)
	v_fmac_f64_e32 v[114:115], v[118:119], v[120:121]
	s_andn2_b64 exec, exec, s[0:1]
	s_cbranch_execnz .LBB54_503
; %bb.504:
	s_or_b64 exec, exec, s[0:1]
.LBB54_505:
	s_or_b64 exec, exec, s[8:9]
	v_mov_b32_e32 v116, 0
	ds_read_b64 v[116:117], v116 offset:24
	s_waitcnt lgkmcnt(0)
	v_mul_f64 v[114:115], v[114:115], v[116:117]
	scratch_store_dwordx2 off, v[114:115], off offset:24
.LBB54_506:
	s_or_b64 exec, exec, s[4:5]
	scratch_load_dwordx2 v[114:115], off, off offset:16
	v_cmp_lt_u32_e64 s[0:1], 2, v0
	s_waitcnt vmcnt(0)
	ds_write_b64 v1, v[114:115]
	s_waitcnt lgkmcnt(0)
	; wave barrier
	s_and_saveexec_b64 s[4:5], s[0:1]
	s_cbranch_execz .LBB54_516
; %bb.507:
	s_andn2_b64 vcc, exec, s[6:7]
	s_cbranch_vccnz .LBB54_509
; %bb.508:
	scratch_load_dwordx2 v[114:115], v11, off
	ds_read_b64 v[116:117], v1
	s_waitcnt vmcnt(0) lgkmcnt(0)
	v_mul_f64 v[114:115], v[114:115], v[116:117]
	s_cbranch_execz .LBB54_510
	s_branch .LBB54_511
.LBB54_509:
                                        ; implicit-def: $vgpr114_vgpr115
.LBB54_510:
	ds_read_b64 v[114:115], v1
.LBB54_511:
	s_and_saveexec_b64 s[8:9], s[2:3]
	s_cbranch_execz .LBB54_515
; %bb.512:
	s_mov_b32 s11, 24
	v_add_u32_e32 v116, -3, v0
	s_movk_i32 s12, 0x1d8
	s_mov_b64 s[2:3], 0
.LBB54_513:                             ; =>This Inner Loop Header: Depth=1
	scratch_load_dwordx2 v[118:119], off, s11
	v_mov_b32_e32 v117, s12
	ds_read_b64 v[120:121], v117
	v_add_u32_e32 v116, -1, v116
	s_add_i32 s12, s12, 8
	s_add_i32 s11, s11, 8
	v_cmp_eq_u32_e32 vcc, 0, v116
	s_or_b64 s[2:3], vcc, s[2:3]
	s_waitcnt vmcnt(0) lgkmcnt(0)
	v_fmac_f64_e32 v[114:115], v[118:119], v[120:121]
	s_andn2_b64 exec, exec, s[2:3]
	s_cbranch_execnz .LBB54_513
; %bb.514:
	s_or_b64 exec, exec, s[2:3]
.LBB54_515:
	s_or_b64 exec, exec, s[8:9]
	v_mov_b32_e32 v116, 0
	ds_read_b64 v[116:117], v116 offset:16
	s_waitcnt lgkmcnt(0)
	v_mul_f64 v[114:115], v[114:115], v[116:117]
	scratch_store_dwordx2 off, v[114:115], off offset:16
.LBB54_516:
	s_or_b64 exec, exec, s[4:5]
	scratch_load_dwordx2 v[114:115], off, off offset:8
	v_cmp_lt_u32_e64 s[2:3], 1, v0
	s_waitcnt vmcnt(0)
	ds_write_b64 v1, v[114:115]
	s_waitcnt lgkmcnt(0)
	; wave barrier
	s_and_saveexec_b64 s[4:5], s[2:3]
	s_cbranch_execz .LBB54_526
; %bb.517:
	s_andn2_b64 vcc, exec, s[6:7]
	s_cbranch_vccnz .LBB54_519
; %bb.518:
	scratch_load_dwordx2 v[114:115], v11, off
	ds_read_b64 v[116:117], v1
	s_waitcnt vmcnt(0) lgkmcnt(0)
	v_mul_f64 v[114:115], v[114:115], v[116:117]
	s_cbranch_execz .LBB54_520
	s_branch .LBB54_521
.LBB54_519:
                                        ; implicit-def: $vgpr114_vgpr115
.LBB54_520:
	ds_read_b64 v[114:115], v1
.LBB54_521:
	s_and_saveexec_b64 s[8:9], s[0:1]
	s_cbranch_execz .LBB54_525
; %bb.522:
	v_add_u32_e32 v116, -2, v0
	s_movk_i32 s11, 0x1d0
	s_mov_b64 s[0:1], 0
.LBB54_523:                             ; =>This Inner Loop Header: Depth=1
	scratch_load_dwordx2 v[118:119], off, s10
	v_mov_b32_e32 v117, s11
	ds_read_b64 v[120:121], v117
	v_add_u32_e32 v116, -1, v116
	s_add_i32 s11, s11, 8
	s_add_i32 s10, s10, 8
	v_cmp_eq_u32_e32 vcc, 0, v116
	s_or_b64 s[0:1], vcc, s[0:1]
	s_waitcnt vmcnt(0) lgkmcnt(0)
	v_fmac_f64_e32 v[114:115], v[118:119], v[120:121]
	s_andn2_b64 exec, exec, s[0:1]
	s_cbranch_execnz .LBB54_523
; %bb.524:
	s_or_b64 exec, exec, s[0:1]
.LBB54_525:
	s_or_b64 exec, exec, s[8:9]
	v_mov_b32_e32 v116, 0
	ds_read_b64 v[116:117], v116 offset:8
	s_waitcnt lgkmcnt(0)
	v_mul_f64 v[114:115], v[114:115], v[116:117]
	scratch_store_dwordx2 off, v[114:115], off offset:8
.LBB54_526:
	s_or_b64 exec, exec, s[4:5]
	scratch_load_dwordx2 v[114:115], off, off
	v_cmp_ne_u32_e32 vcc, 0, v0
	s_waitcnt vmcnt(0)
	ds_write_b64 v1, v[114:115]
	s_waitcnt lgkmcnt(0)
	; wave barrier
	s_and_saveexec_b64 s[0:1], vcc
	s_cbranch_execz .LBB54_536
; %bb.527:
	s_andn2_b64 vcc, exec, s[6:7]
	s_cbranch_vccnz .LBB54_529
; %bb.528:
	scratch_load_dwordx2 v[114:115], v11, off
	ds_read_b64 v[116:117], v1
	s_waitcnt vmcnt(0) lgkmcnt(0)
	v_mul_f64 v[114:115], v[114:115], v[116:117]
	s_cbranch_execz .LBB54_530
	s_branch .LBB54_531
.LBB54_529:
                                        ; implicit-def: $vgpr114_vgpr115
.LBB54_530:
	ds_read_b64 v[114:115], v1
.LBB54_531:
	s_and_saveexec_b64 s[4:5], s[2:3]
	s_cbranch_execz .LBB54_535
; %bb.532:
	s_or_b32 s8, 0, 8
	v_add_u32_e32 v116, -1, v0
	s_movk_i32 s9, 0x1c8
	s_mov_b64 s[2:3], 0
.LBB54_533:                             ; =>This Inner Loop Header: Depth=1
	scratch_load_dwordx2 v[118:119], off, s8
	v_mov_b32_e32 v117, s9
	ds_read_b64 v[120:121], v117
	v_add_u32_e32 v116, -1, v116
	s_add_i32 s9, s9, 8
	s_add_i32 s8, s8, 8
	v_cmp_eq_u32_e32 vcc, 0, v116
	s_or_b64 s[2:3], vcc, s[2:3]
	s_waitcnt vmcnt(0) lgkmcnt(0)
	v_fmac_f64_e32 v[114:115], v[118:119], v[120:121]
	s_andn2_b64 exec, exec, s[2:3]
	s_cbranch_execnz .LBB54_533
; %bb.534:
	s_or_b64 exec, exec, s[2:3]
.LBB54_535:
	s_or_b64 exec, exec, s[4:5]
	v_mov_b32_e32 v116, 0
	ds_read_b64 v[116:117], v116
	s_waitcnt lgkmcnt(0)
	v_mul_f64 v[114:115], v[114:115], v[116:117]
	scratch_store_dwordx2 off, v[114:115], off
.LBB54_536:
	s_or_b64 exec, exec, s[0:1]
	s_mov_b64 s[0:1], 0
.LBB54_537:
	s_and_b64 vcc, exec, s[0:1]
	s_cbranch_vccz .LBB54_1069
; %bb.538:
	scratch_load_dwordx2 v[114:115], off, off offset:8
	v_cmp_eq_u32_e64 s[2:3], 0, v0
	s_waitcnt vmcnt(0)
	ds_write_b64 v1, v[114:115]
	s_waitcnt lgkmcnt(0)
	; wave barrier
	s_and_saveexec_b64 s[0:1], s[2:3]
	s_cbranch_execz .LBB54_544
; %bb.539:
	s_and_b64 vcc, exec, s[6:7]
	s_cbranch_vccz .LBB54_541
; %bb.540:
	scratch_load_dwordx2 v[114:115], v11, off
	ds_read_b64 v[116:117], v1
	s_waitcnt vmcnt(0) lgkmcnt(0)
	v_mul_f64 v[114:115], v[114:115], v[116:117]
	s_cbranch_execz .LBB54_542
	s_branch .LBB54_543
.LBB54_541:
                                        ; implicit-def: $vgpr114_vgpr115
.LBB54_542:
	ds_read_b64 v[114:115], v1
.LBB54_543:
	v_mov_b32_e32 v116, 0
	ds_read_b64 v[116:117], v116 offset:8
	s_waitcnt lgkmcnt(0)
	v_mul_f64 v[114:115], v[114:115], v[116:117]
	scratch_store_dwordx2 off, v[114:115], off offset:8
.LBB54_544:
	s_or_b64 exec, exec, s[0:1]
	scratch_load_dwordx2 v[114:115], off, off offset:16
	v_cndmask_b32_e64 v116, 0, 1, s[6:7]
	v_cmp_gt_u32_e32 vcc, 2, v0
	v_cmp_ne_u32_e64 s[0:1], 1, v116
	s_waitcnt vmcnt(0)
	ds_write_b64 v1, v[114:115]
	s_waitcnt lgkmcnt(0)
	; wave barrier
	s_and_saveexec_b64 s[4:5], vcc
	s_cbranch_execz .LBB54_550
; %bb.545:
	s_and_b64 vcc, exec, s[0:1]
	s_cbranch_vccnz .LBB54_547
; %bb.546:
	scratch_load_dwordx2 v[114:115], v11, off
	ds_read_b64 v[116:117], v1
	s_waitcnt vmcnt(0) lgkmcnt(0)
	v_mul_f64 v[114:115], v[114:115], v[116:117]
	s_cbranch_execz .LBB54_548
	s_branch .LBB54_549
.LBB54_547:
                                        ; implicit-def: $vgpr114_vgpr115
.LBB54_548:
	ds_read_b64 v[114:115], v1
.LBB54_549:
	scratch_load_dwordx2 v[120:121], off, off offset:8
	v_mov_b32_e32 v116, 0
	ds_read2_b64 v[116:119], v116 offset0:2 offset1:57
	s_waitcnt vmcnt(0) lgkmcnt(0)
	v_fma_f64 v[118:119], v[120:121], v[118:119], v[114:115]
	v_cndmask_b32_e64 v115, v115, v119, s[2:3]
	v_cndmask_b32_e64 v114, v114, v118, s[2:3]
	v_mul_f64 v[114:115], v[114:115], v[116:117]
	scratch_store_dwordx2 off, v[114:115], off offset:16
.LBB54_550:
	s_or_b64 exec, exec, s[4:5]
	scratch_load_dwordx2 v[114:115], off, off offset:24
	v_cmp_gt_u32_e32 vcc, 3, v0
	s_waitcnt vmcnt(0)
	ds_write_b64 v1, v[114:115]
	s_waitcnt lgkmcnt(0)
	; wave barrier
	s_and_saveexec_b64 s[4:5], vcc
	s_cbranch_execz .LBB54_558
; %bb.551:
	s_and_b64 vcc, exec, s[0:1]
	s_cbranch_vccnz .LBB54_553
; %bb.552:
	scratch_load_dwordx2 v[114:115], v11, off
	ds_read_b64 v[116:117], v1
	s_waitcnt vmcnt(0) lgkmcnt(0)
	v_mul_f64 v[114:115], v[114:115], v[116:117]
	s_cbranch_execz .LBB54_554
	s_branch .LBB54_555
.LBB54_553:
                                        ; implicit-def: $vgpr114_vgpr115
.LBB54_554:
	ds_read_b64 v[114:115], v1
.LBB54_555:
	v_cmp_ne_u32_e32 vcc, 2, v0
	s_and_saveexec_b64 s[6:7], vcc
	s_cbranch_execz .LBB54_557
; %bb.556:
	scratch_load_dwordx2 v[116:117], v11, off offset:8
	scratch_load_dwordx2 v[118:119], off, off offset:16
	ds_read_b64 v[120:121], v1 offset:8
	v_mov_b32_e32 v122, 0
	ds_read_b64 v[122:123], v122 offset:464
	s_waitcnt vmcnt(1) lgkmcnt(1)
	v_fmac_f64_e32 v[114:115], v[116:117], v[120:121]
	s_waitcnt vmcnt(0) lgkmcnt(0)
	v_fma_f64 v[116:117], v[118:119], v[122:123], v[114:115]
	v_cndmask_b32_e64 v115, v115, v117, s[2:3]
	v_cndmask_b32_e64 v114, v114, v116, s[2:3]
.LBB54_557:
	s_or_b64 exec, exec, s[6:7]
	v_mov_b32_e32 v116, 0
	ds_read_b64 v[116:117], v116 offset:24
	s_waitcnt lgkmcnt(0)
	v_mul_f64 v[114:115], v[114:115], v[116:117]
	scratch_store_dwordx2 off, v[114:115], off offset:24
.LBB54_558:
	s_or_b64 exec, exec, s[4:5]
	scratch_load_dwordx2 v[114:115], off, off offset:32
	v_cmp_gt_u32_e32 vcc, 4, v0
	s_waitcnt vmcnt(0)
	ds_write_b64 v1, v[114:115]
	s_waitcnt lgkmcnt(0)
	; wave barrier
	s_and_saveexec_b64 s[2:3], vcc
	s_cbranch_execz .LBB54_568
; %bb.559:
	s_and_b64 vcc, exec, s[0:1]
	s_cbranch_vccnz .LBB54_561
; %bb.560:
	scratch_load_dwordx2 v[114:115], v11, off
	ds_read_b64 v[116:117], v1
	s_waitcnt vmcnt(0) lgkmcnt(0)
	v_mul_f64 v[114:115], v[114:115], v[116:117]
	s_cbranch_execz .LBB54_562
	s_branch .LBB54_563
.LBB54_561:
                                        ; implicit-def: $vgpr114_vgpr115
.LBB54_562:
	ds_read_b64 v[114:115], v1
.LBB54_563:
	v_cmp_ne_u32_e32 vcc, 3, v0
	s_and_saveexec_b64 s[4:5], vcc
	s_cbranch_execz .LBB54_567
; %bb.564:
	s_mov_b32 s6, 0
	v_add_u32_e32 v116, 0x1c8, v10
	v_add3_u32 v117, v10, s6, 8
	s_mov_b64 s[6:7], 0
	v_mov_b32_e32 v118, v0
.LBB54_565:                             ; =>This Inner Loop Header: Depth=1
	scratch_load_dwordx2 v[120:121], v117, off
	ds_read_b64 v[122:123], v116
	v_add_u32_e32 v118, 1, v118
	v_cmp_lt_u32_e32 vcc, 2, v118
	v_add_u32_e32 v116, 8, v116
	v_add_u32_e32 v117, 8, v117
	s_or_b64 s[6:7], vcc, s[6:7]
	s_waitcnt vmcnt(0) lgkmcnt(0)
	v_fmac_f64_e32 v[114:115], v[120:121], v[122:123]
	s_andn2_b64 exec, exec, s[6:7]
	s_cbranch_execnz .LBB54_565
; %bb.566:
	s_or_b64 exec, exec, s[6:7]
.LBB54_567:
	s_or_b64 exec, exec, s[4:5]
	v_mov_b32_e32 v116, 0
	ds_read_b64 v[116:117], v116 offset:32
	s_waitcnt lgkmcnt(0)
	v_mul_f64 v[114:115], v[114:115], v[116:117]
	scratch_store_dwordx2 off, v[114:115], off offset:32
.LBB54_568:
	s_or_b64 exec, exec, s[2:3]
	scratch_load_dwordx2 v[114:115], off, off offset:40
	v_cmp_gt_u32_e32 vcc, 5, v0
	s_waitcnt vmcnt(0)
	ds_write_b64 v1, v[114:115]
	s_waitcnt lgkmcnt(0)
	; wave barrier
	s_and_saveexec_b64 s[2:3], vcc
	s_cbranch_execz .LBB54_578
; %bb.569:
	s_and_b64 vcc, exec, s[0:1]
	s_cbranch_vccnz .LBB54_571
; %bb.570:
	scratch_load_dwordx2 v[114:115], v11, off
	ds_read_b64 v[116:117], v1
	s_waitcnt vmcnt(0) lgkmcnt(0)
	v_mul_f64 v[114:115], v[114:115], v[116:117]
	s_cbranch_execz .LBB54_572
	s_branch .LBB54_573
.LBB54_571:
                                        ; implicit-def: $vgpr114_vgpr115
.LBB54_572:
	ds_read_b64 v[114:115], v1
.LBB54_573:
	v_cmp_ne_u32_e32 vcc, 4, v0
	s_and_saveexec_b64 s[4:5], vcc
	s_cbranch_execz .LBB54_577
; %bb.574:
	s_mov_b32 s6, 0
	v_add_u32_e32 v116, 0x1c8, v10
	v_add3_u32 v117, v10, s6, 8
	s_mov_b64 s[6:7], 0
	v_mov_b32_e32 v118, v0
.LBB54_575:                             ; =>This Inner Loop Header: Depth=1
	scratch_load_dwordx2 v[120:121], v117, off
	ds_read_b64 v[122:123], v116
	v_add_u32_e32 v118, 1, v118
	v_cmp_lt_u32_e32 vcc, 3, v118
	v_add_u32_e32 v116, 8, v116
	v_add_u32_e32 v117, 8, v117
	s_or_b64 s[6:7], vcc, s[6:7]
	s_waitcnt vmcnt(0) lgkmcnt(0)
	v_fmac_f64_e32 v[114:115], v[120:121], v[122:123]
	s_andn2_b64 exec, exec, s[6:7]
	s_cbranch_execnz .LBB54_575
; %bb.576:
	s_or_b64 exec, exec, s[6:7]
.LBB54_577:
	s_or_b64 exec, exec, s[4:5]
	v_mov_b32_e32 v116, 0
	ds_read_b64 v[116:117], v116 offset:40
	s_waitcnt lgkmcnt(0)
	v_mul_f64 v[114:115], v[114:115], v[116:117]
	scratch_store_dwordx2 off, v[114:115], off offset:40
.LBB54_578:
	;; [unrolled: 55-line block ×44, first 2 shown]
	s_or_b64 exec, exec, s[2:3]
	scratch_load_dwordx2 v[114:115], off, off offset:384
	v_cmp_gt_u32_e32 vcc, 48, v0
	s_waitcnt vmcnt(0)
	ds_write_b64 v1, v[114:115]
	s_waitcnt lgkmcnt(0)
	; wave barrier
	s_and_saveexec_b64 s[2:3], vcc
	s_cbranch_execz .LBB54_1008
; %bb.999:
	s_and_b64 vcc, exec, s[0:1]
	s_cbranch_vccnz .LBB54_1001
; %bb.1000:
	scratch_load_dwordx2 v[114:115], v11, off
	ds_read_b64 v[116:117], v1
	s_waitcnt vmcnt(0) lgkmcnt(0)
	v_mul_f64 v[114:115], v[114:115], v[116:117]
	s_cbranch_execz .LBB54_1002
	s_branch .LBB54_1003
.LBB54_1001:
                                        ; implicit-def: $vgpr114_vgpr115
.LBB54_1002:
	ds_read_b64 v[114:115], v1
.LBB54_1003:
	v_cmp_ne_u32_e32 vcc, 47, v0
	s_and_saveexec_b64 s[4:5], vcc
	s_cbranch_execz .LBB54_1007
; %bb.1004:
	s_mov_b32 s6, 0
	v_add_u32_e32 v116, 0x1c8, v10
	v_add3_u32 v117, v10, s6, 8
	s_mov_b64 s[6:7], 0
	v_mov_b32_e32 v118, v0
.LBB54_1005:                            ; =>This Inner Loop Header: Depth=1
	scratch_load_dwordx2 v[120:121], v117, off
	ds_read_b64 v[122:123], v116
	v_add_u32_e32 v118, 1, v118
	v_cmp_lt_u32_e32 vcc, 46, v118
	v_add_u32_e32 v116, 8, v116
	v_add_u32_e32 v117, 8, v117
	s_or_b64 s[6:7], vcc, s[6:7]
	s_waitcnt vmcnt(0) lgkmcnt(0)
	v_fmac_f64_e32 v[114:115], v[120:121], v[122:123]
	s_andn2_b64 exec, exec, s[6:7]
	s_cbranch_execnz .LBB54_1005
; %bb.1006:
	s_or_b64 exec, exec, s[6:7]
.LBB54_1007:
	s_or_b64 exec, exec, s[4:5]
	v_mov_b32_e32 v116, 0
	ds_read_b64 v[116:117], v116 offset:384
	s_waitcnt lgkmcnt(0)
	v_mul_f64 v[114:115], v[114:115], v[116:117]
	scratch_store_dwordx2 off, v[114:115], off offset:384
.LBB54_1008:
	s_or_b64 exec, exec, s[2:3]
	scratch_load_dwordx2 v[114:115], off, off offset:392
	v_cmp_gt_u32_e32 vcc, 49, v0
	s_waitcnt vmcnt(0)
	ds_write_b64 v1, v[114:115]
	s_waitcnt lgkmcnt(0)
	; wave barrier
	s_and_saveexec_b64 s[2:3], vcc
	s_cbranch_execz .LBB54_1018
; %bb.1009:
	s_and_b64 vcc, exec, s[0:1]
	s_cbranch_vccnz .LBB54_1011
; %bb.1010:
	scratch_load_dwordx2 v[114:115], v11, off
	ds_read_b64 v[116:117], v1
	s_waitcnt vmcnt(0) lgkmcnt(0)
	v_mul_f64 v[114:115], v[114:115], v[116:117]
	s_cbranch_execz .LBB54_1012
	s_branch .LBB54_1013
.LBB54_1011:
                                        ; implicit-def: $vgpr114_vgpr115
.LBB54_1012:
	ds_read_b64 v[114:115], v1
.LBB54_1013:
	v_cmp_ne_u32_e32 vcc, 48, v0
	s_and_saveexec_b64 s[4:5], vcc
	s_cbranch_execz .LBB54_1017
; %bb.1014:
	s_mov_b32 s6, 0
	v_add_u32_e32 v116, 0x1c8, v10
	v_add3_u32 v117, v10, s6, 8
	s_mov_b64 s[6:7], 0
	v_mov_b32_e32 v118, v0
.LBB54_1015:                            ; =>This Inner Loop Header: Depth=1
	scratch_load_dwordx2 v[120:121], v117, off
	ds_read_b64 v[122:123], v116
	v_add_u32_e32 v118, 1, v118
	v_cmp_lt_u32_e32 vcc, 47, v118
	v_add_u32_e32 v116, 8, v116
	v_add_u32_e32 v117, 8, v117
	s_or_b64 s[6:7], vcc, s[6:7]
	s_waitcnt vmcnt(0) lgkmcnt(0)
	v_fmac_f64_e32 v[114:115], v[120:121], v[122:123]
	s_andn2_b64 exec, exec, s[6:7]
	s_cbranch_execnz .LBB54_1015
; %bb.1016:
	s_or_b64 exec, exec, s[6:7]
.LBB54_1017:
	s_or_b64 exec, exec, s[4:5]
	v_mov_b32_e32 v116, 0
	ds_read_b64 v[116:117], v116 offset:392
	s_waitcnt lgkmcnt(0)
	v_mul_f64 v[114:115], v[114:115], v[116:117]
	scratch_store_dwordx2 off, v[114:115], off offset:392
.LBB54_1018:
	;; [unrolled: 55-line block ×5, first 2 shown]
	s_or_b64 exec, exec, s[2:3]
	scratch_load_dwordx2 v[114:115], off, off offset:424
	v_cmp_gt_u32_e64 s[2:3], 53, v0
	s_waitcnt vmcnt(0)
	ds_write_b64 v1, v[114:115]
	s_waitcnt lgkmcnt(0)
	; wave barrier
	s_and_saveexec_b64 s[4:5], s[2:3]
	s_cbranch_execz .LBB54_1058
; %bb.1049:
	s_and_b64 vcc, exec, s[0:1]
	s_cbranch_vccnz .LBB54_1051
; %bb.1050:
	scratch_load_dwordx2 v[114:115], v11, off
	ds_read_b64 v[116:117], v1
	s_waitcnt vmcnt(0) lgkmcnt(0)
	v_mul_f64 v[114:115], v[114:115], v[116:117]
	s_cbranch_execz .LBB54_1052
	s_branch .LBB54_1053
.LBB54_1051:
                                        ; implicit-def: $vgpr114_vgpr115
.LBB54_1052:
	ds_read_b64 v[114:115], v1
.LBB54_1053:
	v_cmp_ne_u32_e32 vcc, 52, v0
	s_and_saveexec_b64 s[6:7], vcc
	s_cbranch_execz .LBB54_1057
; %bb.1054:
	s_mov_b32 s8, 0
	v_add_u32_e32 v116, 0x1c8, v10
	v_add3_u32 v117, v10, s8, 8
	s_mov_b64 s[8:9], 0
	v_mov_b32_e32 v118, v0
.LBB54_1055:                            ; =>This Inner Loop Header: Depth=1
	scratch_load_dwordx2 v[120:121], v117, off
	ds_read_b64 v[122:123], v116
	v_add_u32_e32 v118, 1, v118
	v_cmp_lt_u32_e32 vcc, 51, v118
	v_add_u32_e32 v116, 8, v116
	v_add_u32_e32 v117, 8, v117
	s_or_b64 s[8:9], vcc, s[8:9]
	s_waitcnt vmcnt(0) lgkmcnt(0)
	v_fmac_f64_e32 v[114:115], v[120:121], v[122:123]
	s_andn2_b64 exec, exec, s[8:9]
	s_cbranch_execnz .LBB54_1055
; %bb.1056:
	s_or_b64 exec, exec, s[8:9]
.LBB54_1057:
	s_or_b64 exec, exec, s[6:7]
	v_mov_b32_e32 v116, 0
	ds_read_b64 v[116:117], v116 offset:424
	s_waitcnt lgkmcnt(0)
	v_mul_f64 v[114:115], v[114:115], v[116:117]
	scratch_store_dwordx2 off, v[114:115], off offset:424
.LBB54_1058:
	s_or_b64 exec, exec, s[4:5]
	scratch_load_dwordx2 v[114:115], off, off offset:432
	v_cmp_ne_u32_e32 vcc, 54, v0
	s_waitcnt vmcnt(0)
	ds_write_b64 v1, v[114:115]
	s_waitcnt lgkmcnt(0)
	; wave barrier
	s_and_saveexec_b64 s[4:5], vcc
	s_cbranch_execz .LBB54_1068
; %bb.1059:
	s_and_b64 vcc, exec, s[0:1]
	s_cbranch_vccnz .LBB54_1061
; %bb.1060:
	scratch_load_dwordx2 v[114:115], v11, off
	ds_read_b64 v[116:117], v1
	s_waitcnt vmcnt(0) lgkmcnt(0)
	v_mul_f64 v[114:115], v[114:115], v[116:117]
	s_cbranch_execz .LBB54_1062
	s_branch .LBB54_1063
.LBB54_1061:
                                        ; implicit-def: $vgpr114_vgpr115
.LBB54_1062:
	ds_read_b64 v[114:115], v1
.LBB54_1063:
	s_and_saveexec_b64 s[0:1], s[2:3]
	s_cbranch_execz .LBB54_1067
; %bb.1064:
	s_mov_b32 s2, 0
	v_add_u32_e32 v1, 0x1c8, v10
	v_add3_u32 v10, v10, s2, 8
	s_mov_b64 s[2:3], 0
.LBB54_1065:                            ; =>This Inner Loop Header: Depth=1
	scratch_load_dwordx2 v[116:117], v10, off
	ds_read_b64 v[118:119], v1
	v_add_u32_e32 v0, 1, v0
	v_cmp_lt_u32_e32 vcc, 52, v0
	v_add_u32_e32 v1, 8, v1
	v_add_u32_e32 v10, 8, v10
	s_or_b64 s[2:3], vcc, s[2:3]
	s_waitcnt vmcnt(0) lgkmcnt(0)
	v_fmac_f64_e32 v[114:115], v[116:117], v[118:119]
	s_andn2_b64 exec, exec, s[2:3]
	s_cbranch_execnz .LBB54_1065
; %bb.1066:
	s_or_b64 exec, exec, s[2:3]
.LBB54_1067:
	s_or_b64 exec, exec, s[0:1]
	v_mov_b32_e32 v0, 0
	ds_read_b64 v[0:1], v0 offset:432
	s_waitcnt lgkmcnt(0)
	v_mul_f64 v[0:1], v[114:115], v[0:1]
	scratch_store_dwordx2 off, v[0:1], off offset:432
.LBB54_1068:
	s_or_b64 exec, exec, s[4:5]
.LBB54_1069:
	scratch_load_dwordx4 v[114:117], off, off
	s_waitcnt vmcnt(0)
	global_store_dwordx2 v[2:3], v[114:115], off
	global_store_dwordx2 v[4:5], v[116:117], off
	scratch_load_dwordx4 v[0:3], off, off offset:16
	s_waitcnt vmcnt(0)
	global_store_dwordx2 v[6:7], v[0:1], off
	global_store_dwordx2 v[8:9], v[2:3], off
	scratch_load_dwordx4 v[0:3], off, off offset:32
	s_waitcnt vmcnt(0)
	global_store_dwordx2 v[12:13], v[0:1], off
	global_store_dwordx2 v[14:15], v[2:3], off
	scratch_load_dwordx4 v[0:3], off, off offset:48
	s_waitcnt vmcnt(0)
	global_store_dwordx2 v[16:17], v[0:1], off
	global_store_dwordx2 v[18:19], v[2:3], off
	scratch_load_dwordx4 v[0:3], off, off offset:64
	s_waitcnt vmcnt(0)
	global_store_dwordx2 v[20:21], v[0:1], off
	global_store_dwordx2 v[22:23], v[2:3], off
	scratch_load_dwordx4 v[0:3], off, off offset:80
	s_waitcnt vmcnt(0)
	global_store_dwordx2 v[24:25], v[0:1], off
	global_store_dwordx2 v[26:27], v[2:3], off
	scratch_load_dwordx4 v[0:3], off, off offset:96
	s_waitcnt vmcnt(0)
	global_store_dwordx2 v[28:29], v[0:1], off
	global_store_dwordx2 v[30:31], v[2:3], off
	scratch_load_dwordx4 v[0:3], off, off offset:112
	s_waitcnt vmcnt(0)
	global_store_dwordx2 v[32:33], v[0:1], off
	global_store_dwordx2 v[34:35], v[2:3], off
	scratch_load_dwordx4 v[0:3], off, off offset:128
	s_waitcnt vmcnt(0)
	global_store_dwordx2 v[36:37], v[0:1], off
	global_store_dwordx2 v[38:39], v[2:3], off
	scratch_load_dwordx4 v[0:3], off, off offset:144
	s_waitcnt vmcnt(0)
	global_store_dwordx2 v[40:41], v[0:1], off
	global_store_dwordx2 v[42:43], v[2:3], off
	scratch_load_dwordx4 v[0:3], off, off offset:160
	s_waitcnt vmcnt(0)
	global_store_dwordx2 v[44:45], v[0:1], off
	global_store_dwordx2 v[46:47], v[2:3], off
	scratch_load_dwordx4 v[0:3], off, off offset:176
	s_waitcnt vmcnt(0)
	global_store_dwordx2 v[48:49], v[0:1], off
	global_store_dwordx2 v[50:51], v[2:3], off
	scratch_load_dwordx4 v[0:3], off, off offset:192
	s_waitcnt vmcnt(0)
	global_store_dwordx2 v[52:53], v[0:1], off
	global_store_dwordx2 v[54:55], v[2:3], off
	scratch_load_dwordx4 v[0:3], off, off offset:208
	s_waitcnt vmcnt(0)
	global_store_dwordx2 v[56:57], v[0:1], off
	global_store_dwordx2 v[58:59], v[2:3], off
	scratch_load_dwordx4 v[0:3], off, off offset:224
	s_waitcnt vmcnt(0)
	global_store_dwordx2 v[60:61], v[0:1], off
	global_store_dwordx2 v[62:63], v[2:3], off
	scratch_load_dwordx4 v[0:3], off, off offset:240
	s_waitcnt vmcnt(0)
	global_store_dwordx2 v[64:65], v[0:1], off
	global_store_dwordx2 v[66:67], v[2:3], off
	scratch_load_dwordx4 v[0:3], off, off offset:256
	s_waitcnt vmcnt(0)
	global_store_dwordx2 v[68:69], v[0:1], off
	global_store_dwordx2 v[70:71], v[2:3], off
	scratch_load_dwordx4 v[0:3], off, off offset:272
	s_waitcnt vmcnt(0)
	global_store_dwordx2 v[72:73], v[0:1], off
	global_store_dwordx2 v[74:75], v[2:3], off
	scratch_load_dwordx4 v[0:3], off, off offset:288
	s_waitcnt vmcnt(0)
	global_store_dwordx2 v[76:77], v[0:1], off
	global_store_dwordx2 v[78:79], v[2:3], off
	scratch_load_dwordx4 v[0:3], off, off offset:304
	s_waitcnt vmcnt(0)
	global_store_dwordx2 v[80:81], v[0:1], off
	global_store_dwordx2 v[82:83], v[2:3], off
	scratch_load_dwordx4 v[0:3], off, off offset:320
	s_waitcnt vmcnt(0)
	global_store_dwordx2 v[84:85], v[0:1], off
	global_store_dwordx2 v[86:87], v[2:3], off
	scratch_load_dwordx4 v[0:3], off, off offset:336
	s_waitcnt vmcnt(0)
	global_store_dwordx2 v[88:89], v[0:1], off
	global_store_dwordx2 v[90:91], v[2:3], off
	scratch_load_dwordx4 v[0:3], off, off offset:352
	s_waitcnt vmcnt(0)
	global_store_dwordx2 v[92:93], v[0:1], off
	global_store_dwordx2 v[94:95], v[2:3], off
	scratch_load_dwordx4 v[0:3], off, off offset:368
	s_waitcnt vmcnt(0)
	global_store_dwordx2 v[96:97], v[0:1], off
	global_store_dwordx2 v[98:99], v[2:3], off
	scratch_load_dwordx4 v[0:3], off, off offset:384
	s_waitcnt vmcnt(0)
	global_store_dwordx2 v[100:101], v[0:1], off
	global_store_dwordx2 v[102:103], v[2:3], off
	scratch_load_dwordx4 v[0:3], off, off offset:400
	s_waitcnt vmcnt(0)
	global_store_dwordx2 v[104:105], v[0:1], off
	global_store_dwordx2 v[108:109], v[2:3], off
	scratch_load_dwordx4 v[0:3], off, off offset:416
	s_waitcnt vmcnt(0)
	global_store_dwordx2 v[110:111], v[0:1], off
	global_store_dwordx2 v[112:113], v[2:3], off
	scratch_load_dwordx2 v[0:1], off, off offset:432
	s_waitcnt vmcnt(0)
	global_store_dwordx2 v[106:107], v[0:1], off
.LBB54_1070:
	s_endpgm
	.section	.rodata,"a",@progbits
	.p2align	6, 0x0
	.amdhsa_kernel _ZN9rocsolver6v33100L18trti2_kernel_smallILi55EdPdEEv13rocblas_fill_17rocblas_diagonal_T1_iil
		.amdhsa_group_segment_fixed_size 888
		.amdhsa_private_segment_fixed_size 448
		.amdhsa_kernarg_size 32
		.amdhsa_user_sgpr_count 2
		.amdhsa_user_sgpr_dispatch_ptr 0
		.amdhsa_user_sgpr_queue_ptr 0
		.amdhsa_user_sgpr_kernarg_segment_ptr 1
		.amdhsa_user_sgpr_dispatch_id 0
		.amdhsa_user_sgpr_kernarg_preload_length 0
		.amdhsa_user_sgpr_kernarg_preload_offset 0
		.amdhsa_user_sgpr_private_segment_size 0
		.amdhsa_uses_dynamic_stack 0
		.amdhsa_enable_private_segment 1
		.amdhsa_system_sgpr_workgroup_id_x 1
		.amdhsa_system_sgpr_workgroup_id_y 0
		.amdhsa_system_sgpr_workgroup_id_z 0
		.amdhsa_system_sgpr_workgroup_info 0
		.amdhsa_system_vgpr_workitem_id 0
		.amdhsa_next_free_vgpr 124
		.amdhsa_next_free_sgpr 38
		.amdhsa_accum_offset 124
		.amdhsa_reserve_vcc 1
		.amdhsa_float_round_mode_32 0
		.amdhsa_float_round_mode_16_64 0
		.amdhsa_float_denorm_mode_32 3
		.amdhsa_float_denorm_mode_16_64 3
		.amdhsa_dx10_clamp 1
		.amdhsa_ieee_mode 1
		.amdhsa_fp16_overflow 0
		.amdhsa_tg_split 0
		.amdhsa_exception_fp_ieee_invalid_op 0
		.amdhsa_exception_fp_denorm_src 0
		.amdhsa_exception_fp_ieee_div_zero 0
		.amdhsa_exception_fp_ieee_overflow 0
		.amdhsa_exception_fp_ieee_underflow 0
		.amdhsa_exception_fp_ieee_inexact 0
		.amdhsa_exception_int_div_zero 0
	.end_amdhsa_kernel
	.section	.text._ZN9rocsolver6v33100L18trti2_kernel_smallILi55EdPdEEv13rocblas_fill_17rocblas_diagonal_T1_iil,"axG",@progbits,_ZN9rocsolver6v33100L18trti2_kernel_smallILi55EdPdEEv13rocblas_fill_17rocblas_diagonal_T1_iil,comdat
.Lfunc_end54:
	.size	_ZN9rocsolver6v33100L18trti2_kernel_smallILi55EdPdEEv13rocblas_fill_17rocblas_diagonal_T1_iil, .Lfunc_end54-_ZN9rocsolver6v33100L18trti2_kernel_smallILi55EdPdEEv13rocblas_fill_17rocblas_diagonal_T1_iil
                                        ; -- End function
	.set _ZN9rocsolver6v33100L18trti2_kernel_smallILi55EdPdEEv13rocblas_fill_17rocblas_diagonal_T1_iil.num_vgpr, 124
	.set _ZN9rocsolver6v33100L18trti2_kernel_smallILi55EdPdEEv13rocblas_fill_17rocblas_diagonal_T1_iil.num_agpr, 0
	.set _ZN9rocsolver6v33100L18trti2_kernel_smallILi55EdPdEEv13rocblas_fill_17rocblas_diagonal_T1_iil.numbered_sgpr, 38
	.set _ZN9rocsolver6v33100L18trti2_kernel_smallILi55EdPdEEv13rocblas_fill_17rocblas_diagonal_T1_iil.num_named_barrier, 0
	.set _ZN9rocsolver6v33100L18trti2_kernel_smallILi55EdPdEEv13rocblas_fill_17rocblas_diagonal_T1_iil.private_seg_size, 448
	.set _ZN9rocsolver6v33100L18trti2_kernel_smallILi55EdPdEEv13rocblas_fill_17rocblas_diagonal_T1_iil.uses_vcc, 1
	.set _ZN9rocsolver6v33100L18trti2_kernel_smallILi55EdPdEEv13rocblas_fill_17rocblas_diagonal_T1_iil.uses_flat_scratch, 0
	.set _ZN9rocsolver6v33100L18trti2_kernel_smallILi55EdPdEEv13rocblas_fill_17rocblas_diagonal_T1_iil.has_dyn_sized_stack, 0
	.set _ZN9rocsolver6v33100L18trti2_kernel_smallILi55EdPdEEv13rocblas_fill_17rocblas_diagonal_T1_iil.has_recursion, 0
	.set _ZN9rocsolver6v33100L18trti2_kernel_smallILi55EdPdEEv13rocblas_fill_17rocblas_diagonal_T1_iil.has_indirect_call, 0
	.section	.AMDGPU.csdata,"",@progbits
; Kernel info:
; codeLenInByte = 26252
; TotalNumSgprs: 44
; NumVgprs: 124
; NumAgprs: 0
; TotalNumVgprs: 124
; ScratchSize: 448
; MemoryBound: 0
; FloatMode: 240
; IeeeMode: 1
; LDSByteSize: 888 bytes/workgroup (compile time only)
; SGPRBlocks: 5
; VGPRBlocks: 15
; NumSGPRsForWavesPerEU: 44
; NumVGPRsForWavesPerEU: 124
; AccumOffset: 124
; Occupancy: 4
; WaveLimiterHint : 0
; COMPUTE_PGM_RSRC2:SCRATCH_EN: 1
; COMPUTE_PGM_RSRC2:USER_SGPR: 2
; COMPUTE_PGM_RSRC2:TRAP_HANDLER: 0
; COMPUTE_PGM_RSRC2:TGID_X_EN: 1
; COMPUTE_PGM_RSRC2:TGID_Y_EN: 0
; COMPUTE_PGM_RSRC2:TGID_Z_EN: 0
; COMPUTE_PGM_RSRC2:TIDIG_COMP_CNT: 0
; COMPUTE_PGM_RSRC3_GFX90A:ACCUM_OFFSET: 30
; COMPUTE_PGM_RSRC3_GFX90A:TG_SPLIT: 0
	.section	.text._ZN9rocsolver6v33100L18trti2_kernel_smallILi56EdPdEEv13rocblas_fill_17rocblas_diagonal_T1_iil,"axG",@progbits,_ZN9rocsolver6v33100L18trti2_kernel_smallILi56EdPdEEv13rocblas_fill_17rocblas_diagonal_T1_iil,comdat
	.globl	_ZN9rocsolver6v33100L18trti2_kernel_smallILi56EdPdEEv13rocblas_fill_17rocblas_diagonal_T1_iil ; -- Begin function _ZN9rocsolver6v33100L18trti2_kernel_smallILi56EdPdEEv13rocblas_fill_17rocblas_diagonal_T1_iil
	.p2align	8
	.type	_ZN9rocsolver6v33100L18trti2_kernel_smallILi56EdPdEEv13rocblas_fill_17rocblas_diagonal_T1_iil,@function
_ZN9rocsolver6v33100L18trti2_kernel_smallILi56EdPdEEv13rocblas_fill_17rocblas_diagonal_T1_iil: ; @_ZN9rocsolver6v33100L18trti2_kernel_smallILi56EdPdEEv13rocblas_fill_17rocblas_diagonal_T1_iil
; %bb.0:
	v_cmp_gt_u32_e32 vcc, 56, v0
	s_and_saveexec_b64 s[4:5], vcc
	s_cbranch_execz .LBB55_1090
; %bb.1:
	s_load_dwordx8 s[4:11], s[0:1], 0x0
	s_ashr_i32 s3, s2, 31
	v_lshlrev_b32_e32 v16, 3, v0
	v_mov_b32_e32 v17, 0
	s_waitcnt lgkmcnt(0)
	s_ashr_i32 s1, s8, 31
	s_mov_b32 s0, s8
	s_mul_hi_u32 s8, s10, s2
	s_mul_i32 s3, s10, s3
	s_add_i32 s3, s8, s3
	s_mul_i32 s8, s11, s2
	s_add_i32 s3, s3, s8
	s_mul_i32 s2, s10, s2
	s_lshl_b64 s[2:3], s[2:3], 3
	s_add_u32 s2, s6, s2
	s_addc_u32 s3, s7, s3
	s_lshl_b64 s[0:1], s[0:1], 3
	s_add_u32 s0, s2, s0
	s_addc_u32 s1, s3, s1
	v_lshl_add_u64 v[2:3], s[0:1], 0, v[16:17]
	s_ashr_i32 s3, s9, 31
	s_mov_b32 s2, s9
	v_lshl_add_u64 v[4:5], s[2:3], 3, v[2:3]
	global_load_dwordx2 v[6:7], v16, s[0:1]
	global_load_dwordx2 v[8:9], v[4:5], off
	s_add_i32 s2, s9, s9
	s_cmpk_lg_i32 s5, 0x84
	s_cselect_b64 s[6:7], -1, 0
	s_cmpk_eq_i32 s5, 0x84
	s_waitcnt vmcnt(0)
	scratch_store_dwordx4 off, v[6:9], off
	s_nop 1
	v_add_u32_e32 v8, s2, v0
	v_add_u32_e32 v10, s9, v8
	v_ashrrev_i32_e32 v9, 31, v8
	v_ashrrev_i32_e32 v11, 31, v10
	v_lshl_add_u64 v[6:7], v[8:9], 3, s[0:1]
	v_lshl_add_u64 v[8:9], v[10:11], 3, s[0:1]
	global_load_dwordx2 v[12:13], v[6:7], off
	global_load_dwordx2 v[14:15], v[8:9], off
	s_waitcnt vmcnt(0)
	scratch_store_dwordx4 off, v[12:15], off offset:16
	s_nop 1
	v_add_u32_e32 v12, s9, v10
	v_add_u32_e32 v14, s9, v12
	v_ashrrev_i32_e32 v13, 31, v12
	v_ashrrev_i32_e32 v15, 31, v14
	v_lshl_add_u64 v[10:11], v[12:13], 3, s[0:1]
	v_lshl_add_u64 v[12:13], v[14:15], 3, s[0:1]
	global_load_dwordx2 v[18:19], v[10:11], off
	global_load_dwordx2 v[20:21], v[12:13], off
	s_waitcnt vmcnt(0)
	scratch_store_dwordx4 off, v[18:21], off offset:32
	;; [unrolled: 11-line block ×21, first 2 shown]
	s_nop 1
	v_add_u32_e32 v94, s9, v92
	v_add_u32_e32 v96, s9, v94
	v_ashrrev_i32_e32 v95, 31, v94
	v_ashrrev_i32_e32 v97, 31, v96
	v_lshl_add_u64 v[92:93], v[94:95], 3, s[0:1]
	v_lshl_add_u64 v[94:95], v[96:97], 3, s[0:1]
	global_load_dwordx2 v[98:99], v[92:93], off
	global_load_dwordx2 v[100:101], v[94:95], off
	v_add_u32_e32 v96, s9, v96
	v_ashrrev_i32_e32 v97, 31, v96
	s_waitcnt vmcnt(0)
	scratch_store_dwordx4 off, v[98:101], off offset:352
	s_nop 1
	v_lshl_add_u64 v[98:99], v[96:97], 3, s[0:1]
	v_add_u32_e32 v96, s9, v96
	v_ashrrev_i32_e32 v97, 31, v96
	v_lshl_add_u64 v[100:101], v[96:97], 3, s[0:1]
	global_load_dwordx2 v[102:103], v[98:99], off
	global_load_dwordx2 v[104:105], v[100:101], off
	v_add_u32_e32 v96, s9, v96
	v_ashrrev_i32_e32 v97, 31, v96
	s_waitcnt vmcnt(0)
	scratch_store_dwordx4 off, v[102:105], off offset:368
	s_nop 1
	v_lshl_add_u64 v[104:105], v[96:97], 3, s[0:1]
	v_add_u32_e32 v96, s9, v96
	v_ashrrev_i32_e32 v97, 31, v96
	;; [unrolled: 11-line block ×4, first 2 shown]
	v_lshl_add_u64 v[114:115], v[96:97], 3, s[0:1]
	global_load_dwordx2 v[116:117], v[112:113], off
	global_load_dwordx2 v[118:119], v[114:115], off
	v_add_u32_e32 v102, s9, v96
	v_ashrrev_i32_e32 v103, 31, v102
	v_lshl_add_u64 v[96:97], v[102:103], 3, s[0:1]
	v_add_u32_e32 v102, s9, v102
	v_ashrrev_i32_e32 v103, 31, v102
	v_lshl_add_u64 v[102:103], v[102:103], 3, s[0:1]
	s_waitcnt vmcnt(0)
	scratch_store_dwordx4 off, v[116:119], off offset:416
	global_load_dwordx2 v[116:117], v[96:97], off
	s_nop 0
	global_load_dwordx2 v[118:119], v[102:103], off
	s_waitcnt vmcnt(0)
	scratch_store_dwordx4 off, v[116:119], off offset:432
	s_nop 1
	v_mov_b64_e32 v[116:117], -1.0
	s_cbranch_scc1 .LBB55_3
; %bb.2:
	scratch_load_dwordx2 v[116:117], v16, off
	s_waitcnt vmcnt(0)
	v_div_scale_f64 v[118:119], s[0:1], v[116:117], v[116:117], 1.0
	v_rcp_f64_e32 v[120:121], v[118:119]
	v_div_scale_f64 v[122:123], vcc, 1.0, v[116:117], 1.0
	v_fma_f64 v[124:125], -v[118:119], v[120:121], 1.0
	v_fmac_f64_e32 v[120:121], v[120:121], v[124:125]
	v_fma_f64 v[124:125], -v[118:119], v[120:121], 1.0
	v_fmac_f64_e32 v[120:121], v[120:121], v[124:125]
	v_mul_f64 v[124:125], v[122:123], v[120:121]
	v_fma_f64 v[118:119], -v[118:119], v[124:125], v[122:123]
	v_div_fmas_f64 v[118:119], v[118:119], v[120:121], v[124:125]
	v_div_fixup_f64 v[116:117], v[118:119], v[116:117], 1.0
	scratch_store_dwordx2 v16, v[116:117], off
	v_xor_b32_e32 v117, 0x80000000, v117
.LBB55_3:
	s_cmpk_eq_i32 s4, 0x79
	v_add_u32_e32 v1, 0x1c0, v16
	v_mov_b32_e32 v17, v16
	s_mov_b64 s[0:1], -1
	ds_write_b64 v16, v[116:117]
	s_cbranch_scc1 .LBB55_547
; %bb.4:
	scratch_load_dwordx2 v[116:117], off, off offset:432
	s_movk_i32 s8, 0x50
	s_movk_i32 s9, 0x60
	;; [unrolled: 1-line block ×22, first 2 shown]
	v_cmp_eq_u32_e64 s[0:1], 55, v0
	s_waitcnt vmcnt(0)
	ds_write_b64 v1, v[116:117]
	s_waitcnt lgkmcnt(0)
	; wave barrier
	s_and_saveexec_b64 s[2:3], s[0:1]
	s_cbranch_execz .LBB55_10
; %bb.5:
	s_and_b64 vcc, exec, s[6:7]
	s_cbranch_vccz .LBB55_7
; %bb.6:
	scratch_load_dwordx2 v[116:117], v17, off
	ds_read_b64 v[118:119], v1
	s_waitcnt vmcnt(0) lgkmcnt(0)
	v_mul_f64 v[116:117], v[116:117], v[118:119]
	s_cbranch_execz .LBB55_8
	s_branch .LBB55_9
.LBB55_7:
                                        ; implicit-def: $vgpr116_vgpr117
.LBB55_8:
	ds_read_b64 v[116:117], v1
.LBB55_9:
	v_mov_b32_e32 v118, 0
	ds_read_b64 v[118:119], v118 offset:432
	s_waitcnt lgkmcnt(0)
	v_mul_f64 v[116:117], v[116:117], v[118:119]
	scratch_store_dwordx2 off, v[116:117], off offset:432
.LBB55_10:
	s_or_b64 exec, exec, s[2:3]
	scratch_load_dwordx2 v[116:117], off, off offset:424
	s_mov_b32 s10, 16
	s_mov_b32 s11, 32
	;; [unrolled: 1-line block ×6, first 2 shown]
	v_cmp_lt_u32_e64 s[2:3], 53, v0
	s_waitcnt vmcnt(0)
	ds_write_b64 v1, v[116:117]
	s_waitcnt lgkmcnt(0)
	; wave barrier
	s_and_saveexec_b64 s[4:5], s[2:3]
	s_cbranch_execz .LBB55_16
; %bb.11:
	s_andn2_b64 vcc, exec, s[6:7]
	s_cbranch_vccnz .LBB55_13
; %bb.12:
	scratch_load_dwordx2 v[116:117], v17, off
	ds_read_b64 v[118:119], v1
	s_waitcnt vmcnt(0) lgkmcnt(0)
	v_mul_f64 v[116:117], v[116:117], v[118:119]
	s_cbranch_execz .LBB55_14
	s_branch .LBB55_15
.LBB55_13:
                                        ; implicit-def: $vgpr116_vgpr117
.LBB55_14:
	ds_read_b64 v[116:117], v1
.LBB55_15:
	scratch_load_dwordx2 v[122:123], off, off offset:432
	v_mov_b32_e32 v118, 0
	ds_read2_b64 v[118:121], v118 offset0:53 offset1:110
	s_waitcnt vmcnt(0) lgkmcnt(0)
	v_fma_f64 v[120:121], v[122:123], v[120:121], v[116:117]
	v_cndmask_b32_e64 v117, v117, v121, s[0:1]
	v_cndmask_b32_e64 v116, v116, v120, s[0:1]
	v_mul_f64 v[116:117], v[116:117], v[118:119]
	scratch_store_dwordx2 off, v[116:117], off offset:424
.LBB55_16:
	s_or_b64 exec, exec, s[4:5]
	scratch_load_dwordx2 v[116:117], off, off offset:416
	v_cmp_lt_u32_e64 s[0:1], 52, v0
	s_waitcnt vmcnt(0)
	ds_write_b64 v1, v[116:117]
	s_waitcnt lgkmcnt(0)
	; wave barrier
	s_and_saveexec_b64 s[4:5], s[0:1]
	s_cbranch_execz .LBB55_26
; %bb.17:
	s_andn2_b64 vcc, exec, s[6:7]
	s_cbranch_vccnz .LBB55_19
; %bb.18:
	scratch_load_dwordx2 v[116:117], v17, off
	ds_read_b64 v[118:119], v1
	s_waitcnt vmcnt(0) lgkmcnt(0)
	v_mul_f64 v[116:117], v[116:117], v[118:119]
	s_cbranch_execz .LBB55_20
	s_branch .LBB55_21
.LBB55_19:
                                        ; implicit-def: $vgpr116_vgpr117
.LBB55_20:
	ds_read_b64 v[116:117], v1
.LBB55_21:
	s_and_saveexec_b64 s[8:9], s[2:3]
	s_cbranch_execz .LBB55_25
; %bb.22:
	s_movk_i32 s37, 0x1a8
	v_subrev_u32_e32 v118, 53, v0
	s_movk_i32 s38, 0x368
	s_mov_b64 s[2:3], 0
.LBB55_23:                              ; =>This Inner Loop Header: Depth=1
	scratch_load_dwordx2 v[120:121], off, s37
	v_mov_b32_e32 v119, s38
	ds_read_b64 v[122:123], v119
	v_add_u32_e32 v118, -1, v118
	s_add_i32 s38, s38, 8
	s_add_i32 s37, s37, 8
	v_cmp_eq_u32_e32 vcc, 0, v118
	s_or_b64 s[2:3], vcc, s[2:3]
	s_waitcnt vmcnt(0) lgkmcnt(0)
	v_fmac_f64_e32 v[116:117], v[120:121], v[122:123]
	s_andn2_b64 exec, exec, s[2:3]
	s_cbranch_execnz .LBB55_23
; %bb.24:
	s_or_b64 exec, exec, s[2:3]
.LBB55_25:
	s_or_b64 exec, exec, s[8:9]
	v_mov_b32_e32 v118, 0
	ds_read_b64 v[118:119], v118 offset:416
	s_waitcnt lgkmcnt(0)
	v_mul_f64 v[116:117], v[116:117], v[118:119]
	scratch_store_dwordx2 off, v[116:117], off offset:416
.LBB55_26:
	s_or_b64 exec, exec, s[4:5]
	scratch_load_dwordx2 v[116:117], off, off offset:408
	v_cmp_lt_u32_e64 s[2:3], 51, v0
	s_waitcnt vmcnt(0)
	ds_write_b64 v1, v[116:117]
	s_waitcnt lgkmcnt(0)
	; wave barrier
	s_and_saveexec_b64 s[4:5], s[2:3]
	s_cbranch_execz .LBB55_36
; %bb.27:
	s_andn2_b64 vcc, exec, s[6:7]
	s_cbranch_vccnz .LBB55_29
; %bb.28:
	scratch_load_dwordx2 v[116:117], v17, off
	ds_read_b64 v[118:119], v1
	s_waitcnt vmcnt(0) lgkmcnt(0)
	v_mul_f64 v[116:117], v[116:117], v[118:119]
	s_cbranch_execz .LBB55_30
	s_branch .LBB55_31
.LBB55_29:
                                        ; implicit-def: $vgpr116_vgpr117
.LBB55_30:
	ds_read_b64 v[116:117], v1
.LBB55_31:
	s_and_saveexec_b64 s[8:9], s[0:1]
	s_cbranch_execz .LBB55_35
; %bb.32:
	v_subrev_u32_e32 v118, 52, v0
	s_movk_i32 s37, 0x360
	s_mov_b64 s[0:1], 0
.LBB55_33:                              ; =>This Inner Loop Header: Depth=1
	scratch_load_dwordx2 v[120:121], off, s36
	v_mov_b32_e32 v119, s37
	ds_read_b64 v[122:123], v119
	v_add_u32_e32 v118, -1, v118
	s_add_i32 s37, s37, 8
	s_add_i32 s36, s36, 8
	v_cmp_eq_u32_e32 vcc, 0, v118
	s_or_b64 s[0:1], vcc, s[0:1]
	s_waitcnt vmcnt(0) lgkmcnt(0)
	v_fmac_f64_e32 v[116:117], v[120:121], v[122:123]
	s_andn2_b64 exec, exec, s[0:1]
	s_cbranch_execnz .LBB55_33
; %bb.34:
	s_or_b64 exec, exec, s[0:1]
.LBB55_35:
	s_or_b64 exec, exec, s[8:9]
	v_mov_b32_e32 v118, 0
	ds_read_b64 v[118:119], v118 offset:408
	s_waitcnt lgkmcnt(0)
	v_mul_f64 v[116:117], v[116:117], v[118:119]
	scratch_store_dwordx2 off, v[116:117], off offset:408
.LBB55_36:
	s_or_b64 exec, exec, s[4:5]
	scratch_load_dwordx2 v[116:117], off, off offset:400
	v_cmp_lt_u32_e64 s[0:1], 50, v0
	s_waitcnt vmcnt(0)
	ds_write_b64 v1, v[116:117]
	s_waitcnt lgkmcnt(0)
	; wave barrier
	s_and_saveexec_b64 s[4:5], s[0:1]
	s_cbranch_execz .LBB55_46
; %bb.37:
	s_andn2_b64 vcc, exec, s[6:7]
	s_cbranch_vccnz .LBB55_39
; %bb.38:
	scratch_load_dwordx2 v[116:117], v17, off
	ds_read_b64 v[118:119], v1
	s_waitcnt vmcnt(0) lgkmcnt(0)
	v_mul_f64 v[116:117], v[116:117], v[118:119]
	s_cbranch_execz .LBB55_40
	s_branch .LBB55_41
.LBB55_39:
                                        ; implicit-def: $vgpr116_vgpr117
.LBB55_40:
	ds_read_b64 v[116:117], v1
.LBB55_41:
	s_and_saveexec_b64 s[8:9], s[2:3]
	s_cbranch_execz .LBB55_45
; %bb.42:
	s_movk_i32 s36, 0x198
	v_subrev_u32_e32 v118, 51, v0
	s_movk_i32 s37, 0x358
	s_mov_b64 s[2:3], 0
.LBB55_43:                              ; =>This Inner Loop Header: Depth=1
	scratch_load_dwordx2 v[120:121], off, s36
	v_mov_b32_e32 v119, s37
	ds_read_b64 v[122:123], v119
	v_add_u32_e32 v118, -1, v118
	s_add_i32 s37, s37, 8
	s_add_i32 s36, s36, 8
	v_cmp_eq_u32_e32 vcc, 0, v118
	s_or_b64 s[2:3], vcc, s[2:3]
	s_waitcnt vmcnt(0) lgkmcnt(0)
	v_fmac_f64_e32 v[116:117], v[120:121], v[122:123]
	s_andn2_b64 exec, exec, s[2:3]
	s_cbranch_execnz .LBB55_43
; %bb.44:
	s_or_b64 exec, exec, s[2:3]
.LBB55_45:
	s_or_b64 exec, exec, s[8:9]
	v_mov_b32_e32 v118, 0
	ds_read_b64 v[118:119], v118 offset:400
	s_waitcnt lgkmcnt(0)
	v_mul_f64 v[116:117], v[116:117], v[118:119]
	scratch_store_dwordx2 off, v[116:117], off offset:400
.LBB55_46:
	s_or_b64 exec, exec, s[4:5]
	scratch_load_dwordx2 v[116:117], off, off offset:392
	v_cmp_lt_u32_e64 s[2:3], 49, v0
	s_waitcnt vmcnt(0)
	ds_write_b64 v1, v[116:117]
	s_waitcnt lgkmcnt(0)
	; wave barrier
	s_and_saveexec_b64 s[4:5], s[2:3]
	s_cbranch_execz .LBB55_56
; %bb.47:
	s_andn2_b64 vcc, exec, s[6:7]
	s_cbranch_vccnz .LBB55_49
; %bb.48:
	scratch_load_dwordx2 v[116:117], v17, off
	ds_read_b64 v[118:119], v1
	s_waitcnt vmcnt(0) lgkmcnt(0)
	v_mul_f64 v[116:117], v[116:117], v[118:119]
	s_cbranch_execz .LBB55_50
	s_branch .LBB55_51
.LBB55_49:
                                        ; implicit-def: $vgpr116_vgpr117
.LBB55_50:
	ds_read_b64 v[116:117], v1
.LBB55_51:
	s_and_saveexec_b64 s[8:9], s[0:1]
	s_cbranch_execz .LBB55_55
; %bb.52:
	v_subrev_u32_e32 v118, 50, v0
	s_movk_i32 s36, 0x350
	s_mov_b64 s[0:1], 0
.LBB55_53:                              ; =>This Inner Loop Header: Depth=1
	scratch_load_dwordx2 v[120:121], off, s35
	v_mov_b32_e32 v119, s36
	ds_read_b64 v[122:123], v119
	v_add_u32_e32 v118, -1, v118
	s_add_i32 s36, s36, 8
	s_add_i32 s35, s35, 8
	v_cmp_eq_u32_e32 vcc, 0, v118
	s_or_b64 s[0:1], vcc, s[0:1]
	s_waitcnt vmcnt(0) lgkmcnt(0)
	v_fmac_f64_e32 v[116:117], v[120:121], v[122:123]
	s_andn2_b64 exec, exec, s[0:1]
	s_cbranch_execnz .LBB55_53
; %bb.54:
	s_or_b64 exec, exec, s[0:1]
.LBB55_55:
	s_or_b64 exec, exec, s[8:9]
	v_mov_b32_e32 v118, 0
	ds_read_b64 v[118:119], v118 offset:392
	s_waitcnt lgkmcnt(0)
	v_mul_f64 v[116:117], v[116:117], v[118:119]
	scratch_store_dwordx2 off, v[116:117], off offset:392
.LBB55_56:
	s_or_b64 exec, exec, s[4:5]
	scratch_load_dwordx2 v[116:117], off, off offset:384
	v_cmp_lt_u32_e64 s[0:1], 48, v0
	s_waitcnt vmcnt(0)
	ds_write_b64 v1, v[116:117]
	s_waitcnt lgkmcnt(0)
	; wave barrier
	s_and_saveexec_b64 s[4:5], s[0:1]
	s_cbranch_execz .LBB55_66
; %bb.57:
	s_andn2_b64 vcc, exec, s[6:7]
	s_cbranch_vccnz .LBB55_59
; %bb.58:
	scratch_load_dwordx2 v[116:117], v17, off
	ds_read_b64 v[118:119], v1
	s_waitcnt vmcnt(0) lgkmcnt(0)
	v_mul_f64 v[116:117], v[116:117], v[118:119]
	s_cbranch_execz .LBB55_60
	s_branch .LBB55_61
.LBB55_59:
                                        ; implicit-def: $vgpr116_vgpr117
.LBB55_60:
	ds_read_b64 v[116:117], v1
.LBB55_61:
	s_and_saveexec_b64 s[8:9], s[2:3]
	s_cbranch_execz .LBB55_65
; %bb.62:
	s_movk_i32 s35, 0x188
	v_subrev_u32_e32 v118, 49, v0
	s_movk_i32 s36, 0x348
	s_mov_b64 s[2:3], 0
.LBB55_63:                              ; =>This Inner Loop Header: Depth=1
	scratch_load_dwordx2 v[120:121], off, s35
	v_mov_b32_e32 v119, s36
	ds_read_b64 v[122:123], v119
	v_add_u32_e32 v118, -1, v118
	s_add_i32 s36, s36, 8
	s_add_i32 s35, s35, 8
	v_cmp_eq_u32_e32 vcc, 0, v118
	s_or_b64 s[2:3], vcc, s[2:3]
	s_waitcnt vmcnt(0) lgkmcnt(0)
	v_fmac_f64_e32 v[116:117], v[120:121], v[122:123]
	s_andn2_b64 exec, exec, s[2:3]
	s_cbranch_execnz .LBB55_63
; %bb.64:
	s_or_b64 exec, exec, s[2:3]
.LBB55_65:
	s_or_b64 exec, exec, s[8:9]
	v_mov_b32_e32 v118, 0
	ds_read_b64 v[118:119], v118 offset:384
	s_waitcnt lgkmcnt(0)
	v_mul_f64 v[116:117], v[116:117], v[118:119]
	scratch_store_dwordx2 off, v[116:117], off offset:384
.LBB55_66:
	s_or_b64 exec, exec, s[4:5]
	scratch_load_dwordx2 v[116:117], off, off offset:376
	v_cmp_lt_u32_e64 s[2:3], 47, v0
	s_waitcnt vmcnt(0)
	ds_write_b64 v1, v[116:117]
	s_waitcnt lgkmcnt(0)
	; wave barrier
	s_and_saveexec_b64 s[4:5], s[2:3]
	s_cbranch_execz .LBB55_76
; %bb.67:
	s_andn2_b64 vcc, exec, s[6:7]
	s_cbranch_vccnz .LBB55_69
; %bb.68:
	scratch_load_dwordx2 v[116:117], v17, off
	ds_read_b64 v[118:119], v1
	s_waitcnt vmcnt(0) lgkmcnt(0)
	v_mul_f64 v[116:117], v[116:117], v[118:119]
	s_cbranch_execz .LBB55_70
	s_branch .LBB55_71
.LBB55_69:
                                        ; implicit-def: $vgpr116_vgpr117
.LBB55_70:
	ds_read_b64 v[116:117], v1
.LBB55_71:
	s_and_saveexec_b64 s[8:9], s[0:1]
	s_cbranch_execz .LBB55_75
; %bb.72:
	v_subrev_u32_e32 v118, 48, v0
	s_movk_i32 s35, 0x340
	s_mov_b64 s[0:1], 0
.LBB55_73:                              ; =>This Inner Loop Header: Depth=1
	scratch_load_dwordx2 v[120:121], off, s34
	v_mov_b32_e32 v119, s35
	ds_read_b64 v[122:123], v119
	v_add_u32_e32 v118, -1, v118
	s_add_i32 s35, s35, 8
	s_add_i32 s34, s34, 8
	v_cmp_eq_u32_e32 vcc, 0, v118
	s_or_b64 s[0:1], vcc, s[0:1]
	s_waitcnt vmcnt(0) lgkmcnt(0)
	v_fmac_f64_e32 v[116:117], v[120:121], v[122:123]
	s_andn2_b64 exec, exec, s[0:1]
	s_cbranch_execnz .LBB55_73
; %bb.74:
	s_or_b64 exec, exec, s[0:1]
.LBB55_75:
	s_or_b64 exec, exec, s[8:9]
	v_mov_b32_e32 v118, 0
	ds_read_b64 v[118:119], v118 offset:376
	s_waitcnt lgkmcnt(0)
	v_mul_f64 v[116:117], v[116:117], v[118:119]
	scratch_store_dwordx2 off, v[116:117], off offset:376
.LBB55_76:
	s_or_b64 exec, exec, s[4:5]
	scratch_load_dwordx2 v[116:117], off, off offset:368
	v_cmp_lt_u32_e64 s[0:1], 46, v0
	s_waitcnt vmcnt(0)
	ds_write_b64 v1, v[116:117]
	s_waitcnt lgkmcnt(0)
	; wave barrier
	s_and_saveexec_b64 s[4:5], s[0:1]
	s_cbranch_execz .LBB55_86
; %bb.77:
	s_andn2_b64 vcc, exec, s[6:7]
	s_cbranch_vccnz .LBB55_79
; %bb.78:
	scratch_load_dwordx2 v[116:117], v17, off
	ds_read_b64 v[118:119], v1
	s_waitcnt vmcnt(0) lgkmcnt(0)
	v_mul_f64 v[116:117], v[116:117], v[118:119]
	s_cbranch_execz .LBB55_80
	s_branch .LBB55_81
.LBB55_79:
                                        ; implicit-def: $vgpr116_vgpr117
.LBB55_80:
	ds_read_b64 v[116:117], v1
.LBB55_81:
	s_and_saveexec_b64 s[8:9], s[2:3]
	s_cbranch_execz .LBB55_85
; %bb.82:
	s_movk_i32 s34, 0x178
	v_subrev_u32_e32 v118, 47, v0
	s_movk_i32 s35, 0x338
	s_mov_b64 s[2:3], 0
.LBB55_83:                              ; =>This Inner Loop Header: Depth=1
	scratch_load_dwordx2 v[120:121], off, s34
	v_mov_b32_e32 v119, s35
	ds_read_b64 v[122:123], v119
	v_add_u32_e32 v118, -1, v118
	s_add_i32 s35, s35, 8
	s_add_i32 s34, s34, 8
	v_cmp_eq_u32_e32 vcc, 0, v118
	s_or_b64 s[2:3], vcc, s[2:3]
	s_waitcnt vmcnt(0) lgkmcnt(0)
	v_fmac_f64_e32 v[116:117], v[120:121], v[122:123]
	s_andn2_b64 exec, exec, s[2:3]
	s_cbranch_execnz .LBB55_83
; %bb.84:
	s_or_b64 exec, exec, s[2:3]
.LBB55_85:
	s_or_b64 exec, exec, s[8:9]
	v_mov_b32_e32 v118, 0
	ds_read_b64 v[118:119], v118 offset:368
	s_waitcnt lgkmcnt(0)
	v_mul_f64 v[116:117], v[116:117], v[118:119]
	scratch_store_dwordx2 off, v[116:117], off offset:368
.LBB55_86:
	s_or_b64 exec, exec, s[4:5]
	scratch_load_dwordx2 v[116:117], off, off offset:360
	v_cmp_lt_u32_e64 s[2:3], 45, v0
	s_waitcnt vmcnt(0)
	ds_write_b64 v1, v[116:117]
	s_waitcnt lgkmcnt(0)
	; wave barrier
	s_and_saveexec_b64 s[4:5], s[2:3]
	s_cbranch_execz .LBB55_96
; %bb.87:
	s_andn2_b64 vcc, exec, s[6:7]
	s_cbranch_vccnz .LBB55_89
; %bb.88:
	scratch_load_dwordx2 v[116:117], v17, off
	ds_read_b64 v[118:119], v1
	s_waitcnt vmcnt(0) lgkmcnt(0)
	v_mul_f64 v[116:117], v[116:117], v[118:119]
	s_cbranch_execz .LBB55_90
	s_branch .LBB55_91
.LBB55_89:
                                        ; implicit-def: $vgpr116_vgpr117
.LBB55_90:
	ds_read_b64 v[116:117], v1
.LBB55_91:
	s_and_saveexec_b64 s[8:9], s[0:1]
	s_cbranch_execz .LBB55_95
; %bb.92:
	v_subrev_u32_e32 v118, 46, v0
	s_movk_i32 s34, 0x330
	s_mov_b64 s[0:1], 0
.LBB55_93:                              ; =>This Inner Loop Header: Depth=1
	scratch_load_dwordx2 v[120:121], off, s33
	v_mov_b32_e32 v119, s34
	ds_read_b64 v[122:123], v119
	v_add_u32_e32 v118, -1, v118
	s_add_i32 s34, s34, 8
	s_add_i32 s33, s33, 8
	v_cmp_eq_u32_e32 vcc, 0, v118
	s_or_b64 s[0:1], vcc, s[0:1]
	s_waitcnt vmcnt(0) lgkmcnt(0)
	v_fmac_f64_e32 v[116:117], v[120:121], v[122:123]
	s_andn2_b64 exec, exec, s[0:1]
	s_cbranch_execnz .LBB55_93
; %bb.94:
	s_or_b64 exec, exec, s[0:1]
.LBB55_95:
	s_or_b64 exec, exec, s[8:9]
	v_mov_b32_e32 v118, 0
	ds_read_b64 v[118:119], v118 offset:360
	s_waitcnt lgkmcnt(0)
	v_mul_f64 v[116:117], v[116:117], v[118:119]
	scratch_store_dwordx2 off, v[116:117], off offset:360
.LBB55_96:
	s_or_b64 exec, exec, s[4:5]
	scratch_load_dwordx2 v[116:117], off, off offset:352
	v_cmp_lt_u32_e64 s[0:1], 44, v0
	s_waitcnt vmcnt(0)
	ds_write_b64 v1, v[116:117]
	s_waitcnt lgkmcnt(0)
	; wave barrier
	s_and_saveexec_b64 s[4:5], s[0:1]
	s_cbranch_execz .LBB55_106
; %bb.97:
	s_andn2_b64 vcc, exec, s[6:7]
	s_cbranch_vccnz .LBB55_99
; %bb.98:
	scratch_load_dwordx2 v[116:117], v17, off
	ds_read_b64 v[118:119], v1
	s_waitcnt vmcnt(0) lgkmcnt(0)
	v_mul_f64 v[116:117], v[116:117], v[118:119]
	s_cbranch_execz .LBB55_100
	s_branch .LBB55_101
.LBB55_99:
                                        ; implicit-def: $vgpr116_vgpr117
.LBB55_100:
	ds_read_b64 v[116:117], v1
.LBB55_101:
	s_and_saveexec_b64 s[8:9], s[2:3]
	s_cbranch_execz .LBB55_105
; %bb.102:
	s_movk_i32 s33, 0x168
	v_subrev_u32_e32 v118, 45, v0
	s_movk_i32 s34, 0x328
	s_mov_b64 s[2:3], 0
.LBB55_103:                             ; =>This Inner Loop Header: Depth=1
	scratch_load_dwordx2 v[120:121], off, s33
	v_mov_b32_e32 v119, s34
	ds_read_b64 v[122:123], v119
	v_add_u32_e32 v118, -1, v118
	s_add_i32 s34, s34, 8
	s_add_i32 s33, s33, 8
	v_cmp_eq_u32_e32 vcc, 0, v118
	s_or_b64 s[2:3], vcc, s[2:3]
	s_waitcnt vmcnt(0) lgkmcnt(0)
	v_fmac_f64_e32 v[116:117], v[120:121], v[122:123]
	s_andn2_b64 exec, exec, s[2:3]
	s_cbranch_execnz .LBB55_103
; %bb.104:
	s_or_b64 exec, exec, s[2:3]
.LBB55_105:
	s_or_b64 exec, exec, s[8:9]
	v_mov_b32_e32 v118, 0
	ds_read_b64 v[118:119], v118 offset:352
	s_waitcnt lgkmcnt(0)
	v_mul_f64 v[116:117], v[116:117], v[118:119]
	scratch_store_dwordx2 off, v[116:117], off offset:352
.LBB55_106:
	s_or_b64 exec, exec, s[4:5]
	scratch_load_dwordx2 v[116:117], off, off offset:344
	v_cmp_lt_u32_e64 s[2:3], 43, v0
	s_waitcnt vmcnt(0)
	ds_write_b64 v1, v[116:117]
	s_waitcnt lgkmcnt(0)
	; wave barrier
	s_and_saveexec_b64 s[4:5], s[2:3]
	s_cbranch_execz .LBB55_116
; %bb.107:
	s_andn2_b64 vcc, exec, s[6:7]
	s_cbranch_vccnz .LBB55_109
; %bb.108:
	scratch_load_dwordx2 v[116:117], v17, off
	ds_read_b64 v[118:119], v1
	s_waitcnt vmcnt(0) lgkmcnt(0)
	v_mul_f64 v[116:117], v[116:117], v[118:119]
	s_cbranch_execz .LBB55_110
	s_branch .LBB55_111
.LBB55_109:
                                        ; implicit-def: $vgpr116_vgpr117
.LBB55_110:
	ds_read_b64 v[116:117], v1
.LBB55_111:
	s_and_saveexec_b64 s[8:9], s[0:1]
	s_cbranch_execz .LBB55_115
; %bb.112:
	v_subrev_u32_e32 v118, 44, v0
	s_movk_i32 s33, 0x320
	s_mov_b64 s[0:1], 0
.LBB55_113:                             ; =>This Inner Loop Header: Depth=1
	scratch_load_dwordx2 v[120:121], off, s31
	v_mov_b32_e32 v119, s33
	ds_read_b64 v[122:123], v119
	v_add_u32_e32 v118, -1, v118
	s_add_i32 s33, s33, 8
	s_add_i32 s31, s31, 8
	v_cmp_eq_u32_e32 vcc, 0, v118
	s_or_b64 s[0:1], vcc, s[0:1]
	s_waitcnt vmcnt(0) lgkmcnt(0)
	v_fmac_f64_e32 v[116:117], v[120:121], v[122:123]
	s_andn2_b64 exec, exec, s[0:1]
	s_cbranch_execnz .LBB55_113
; %bb.114:
	s_or_b64 exec, exec, s[0:1]
.LBB55_115:
	s_or_b64 exec, exec, s[8:9]
	v_mov_b32_e32 v118, 0
	ds_read_b64 v[118:119], v118 offset:344
	s_waitcnt lgkmcnt(0)
	v_mul_f64 v[116:117], v[116:117], v[118:119]
	scratch_store_dwordx2 off, v[116:117], off offset:344
.LBB55_116:
	s_or_b64 exec, exec, s[4:5]
	scratch_load_dwordx2 v[116:117], off, off offset:336
	v_cmp_lt_u32_e64 s[0:1], 42, v0
	s_waitcnt vmcnt(0)
	ds_write_b64 v1, v[116:117]
	s_waitcnt lgkmcnt(0)
	; wave barrier
	s_and_saveexec_b64 s[4:5], s[0:1]
	s_cbranch_execz .LBB55_126
; %bb.117:
	s_andn2_b64 vcc, exec, s[6:7]
	s_cbranch_vccnz .LBB55_119
; %bb.118:
	scratch_load_dwordx2 v[116:117], v17, off
	ds_read_b64 v[118:119], v1
	s_waitcnt vmcnt(0) lgkmcnt(0)
	v_mul_f64 v[116:117], v[116:117], v[118:119]
	s_cbranch_execz .LBB55_120
	s_branch .LBB55_121
.LBB55_119:
                                        ; implicit-def: $vgpr116_vgpr117
.LBB55_120:
	ds_read_b64 v[116:117], v1
.LBB55_121:
	s_and_saveexec_b64 s[8:9], s[2:3]
	s_cbranch_execz .LBB55_125
; %bb.122:
	s_movk_i32 s31, 0x158
	v_subrev_u32_e32 v118, 43, v0
	s_movk_i32 s33, 0x318
	s_mov_b64 s[2:3], 0
.LBB55_123:                             ; =>This Inner Loop Header: Depth=1
	scratch_load_dwordx2 v[120:121], off, s31
	v_mov_b32_e32 v119, s33
	ds_read_b64 v[122:123], v119
	v_add_u32_e32 v118, -1, v118
	s_add_i32 s33, s33, 8
	s_add_i32 s31, s31, 8
	v_cmp_eq_u32_e32 vcc, 0, v118
	s_or_b64 s[2:3], vcc, s[2:3]
	s_waitcnt vmcnt(0) lgkmcnt(0)
	v_fmac_f64_e32 v[116:117], v[120:121], v[122:123]
	s_andn2_b64 exec, exec, s[2:3]
	s_cbranch_execnz .LBB55_123
; %bb.124:
	s_or_b64 exec, exec, s[2:3]
.LBB55_125:
	s_or_b64 exec, exec, s[8:9]
	v_mov_b32_e32 v118, 0
	ds_read_b64 v[118:119], v118 offset:336
	s_waitcnt lgkmcnt(0)
	v_mul_f64 v[116:117], v[116:117], v[118:119]
	scratch_store_dwordx2 off, v[116:117], off offset:336
.LBB55_126:
	s_or_b64 exec, exec, s[4:5]
	scratch_load_dwordx2 v[116:117], off, off offset:328
	v_cmp_lt_u32_e64 s[2:3], 41, v0
	s_waitcnt vmcnt(0)
	ds_write_b64 v1, v[116:117]
	s_waitcnt lgkmcnt(0)
	; wave barrier
	s_and_saveexec_b64 s[4:5], s[2:3]
	s_cbranch_execz .LBB55_136
; %bb.127:
	s_andn2_b64 vcc, exec, s[6:7]
	s_cbranch_vccnz .LBB55_129
; %bb.128:
	scratch_load_dwordx2 v[116:117], v17, off
	ds_read_b64 v[118:119], v1
	s_waitcnt vmcnt(0) lgkmcnt(0)
	v_mul_f64 v[116:117], v[116:117], v[118:119]
	s_cbranch_execz .LBB55_130
	s_branch .LBB55_131
.LBB55_129:
                                        ; implicit-def: $vgpr116_vgpr117
.LBB55_130:
	ds_read_b64 v[116:117], v1
.LBB55_131:
	s_and_saveexec_b64 s[8:9], s[0:1]
	s_cbranch_execz .LBB55_135
; %bb.132:
	v_subrev_u32_e32 v118, 42, v0
	s_movk_i32 s31, 0x310
	s_mov_b64 s[0:1], 0
.LBB55_133:                             ; =>This Inner Loop Header: Depth=1
	scratch_load_dwordx2 v[120:121], off, s30
	v_mov_b32_e32 v119, s31
	ds_read_b64 v[122:123], v119
	v_add_u32_e32 v118, -1, v118
	s_add_i32 s31, s31, 8
	s_add_i32 s30, s30, 8
	v_cmp_eq_u32_e32 vcc, 0, v118
	s_or_b64 s[0:1], vcc, s[0:1]
	s_waitcnt vmcnt(0) lgkmcnt(0)
	v_fmac_f64_e32 v[116:117], v[120:121], v[122:123]
	s_andn2_b64 exec, exec, s[0:1]
	s_cbranch_execnz .LBB55_133
; %bb.134:
	s_or_b64 exec, exec, s[0:1]
.LBB55_135:
	s_or_b64 exec, exec, s[8:9]
	v_mov_b32_e32 v118, 0
	ds_read_b64 v[118:119], v118 offset:328
	s_waitcnt lgkmcnt(0)
	v_mul_f64 v[116:117], v[116:117], v[118:119]
	scratch_store_dwordx2 off, v[116:117], off offset:328
.LBB55_136:
	s_or_b64 exec, exec, s[4:5]
	scratch_load_dwordx2 v[116:117], off, off offset:320
	v_cmp_lt_u32_e64 s[0:1], 40, v0
	s_waitcnt vmcnt(0)
	ds_write_b64 v1, v[116:117]
	s_waitcnt lgkmcnt(0)
	; wave barrier
	s_and_saveexec_b64 s[4:5], s[0:1]
	s_cbranch_execz .LBB55_146
; %bb.137:
	s_andn2_b64 vcc, exec, s[6:7]
	s_cbranch_vccnz .LBB55_139
; %bb.138:
	scratch_load_dwordx2 v[116:117], v17, off
	ds_read_b64 v[118:119], v1
	s_waitcnt vmcnt(0) lgkmcnt(0)
	v_mul_f64 v[116:117], v[116:117], v[118:119]
	s_cbranch_execz .LBB55_140
	s_branch .LBB55_141
.LBB55_139:
                                        ; implicit-def: $vgpr116_vgpr117
.LBB55_140:
	ds_read_b64 v[116:117], v1
.LBB55_141:
	s_and_saveexec_b64 s[8:9], s[2:3]
	s_cbranch_execz .LBB55_145
; %bb.142:
	s_movk_i32 s30, 0x148
	v_subrev_u32_e32 v118, 41, v0
	s_movk_i32 s31, 0x308
	s_mov_b64 s[2:3], 0
.LBB55_143:                             ; =>This Inner Loop Header: Depth=1
	scratch_load_dwordx2 v[120:121], off, s30
	v_mov_b32_e32 v119, s31
	ds_read_b64 v[122:123], v119
	v_add_u32_e32 v118, -1, v118
	s_add_i32 s31, s31, 8
	s_add_i32 s30, s30, 8
	v_cmp_eq_u32_e32 vcc, 0, v118
	s_or_b64 s[2:3], vcc, s[2:3]
	s_waitcnt vmcnt(0) lgkmcnt(0)
	v_fmac_f64_e32 v[116:117], v[120:121], v[122:123]
	s_andn2_b64 exec, exec, s[2:3]
	s_cbranch_execnz .LBB55_143
; %bb.144:
	s_or_b64 exec, exec, s[2:3]
.LBB55_145:
	s_or_b64 exec, exec, s[8:9]
	v_mov_b32_e32 v118, 0
	ds_read_b64 v[118:119], v118 offset:320
	s_waitcnt lgkmcnt(0)
	v_mul_f64 v[116:117], v[116:117], v[118:119]
	scratch_store_dwordx2 off, v[116:117], off offset:320
.LBB55_146:
	s_or_b64 exec, exec, s[4:5]
	scratch_load_dwordx2 v[116:117], off, off offset:312
	v_cmp_lt_u32_e64 s[2:3], 39, v0
	s_waitcnt vmcnt(0)
	ds_write_b64 v1, v[116:117]
	s_waitcnt lgkmcnt(0)
	; wave barrier
	s_and_saveexec_b64 s[4:5], s[2:3]
	s_cbranch_execz .LBB55_156
; %bb.147:
	s_andn2_b64 vcc, exec, s[6:7]
	s_cbranch_vccnz .LBB55_149
; %bb.148:
	scratch_load_dwordx2 v[116:117], v17, off
	ds_read_b64 v[118:119], v1
	s_waitcnt vmcnt(0) lgkmcnt(0)
	v_mul_f64 v[116:117], v[116:117], v[118:119]
	s_cbranch_execz .LBB55_150
	s_branch .LBB55_151
.LBB55_149:
                                        ; implicit-def: $vgpr116_vgpr117
.LBB55_150:
	ds_read_b64 v[116:117], v1
.LBB55_151:
	s_and_saveexec_b64 s[8:9], s[0:1]
	s_cbranch_execz .LBB55_155
; %bb.152:
	v_subrev_u32_e32 v118, 40, v0
	s_movk_i32 s30, 0x300
	s_mov_b64 s[0:1], 0
.LBB55_153:                             ; =>This Inner Loop Header: Depth=1
	scratch_load_dwordx2 v[120:121], off, s29
	v_mov_b32_e32 v119, s30
	ds_read_b64 v[122:123], v119
	v_add_u32_e32 v118, -1, v118
	s_add_i32 s30, s30, 8
	s_add_i32 s29, s29, 8
	v_cmp_eq_u32_e32 vcc, 0, v118
	s_or_b64 s[0:1], vcc, s[0:1]
	s_waitcnt vmcnt(0) lgkmcnt(0)
	v_fmac_f64_e32 v[116:117], v[120:121], v[122:123]
	s_andn2_b64 exec, exec, s[0:1]
	s_cbranch_execnz .LBB55_153
; %bb.154:
	s_or_b64 exec, exec, s[0:1]
.LBB55_155:
	s_or_b64 exec, exec, s[8:9]
	v_mov_b32_e32 v118, 0
	ds_read_b64 v[118:119], v118 offset:312
	s_waitcnt lgkmcnt(0)
	v_mul_f64 v[116:117], v[116:117], v[118:119]
	scratch_store_dwordx2 off, v[116:117], off offset:312
.LBB55_156:
	s_or_b64 exec, exec, s[4:5]
	scratch_load_dwordx2 v[116:117], off, off offset:304
	v_cmp_lt_u32_e64 s[0:1], 38, v0
	s_waitcnt vmcnt(0)
	ds_write_b64 v1, v[116:117]
	s_waitcnt lgkmcnt(0)
	; wave barrier
	s_and_saveexec_b64 s[4:5], s[0:1]
	s_cbranch_execz .LBB55_166
; %bb.157:
	s_andn2_b64 vcc, exec, s[6:7]
	s_cbranch_vccnz .LBB55_159
; %bb.158:
	scratch_load_dwordx2 v[116:117], v17, off
	ds_read_b64 v[118:119], v1
	s_waitcnt vmcnt(0) lgkmcnt(0)
	v_mul_f64 v[116:117], v[116:117], v[118:119]
	s_cbranch_execz .LBB55_160
	s_branch .LBB55_161
.LBB55_159:
                                        ; implicit-def: $vgpr116_vgpr117
.LBB55_160:
	ds_read_b64 v[116:117], v1
.LBB55_161:
	s_and_saveexec_b64 s[8:9], s[2:3]
	s_cbranch_execz .LBB55_165
; %bb.162:
	s_movk_i32 s29, 0x138
	v_subrev_u32_e32 v118, 39, v0
	s_movk_i32 s30, 0x2f8
	s_mov_b64 s[2:3], 0
.LBB55_163:                             ; =>This Inner Loop Header: Depth=1
	scratch_load_dwordx2 v[120:121], off, s29
	v_mov_b32_e32 v119, s30
	ds_read_b64 v[122:123], v119
	v_add_u32_e32 v118, -1, v118
	s_add_i32 s30, s30, 8
	s_add_i32 s29, s29, 8
	v_cmp_eq_u32_e32 vcc, 0, v118
	s_or_b64 s[2:3], vcc, s[2:3]
	s_waitcnt vmcnt(0) lgkmcnt(0)
	v_fmac_f64_e32 v[116:117], v[120:121], v[122:123]
	s_andn2_b64 exec, exec, s[2:3]
	s_cbranch_execnz .LBB55_163
; %bb.164:
	s_or_b64 exec, exec, s[2:3]
.LBB55_165:
	s_or_b64 exec, exec, s[8:9]
	v_mov_b32_e32 v118, 0
	ds_read_b64 v[118:119], v118 offset:304
	s_waitcnt lgkmcnt(0)
	v_mul_f64 v[116:117], v[116:117], v[118:119]
	scratch_store_dwordx2 off, v[116:117], off offset:304
.LBB55_166:
	s_or_b64 exec, exec, s[4:5]
	scratch_load_dwordx2 v[116:117], off, off offset:296
	v_cmp_lt_u32_e64 s[2:3], 37, v0
	s_waitcnt vmcnt(0)
	ds_write_b64 v1, v[116:117]
	s_waitcnt lgkmcnt(0)
	; wave barrier
	s_and_saveexec_b64 s[4:5], s[2:3]
	s_cbranch_execz .LBB55_176
; %bb.167:
	s_andn2_b64 vcc, exec, s[6:7]
	s_cbranch_vccnz .LBB55_169
; %bb.168:
	scratch_load_dwordx2 v[116:117], v17, off
	ds_read_b64 v[118:119], v1
	s_waitcnt vmcnt(0) lgkmcnt(0)
	v_mul_f64 v[116:117], v[116:117], v[118:119]
	s_cbranch_execz .LBB55_170
	s_branch .LBB55_171
.LBB55_169:
                                        ; implicit-def: $vgpr116_vgpr117
.LBB55_170:
	ds_read_b64 v[116:117], v1
.LBB55_171:
	s_and_saveexec_b64 s[8:9], s[0:1]
	s_cbranch_execz .LBB55_175
; %bb.172:
	v_subrev_u32_e32 v118, 38, v0
	s_movk_i32 s29, 0x2f0
	s_mov_b64 s[0:1], 0
.LBB55_173:                             ; =>This Inner Loop Header: Depth=1
	scratch_load_dwordx2 v[120:121], off, s28
	v_mov_b32_e32 v119, s29
	ds_read_b64 v[122:123], v119
	v_add_u32_e32 v118, -1, v118
	s_add_i32 s29, s29, 8
	s_add_i32 s28, s28, 8
	v_cmp_eq_u32_e32 vcc, 0, v118
	s_or_b64 s[0:1], vcc, s[0:1]
	s_waitcnt vmcnt(0) lgkmcnt(0)
	v_fmac_f64_e32 v[116:117], v[120:121], v[122:123]
	s_andn2_b64 exec, exec, s[0:1]
	s_cbranch_execnz .LBB55_173
; %bb.174:
	s_or_b64 exec, exec, s[0:1]
.LBB55_175:
	s_or_b64 exec, exec, s[8:9]
	v_mov_b32_e32 v118, 0
	ds_read_b64 v[118:119], v118 offset:296
	s_waitcnt lgkmcnt(0)
	v_mul_f64 v[116:117], v[116:117], v[118:119]
	scratch_store_dwordx2 off, v[116:117], off offset:296
.LBB55_176:
	s_or_b64 exec, exec, s[4:5]
	scratch_load_dwordx2 v[116:117], off, off offset:288
	v_cmp_lt_u32_e64 s[0:1], 36, v0
	s_waitcnt vmcnt(0)
	ds_write_b64 v1, v[116:117]
	s_waitcnt lgkmcnt(0)
	; wave barrier
	s_and_saveexec_b64 s[4:5], s[0:1]
	s_cbranch_execz .LBB55_186
; %bb.177:
	s_andn2_b64 vcc, exec, s[6:7]
	s_cbranch_vccnz .LBB55_179
; %bb.178:
	scratch_load_dwordx2 v[116:117], v17, off
	ds_read_b64 v[118:119], v1
	s_waitcnt vmcnt(0) lgkmcnt(0)
	v_mul_f64 v[116:117], v[116:117], v[118:119]
	s_cbranch_execz .LBB55_180
	s_branch .LBB55_181
.LBB55_179:
                                        ; implicit-def: $vgpr116_vgpr117
.LBB55_180:
	ds_read_b64 v[116:117], v1
.LBB55_181:
	s_and_saveexec_b64 s[8:9], s[2:3]
	s_cbranch_execz .LBB55_185
; %bb.182:
	s_movk_i32 s28, 0x128
	v_subrev_u32_e32 v118, 37, v0
	s_movk_i32 s29, 0x2e8
	s_mov_b64 s[2:3], 0
.LBB55_183:                             ; =>This Inner Loop Header: Depth=1
	scratch_load_dwordx2 v[120:121], off, s28
	v_mov_b32_e32 v119, s29
	ds_read_b64 v[122:123], v119
	v_add_u32_e32 v118, -1, v118
	s_add_i32 s29, s29, 8
	s_add_i32 s28, s28, 8
	v_cmp_eq_u32_e32 vcc, 0, v118
	s_or_b64 s[2:3], vcc, s[2:3]
	s_waitcnt vmcnt(0) lgkmcnt(0)
	v_fmac_f64_e32 v[116:117], v[120:121], v[122:123]
	s_andn2_b64 exec, exec, s[2:3]
	s_cbranch_execnz .LBB55_183
; %bb.184:
	s_or_b64 exec, exec, s[2:3]
.LBB55_185:
	s_or_b64 exec, exec, s[8:9]
	v_mov_b32_e32 v118, 0
	ds_read_b64 v[118:119], v118 offset:288
	s_waitcnt lgkmcnt(0)
	v_mul_f64 v[116:117], v[116:117], v[118:119]
	scratch_store_dwordx2 off, v[116:117], off offset:288
.LBB55_186:
	s_or_b64 exec, exec, s[4:5]
	scratch_load_dwordx2 v[116:117], off, off offset:280
	v_cmp_lt_u32_e64 s[2:3], 35, v0
	s_waitcnt vmcnt(0)
	ds_write_b64 v1, v[116:117]
	s_waitcnt lgkmcnt(0)
	; wave barrier
	s_and_saveexec_b64 s[4:5], s[2:3]
	s_cbranch_execz .LBB55_196
; %bb.187:
	s_andn2_b64 vcc, exec, s[6:7]
	s_cbranch_vccnz .LBB55_189
; %bb.188:
	scratch_load_dwordx2 v[116:117], v17, off
	ds_read_b64 v[118:119], v1
	s_waitcnt vmcnt(0) lgkmcnt(0)
	v_mul_f64 v[116:117], v[116:117], v[118:119]
	s_cbranch_execz .LBB55_190
	s_branch .LBB55_191
.LBB55_189:
                                        ; implicit-def: $vgpr116_vgpr117
.LBB55_190:
	ds_read_b64 v[116:117], v1
.LBB55_191:
	s_and_saveexec_b64 s[8:9], s[0:1]
	s_cbranch_execz .LBB55_195
; %bb.192:
	v_subrev_u32_e32 v118, 36, v0
	s_movk_i32 s28, 0x2e0
	s_mov_b64 s[0:1], 0
.LBB55_193:                             ; =>This Inner Loop Header: Depth=1
	scratch_load_dwordx2 v[120:121], off, s27
	v_mov_b32_e32 v119, s28
	ds_read_b64 v[122:123], v119
	v_add_u32_e32 v118, -1, v118
	s_add_i32 s28, s28, 8
	s_add_i32 s27, s27, 8
	v_cmp_eq_u32_e32 vcc, 0, v118
	s_or_b64 s[0:1], vcc, s[0:1]
	s_waitcnt vmcnt(0) lgkmcnt(0)
	v_fmac_f64_e32 v[116:117], v[120:121], v[122:123]
	s_andn2_b64 exec, exec, s[0:1]
	s_cbranch_execnz .LBB55_193
; %bb.194:
	s_or_b64 exec, exec, s[0:1]
.LBB55_195:
	s_or_b64 exec, exec, s[8:9]
	v_mov_b32_e32 v118, 0
	ds_read_b64 v[118:119], v118 offset:280
	s_waitcnt lgkmcnt(0)
	v_mul_f64 v[116:117], v[116:117], v[118:119]
	scratch_store_dwordx2 off, v[116:117], off offset:280
.LBB55_196:
	s_or_b64 exec, exec, s[4:5]
	scratch_load_dwordx2 v[116:117], off, off offset:272
	v_cmp_lt_u32_e64 s[0:1], 34, v0
	s_waitcnt vmcnt(0)
	ds_write_b64 v1, v[116:117]
	s_waitcnt lgkmcnt(0)
	; wave barrier
	s_and_saveexec_b64 s[4:5], s[0:1]
	s_cbranch_execz .LBB55_206
; %bb.197:
	s_andn2_b64 vcc, exec, s[6:7]
	s_cbranch_vccnz .LBB55_199
; %bb.198:
	scratch_load_dwordx2 v[116:117], v17, off
	ds_read_b64 v[118:119], v1
	s_waitcnt vmcnt(0) lgkmcnt(0)
	v_mul_f64 v[116:117], v[116:117], v[118:119]
	s_cbranch_execz .LBB55_200
	s_branch .LBB55_201
.LBB55_199:
                                        ; implicit-def: $vgpr116_vgpr117
.LBB55_200:
	ds_read_b64 v[116:117], v1
.LBB55_201:
	s_and_saveexec_b64 s[8:9], s[2:3]
	s_cbranch_execz .LBB55_205
; %bb.202:
	s_movk_i32 s27, 0x118
	v_subrev_u32_e32 v118, 35, v0
	s_movk_i32 s28, 0x2d8
	s_mov_b64 s[2:3], 0
.LBB55_203:                             ; =>This Inner Loop Header: Depth=1
	scratch_load_dwordx2 v[120:121], off, s27
	v_mov_b32_e32 v119, s28
	ds_read_b64 v[122:123], v119
	v_add_u32_e32 v118, -1, v118
	s_add_i32 s28, s28, 8
	s_add_i32 s27, s27, 8
	v_cmp_eq_u32_e32 vcc, 0, v118
	s_or_b64 s[2:3], vcc, s[2:3]
	s_waitcnt vmcnt(0) lgkmcnt(0)
	v_fmac_f64_e32 v[116:117], v[120:121], v[122:123]
	s_andn2_b64 exec, exec, s[2:3]
	s_cbranch_execnz .LBB55_203
; %bb.204:
	s_or_b64 exec, exec, s[2:3]
.LBB55_205:
	s_or_b64 exec, exec, s[8:9]
	v_mov_b32_e32 v118, 0
	ds_read_b64 v[118:119], v118 offset:272
	s_waitcnt lgkmcnt(0)
	v_mul_f64 v[116:117], v[116:117], v[118:119]
	scratch_store_dwordx2 off, v[116:117], off offset:272
.LBB55_206:
	s_or_b64 exec, exec, s[4:5]
	scratch_load_dwordx2 v[116:117], off, off offset:264
	v_cmp_lt_u32_e64 s[2:3], 33, v0
	s_waitcnt vmcnt(0)
	ds_write_b64 v1, v[116:117]
	s_waitcnt lgkmcnt(0)
	; wave barrier
	s_and_saveexec_b64 s[4:5], s[2:3]
	s_cbranch_execz .LBB55_216
; %bb.207:
	s_andn2_b64 vcc, exec, s[6:7]
	s_cbranch_vccnz .LBB55_209
; %bb.208:
	scratch_load_dwordx2 v[116:117], v17, off
	ds_read_b64 v[118:119], v1
	s_waitcnt vmcnt(0) lgkmcnt(0)
	v_mul_f64 v[116:117], v[116:117], v[118:119]
	s_cbranch_execz .LBB55_210
	s_branch .LBB55_211
.LBB55_209:
                                        ; implicit-def: $vgpr116_vgpr117
.LBB55_210:
	ds_read_b64 v[116:117], v1
.LBB55_211:
	s_and_saveexec_b64 s[8:9], s[0:1]
	s_cbranch_execz .LBB55_215
; %bb.212:
	v_subrev_u32_e32 v118, 34, v0
	s_movk_i32 s27, 0x2d0
	s_mov_b64 s[0:1], 0
.LBB55_213:                             ; =>This Inner Loop Header: Depth=1
	scratch_load_dwordx2 v[120:121], off, s26
	v_mov_b32_e32 v119, s27
	ds_read_b64 v[122:123], v119
	v_add_u32_e32 v118, -1, v118
	s_add_i32 s27, s27, 8
	s_add_i32 s26, s26, 8
	v_cmp_eq_u32_e32 vcc, 0, v118
	s_or_b64 s[0:1], vcc, s[0:1]
	s_waitcnt vmcnt(0) lgkmcnt(0)
	v_fmac_f64_e32 v[116:117], v[120:121], v[122:123]
	s_andn2_b64 exec, exec, s[0:1]
	s_cbranch_execnz .LBB55_213
; %bb.214:
	s_or_b64 exec, exec, s[0:1]
.LBB55_215:
	s_or_b64 exec, exec, s[8:9]
	v_mov_b32_e32 v118, 0
	ds_read_b64 v[118:119], v118 offset:264
	s_waitcnt lgkmcnt(0)
	v_mul_f64 v[116:117], v[116:117], v[118:119]
	scratch_store_dwordx2 off, v[116:117], off offset:264
.LBB55_216:
	s_or_b64 exec, exec, s[4:5]
	scratch_load_dwordx2 v[116:117], off, off offset:256
	v_cmp_lt_u32_e64 s[0:1], 32, v0
	s_waitcnt vmcnt(0)
	ds_write_b64 v1, v[116:117]
	s_waitcnt lgkmcnt(0)
	; wave barrier
	s_and_saveexec_b64 s[4:5], s[0:1]
	s_cbranch_execz .LBB55_226
; %bb.217:
	s_andn2_b64 vcc, exec, s[6:7]
	s_cbranch_vccnz .LBB55_219
; %bb.218:
	scratch_load_dwordx2 v[116:117], v17, off
	ds_read_b64 v[118:119], v1
	s_waitcnt vmcnt(0) lgkmcnt(0)
	v_mul_f64 v[116:117], v[116:117], v[118:119]
	s_cbranch_execz .LBB55_220
	s_branch .LBB55_221
.LBB55_219:
                                        ; implicit-def: $vgpr116_vgpr117
.LBB55_220:
	ds_read_b64 v[116:117], v1
.LBB55_221:
	s_and_saveexec_b64 s[8:9], s[2:3]
	s_cbranch_execz .LBB55_225
; %bb.222:
	s_movk_i32 s26, 0x108
	v_subrev_u32_e32 v118, 33, v0
	s_movk_i32 s27, 0x2c8
	s_mov_b64 s[2:3], 0
.LBB55_223:                             ; =>This Inner Loop Header: Depth=1
	scratch_load_dwordx2 v[120:121], off, s26
	v_mov_b32_e32 v119, s27
	ds_read_b64 v[122:123], v119
	v_add_u32_e32 v118, -1, v118
	s_add_i32 s27, s27, 8
	s_add_i32 s26, s26, 8
	v_cmp_eq_u32_e32 vcc, 0, v118
	s_or_b64 s[2:3], vcc, s[2:3]
	s_waitcnt vmcnt(0) lgkmcnt(0)
	v_fmac_f64_e32 v[116:117], v[120:121], v[122:123]
	s_andn2_b64 exec, exec, s[2:3]
	s_cbranch_execnz .LBB55_223
; %bb.224:
	s_or_b64 exec, exec, s[2:3]
.LBB55_225:
	s_or_b64 exec, exec, s[8:9]
	v_mov_b32_e32 v118, 0
	ds_read_b64 v[118:119], v118 offset:256
	s_waitcnt lgkmcnt(0)
	v_mul_f64 v[116:117], v[116:117], v[118:119]
	scratch_store_dwordx2 off, v[116:117], off offset:256
.LBB55_226:
	s_or_b64 exec, exec, s[4:5]
	scratch_load_dwordx2 v[116:117], off, off offset:248
	v_cmp_lt_u32_e64 s[2:3], 31, v0
	s_waitcnt vmcnt(0)
	ds_write_b64 v1, v[116:117]
	s_waitcnt lgkmcnt(0)
	; wave barrier
	s_and_saveexec_b64 s[4:5], s[2:3]
	s_cbranch_execz .LBB55_236
; %bb.227:
	s_andn2_b64 vcc, exec, s[6:7]
	s_cbranch_vccnz .LBB55_229
; %bb.228:
	scratch_load_dwordx2 v[116:117], v17, off
	ds_read_b64 v[118:119], v1
	s_waitcnt vmcnt(0) lgkmcnt(0)
	v_mul_f64 v[116:117], v[116:117], v[118:119]
	s_cbranch_execz .LBB55_230
	s_branch .LBB55_231
.LBB55_229:
                                        ; implicit-def: $vgpr116_vgpr117
.LBB55_230:
	ds_read_b64 v[116:117], v1
.LBB55_231:
	s_and_saveexec_b64 s[8:9], s[0:1]
	s_cbranch_execz .LBB55_235
; %bb.232:
	v_subrev_u32_e32 v118, 32, v0
	s_movk_i32 s26, 0x2c0
	s_mov_b64 s[0:1], 0
.LBB55_233:                             ; =>This Inner Loop Header: Depth=1
	scratch_load_dwordx2 v[120:121], off, s25
	v_mov_b32_e32 v119, s26
	ds_read_b64 v[122:123], v119
	v_add_u32_e32 v118, -1, v118
	s_add_i32 s26, s26, 8
	s_add_i32 s25, s25, 8
	v_cmp_eq_u32_e32 vcc, 0, v118
	s_or_b64 s[0:1], vcc, s[0:1]
	s_waitcnt vmcnt(0) lgkmcnt(0)
	v_fmac_f64_e32 v[116:117], v[120:121], v[122:123]
	s_andn2_b64 exec, exec, s[0:1]
	s_cbranch_execnz .LBB55_233
; %bb.234:
	s_or_b64 exec, exec, s[0:1]
.LBB55_235:
	s_or_b64 exec, exec, s[8:9]
	v_mov_b32_e32 v118, 0
	ds_read_b64 v[118:119], v118 offset:248
	s_waitcnt lgkmcnt(0)
	v_mul_f64 v[116:117], v[116:117], v[118:119]
	scratch_store_dwordx2 off, v[116:117], off offset:248
.LBB55_236:
	s_or_b64 exec, exec, s[4:5]
	scratch_load_dwordx2 v[116:117], off, off offset:240
	v_cmp_lt_u32_e64 s[0:1], 30, v0
	s_waitcnt vmcnt(0)
	ds_write_b64 v1, v[116:117]
	s_waitcnt lgkmcnt(0)
	; wave barrier
	s_and_saveexec_b64 s[4:5], s[0:1]
	s_cbranch_execz .LBB55_246
; %bb.237:
	s_andn2_b64 vcc, exec, s[6:7]
	s_cbranch_vccnz .LBB55_239
; %bb.238:
	scratch_load_dwordx2 v[116:117], v17, off
	ds_read_b64 v[118:119], v1
	s_waitcnt vmcnt(0) lgkmcnt(0)
	v_mul_f64 v[116:117], v[116:117], v[118:119]
	s_cbranch_execz .LBB55_240
	s_branch .LBB55_241
.LBB55_239:
                                        ; implicit-def: $vgpr116_vgpr117
.LBB55_240:
	ds_read_b64 v[116:117], v1
.LBB55_241:
	s_and_saveexec_b64 s[8:9], s[2:3]
	s_cbranch_execz .LBB55_245
; %bb.242:
	s_movk_i32 s25, 0xf8
	v_subrev_u32_e32 v118, 31, v0
	s_movk_i32 s26, 0x2b8
	s_mov_b64 s[2:3], 0
.LBB55_243:                             ; =>This Inner Loop Header: Depth=1
	scratch_load_dwordx2 v[120:121], off, s25
	v_mov_b32_e32 v119, s26
	ds_read_b64 v[122:123], v119
	v_add_u32_e32 v118, -1, v118
	s_add_i32 s26, s26, 8
	s_add_i32 s25, s25, 8
	v_cmp_eq_u32_e32 vcc, 0, v118
	s_or_b64 s[2:3], vcc, s[2:3]
	s_waitcnt vmcnt(0) lgkmcnt(0)
	v_fmac_f64_e32 v[116:117], v[120:121], v[122:123]
	s_andn2_b64 exec, exec, s[2:3]
	s_cbranch_execnz .LBB55_243
; %bb.244:
	s_or_b64 exec, exec, s[2:3]
.LBB55_245:
	s_or_b64 exec, exec, s[8:9]
	v_mov_b32_e32 v118, 0
	ds_read_b64 v[118:119], v118 offset:240
	s_waitcnt lgkmcnt(0)
	v_mul_f64 v[116:117], v[116:117], v[118:119]
	scratch_store_dwordx2 off, v[116:117], off offset:240
.LBB55_246:
	s_or_b64 exec, exec, s[4:5]
	scratch_load_dwordx2 v[116:117], off, off offset:232
	v_cmp_lt_u32_e64 s[2:3], 29, v0
	s_waitcnt vmcnt(0)
	ds_write_b64 v1, v[116:117]
	s_waitcnt lgkmcnt(0)
	; wave barrier
	s_and_saveexec_b64 s[4:5], s[2:3]
	s_cbranch_execz .LBB55_256
; %bb.247:
	s_andn2_b64 vcc, exec, s[6:7]
	s_cbranch_vccnz .LBB55_249
; %bb.248:
	scratch_load_dwordx2 v[116:117], v17, off
	ds_read_b64 v[118:119], v1
	s_waitcnt vmcnt(0) lgkmcnt(0)
	v_mul_f64 v[116:117], v[116:117], v[118:119]
	s_cbranch_execz .LBB55_250
	s_branch .LBB55_251
.LBB55_249:
                                        ; implicit-def: $vgpr116_vgpr117
.LBB55_250:
	ds_read_b64 v[116:117], v1
.LBB55_251:
	s_and_saveexec_b64 s[8:9], s[0:1]
	s_cbranch_execz .LBB55_255
; %bb.252:
	v_subrev_u32_e32 v118, 30, v0
	s_movk_i32 s25, 0x2b0
	s_mov_b64 s[0:1], 0
.LBB55_253:                             ; =>This Inner Loop Header: Depth=1
	scratch_load_dwordx2 v[120:121], off, s24
	v_mov_b32_e32 v119, s25
	ds_read_b64 v[122:123], v119
	v_add_u32_e32 v118, -1, v118
	s_add_i32 s25, s25, 8
	s_add_i32 s24, s24, 8
	v_cmp_eq_u32_e32 vcc, 0, v118
	s_or_b64 s[0:1], vcc, s[0:1]
	s_waitcnt vmcnt(0) lgkmcnt(0)
	v_fmac_f64_e32 v[116:117], v[120:121], v[122:123]
	s_andn2_b64 exec, exec, s[0:1]
	s_cbranch_execnz .LBB55_253
; %bb.254:
	s_or_b64 exec, exec, s[0:1]
.LBB55_255:
	s_or_b64 exec, exec, s[8:9]
	v_mov_b32_e32 v118, 0
	ds_read_b64 v[118:119], v118 offset:232
	s_waitcnt lgkmcnt(0)
	v_mul_f64 v[116:117], v[116:117], v[118:119]
	scratch_store_dwordx2 off, v[116:117], off offset:232
.LBB55_256:
	s_or_b64 exec, exec, s[4:5]
	scratch_load_dwordx2 v[116:117], off, off offset:224
	v_cmp_lt_u32_e64 s[0:1], 28, v0
	s_waitcnt vmcnt(0)
	ds_write_b64 v1, v[116:117]
	s_waitcnt lgkmcnt(0)
	; wave barrier
	s_and_saveexec_b64 s[4:5], s[0:1]
	s_cbranch_execz .LBB55_266
; %bb.257:
	s_andn2_b64 vcc, exec, s[6:7]
	s_cbranch_vccnz .LBB55_259
; %bb.258:
	scratch_load_dwordx2 v[116:117], v17, off
	ds_read_b64 v[118:119], v1
	s_waitcnt vmcnt(0) lgkmcnt(0)
	v_mul_f64 v[116:117], v[116:117], v[118:119]
	s_cbranch_execz .LBB55_260
	s_branch .LBB55_261
.LBB55_259:
                                        ; implicit-def: $vgpr116_vgpr117
.LBB55_260:
	ds_read_b64 v[116:117], v1
.LBB55_261:
	s_and_saveexec_b64 s[8:9], s[2:3]
	s_cbranch_execz .LBB55_265
; %bb.262:
	s_movk_i32 s24, 0xe8
	v_subrev_u32_e32 v118, 29, v0
	s_movk_i32 s25, 0x2a8
	s_mov_b64 s[2:3], 0
.LBB55_263:                             ; =>This Inner Loop Header: Depth=1
	scratch_load_dwordx2 v[120:121], off, s24
	v_mov_b32_e32 v119, s25
	ds_read_b64 v[122:123], v119
	v_add_u32_e32 v118, -1, v118
	s_add_i32 s25, s25, 8
	s_add_i32 s24, s24, 8
	v_cmp_eq_u32_e32 vcc, 0, v118
	s_or_b64 s[2:3], vcc, s[2:3]
	s_waitcnt vmcnt(0) lgkmcnt(0)
	v_fmac_f64_e32 v[116:117], v[120:121], v[122:123]
	s_andn2_b64 exec, exec, s[2:3]
	s_cbranch_execnz .LBB55_263
; %bb.264:
	s_or_b64 exec, exec, s[2:3]
.LBB55_265:
	s_or_b64 exec, exec, s[8:9]
	v_mov_b32_e32 v118, 0
	ds_read_b64 v[118:119], v118 offset:224
	s_waitcnt lgkmcnt(0)
	v_mul_f64 v[116:117], v[116:117], v[118:119]
	scratch_store_dwordx2 off, v[116:117], off offset:224
.LBB55_266:
	s_or_b64 exec, exec, s[4:5]
	scratch_load_dwordx2 v[116:117], off, off offset:216
	v_cmp_lt_u32_e64 s[2:3], 27, v0
	s_waitcnt vmcnt(0)
	ds_write_b64 v1, v[116:117]
	s_waitcnt lgkmcnt(0)
	; wave barrier
	s_and_saveexec_b64 s[4:5], s[2:3]
	s_cbranch_execz .LBB55_276
; %bb.267:
	s_andn2_b64 vcc, exec, s[6:7]
	s_cbranch_vccnz .LBB55_269
; %bb.268:
	scratch_load_dwordx2 v[116:117], v17, off
	ds_read_b64 v[118:119], v1
	s_waitcnt vmcnt(0) lgkmcnt(0)
	v_mul_f64 v[116:117], v[116:117], v[118:119]
	s_cbranch_execz .LBB55_270
	s_branch .LBB55_271
.LBB55_269:
                                        ; implicit-def: $vgpr116_vgpr117
.LBB55_270:
	ds_read_b64 v[116:117], v1
.LBB55_271:
	s_and_saveexec_b64 s[8:9], s[0:1]
	s_cbranch_execz .LBB55_275
; %bb.272:
	v_subrev_u32_e32 v118, 28, v0
	s_movk_i32 s24, 0x2a0
	s_mov_b64 s[0:1], 0
.LBB55_273:                             ; =>This Inner Loop Header: Depth=1
	scratch_load_dwordx2 v[120:121], off, s23
	v_mov_b32_e32 v119, s24
	ds_read_b64 v[122:123], v119
	v_add_u32_e32 v118, -1, v118
	s_add_i32 s24, s24, 8
	s_add_i32 s23, s23, 8
	v_cmp_eq_u32_e32 vcc, 0, v118
	s_or_b64 s[0:1], vcc, s[0:1]
	s_waitcnt vmcnt(0) lgkmcnt(0)
	v_fmac_f64_e32 v[116:117], v[120:121], v[122:123]
	s_andn2_b64 exec, exec, s[0:1]
	s_cbranch_execnz .LBB55_273
; %bb.274:
	s_or_b64 exec, exec, s[0:1]
.LBB55_275:
	s_or_b64 exec, exec, s[8:9]
	v_mov_b32_e32 v118, 0
	ds_read_b64 v[118:119], v118 offset:216
	s_waitcnt lgkmcnt(0)
	v_mul_f64 v[116:117], v[116:117], v[118:119]
	scratch_store_dwordx2 off, v[116:117], off offset:216
.LBB55_276:
	s_or_b64 exec, exec, s[4:5]
	scratch_load_dwordx2 v[116:117], off, off offset:208
	v_cmp_lt_u32_e64 s[0:1], 26, v0
	s_waitcnt vmcnt(0)
	ds_write_b64 v1, v[116:117]
	s_waitcnt lgkmcnt(0)
	; wave barrier
	s_and_saveexec_b64 s[4:5], s[0:1]
	s_cbranch_execz .LBB55_286
; %bb.277:
	s_andn2_b64 vcc, exec, s[6:7]
	s_cbranch_vccnz .LBB55_279
; %bb.278:
	scratch_load_dwordx2 v[116:117], v17, off
	ds_read_b64 v[118:119], v1
	s_waitcnt vmcnt(0) lgkmcnt(0)
	v_mul_f64 v[116:117], v[116:117], v[118:119]
	s_cbranch_execz .LBB55_280
	s_branch .LBB55_281
.LBB55_279:
                                        ; implicit-def: $vgpr116_vgpr117
.LBB55_280:
	ds_read_b64 v[116:117], v1
.LBB55_281:
	s_and_saveexec_b64 s[8:9], s[2:3]
	s_cbranch_execz .LBB55_285
; %bb.282:
	s_movk_i32 s23, 0xd8
	v_subrev_u32_e32 v118, 27, v0
	s_movk_i32 s24, 0x298
	s_mov_b64 s[2:3], 0
.LBB55_283:                             ; =>This Inner Loop Header: Depth=1
	scratch_load_dwordx2 v[120:121], off, s23
	v_mov_b32_e32 v119, s24
	ds_read_b64 v[122:123], v119
	v_add_u32_e32 v118, -1, v118
	s_add_i32 s24, s24, 8
	s_add_i32 s23, s23, 8
	v_cmp_eq_u32_e32 vcc, 0, v118
	s_or_b64 s[2:3], vcc, s[2:3]
	s_waitcnt vmcnt(0) lgkmcnt(0)
	v_fmac_f64_e32 v[116:117], v[120:121], v[122:123]
	s_andn2_b64 exec, exec, s[2:3]
	s_cbranch_execnz .LBB55_283
; %bb.284:
	s_or_b64 exec, exec, s[2:3]
.LBB55_285:
	s_or_b64 exec, exec, s[8:9]
	v_mov_b32_e32 v118, 0
	ds_read_b64 v[118:119], v118 offset:208
	s_waitcnt lgkmcnt(0)
	v_mul_f64 v[116:117], v[116:117], v[118:119]
	scratch_store_dwordx2 off, v[116:117], off offset:208
.LBB55_286:
	s_or_b64 exec, exec, s[4:5]
	scratch_load_dwordx2 v[116:117], off, off offset:200
	v_cmp_lt_u32_e64 s[2:3], 25, v0
	s_waitcnt vmcnt(0)
	ds_write_b64 v1, v[116:117]
	s_waitcnt lgkmcnt(0)
	; wave barrier
	s_and_saveexec_b64 s[4:5], s[2:3]
	s_cbranch_execz .LBB55_296
; %bb.287:
	s_andn2_b64 vcc, exec, s[6:7]
	s_cbranch_vccnz .LBB55_289
; %bb.288:
	scratch_load_dwordx2 v[116:117], v17, off
	ds_read_b64 v[118:119], v1
	s_waitcnt vmcnt(0) lgkmcnt(0)
	v_mul_f64 v[116:117], v[116:117], v[118:119]
	s_cbranch_execz .LBB55_290
	s_branch .LBB55_291
.LBB55_289:
                                        ; implicit-def: $vgpr116_vgpr117
.LBB55_290:
	ds_read_b64 v[116:117], v1
.LBB55_291:
	s_and_saveexec_b64 s[8:9], s[0:1]
	s_cbranch_execz .LBB55_295
; %bb.292:
	v_subrev_u32_e32 v118, 26, v0
	s_movk_i32 s23, 0x290
	s_mov_b64 s[0:1], 0
.LBB55_293:                             ; =>This Inner Loop Header: Depth=1
	scratch_load_dwordx2 v[120:121], off, s22
	v_mov_b32_e32 v119, s23
	ds_read_b64 v[122:123], v119
	v_add_u32_e32 v118, -1, v118
	s_add_i32 s23, s23, 8
	s_add_i32 s22, s22, 8
	v_cmp_eq_u32_e32 vcc, 0, v118
	s_or_b64 s[0:1], vcc, s[0:1]
	s_waitcnt vmcnt(0) lgkmcnt(0)
	v_fmac_f64_e32 v[116:117], v[120:121], v[122:123]
	s_andn2_b64 exec, exec, s[0:1]
	s_cbranch_execnz .LBB55_293
; %bb.294:
	s_or_b64 exec, exec, s[0:1]
.LBB55_295:
	s_or_b64 exec, exec, s[8:9]
	v_mov_b32_e32 v118, 0
	ds_read_b64 v[118:119], v118 offset:200
	s_waitcnt lgkmcnt(0)
	v_mul_f64 v[116:117], v[116:117], v[118:119]
	scratch_store_dwordx2 off, v[116:117], off offset:200
.LBB55_296:
	s_or_b64 exec, exec, s[4:5]
	scratch_load_dwordx2 v[116:117], off, off offset:192
	v_cmp_lt_u32_e64 s[0:1], 24, v0
	s_waitcnt vmcnt(0)
	ds_write_b64 v1, v[116:117]
	s_waitcnt lgkmcnt(0)
	; wave barrier
	s_and_saveexec_b64 s[4:5], s[0:1]
	s_cbranch_execz .LBB55_306
; %bb.297:
	s_andn2_b64 vcc, exec, s[6:7]
	s_cbranch_vccnz .LBB55_299
; %bb.298:
	scratch_load_dwordx2 v[116:117], v17, off
	ds_read_b64 v[118:119], v1
	s_waitcnt vmcnt(0) lgkmcnt(0)
	v_mul_f64 v[116:117], v[116:117], v[118:119]
	s_cbranch_execz .LBB55_300
	s_branch .LBB55_301
.LBB55_299:
                                        ; implicit-def: $vgpr116_vgpr117
.LBB55_300:
	ds_read_b64 v[116:117], v1
.LBB55_301:
	s_and_saveexec_b64 s[8:9], s[2:3]
	s_cbranch_execz .LBB55_305
; %bb.302:
	s_movk_i32 s22, 0xc8
	v_subrev_u32_e32 v118, 25, v0
	s_movk_i32 s23, 0x288
	s_mov_b64 s[2:3], 0
.LBB55_303:                             ; =>This Inner Loop Header: Depth=1
	scratch_load_dwordx2 v[120:121], off, s22
	v_mov_b32_e32 v119, s23
	ds_read_b64 v[122:123], v119
	v_add_u32_e32 v118, -1, v118
	s_add_i32 s23, s23, 8
	s_add_i32 s22, s22, 8
	v_cmp_eq_u32_e32 vcc, 0, v118
	s_or_b64 s[2:3], vcc, s[2:3]
	s_waitcnt vmcnt(0) lgkmcnt(0)
	v_fmac_f64_e32 v[116:117], v[120:121], v[122:123]
	s_andn2_b64 exec, exec, s[2:3]
	s_cbranch_execnz .LBB55_303
; %bb.304:
	s_or_b64 exec, exec, s[2:3]
.LBB55_305:
	s_or_b64 exec, exec, s[8:9]
	v_mov_b32_e32 v118, 0
	ds_read_b64 v[118:119], v118 offset:192
	s_waitcnt lgkmcnt(0)
	v_mul_f64 v[116:117], v[116:117], v[118:119]
	scratch_store_dwordx2 off, v[116:117], off offset:192
.LBB55_306:
	s_or_b64 exec, exec, s[4:5]
	scratch_load_dwordx2 v[116:117], off, off offset:184
	v_cmp_lt_u32_e64 s[2:3], 23, v0
	s_waitcnt vmcnt(0)
	ds_write_b64 v1, v[116:117]
	s_waitcnt lgkmcnt(0)
	; wave barrier
	s_and_saveexec_b64 s[4:5], s[2:3]
	s_cbranch_execz .LBB55_316
; %bb.307:
	s_andn2_b64 vcc, exec, s[6:7]
	s_cbranch_vccnz .LBB55_309
; %bb.308:
	scratch_load_dwordx2 v[116:117], v17, off
	ds_read_b64 v[118:119], v1
	s_waitcnt vmcnt(0) lgkmcnt(0)
	v_mul_f64 v[116:117], v[116:117], v[118:119]
	s_cbranch_execz .LBB55_310
	s_branch .LBB55_311
.LBB55_309:
                                        ; implicit-def: $vgpr116_vgpr117
.LBB55_310:
	ds_read_b64 v[116:117], v1
.LBB55_311:
	s_and_saveexec_b64 s[8:9], s[0:1]
	s_cbranch_execz .LBB55_315
; %bb.312:
	v_subrev_u32_e32 v118, 24, v0
	s_movk_i32 s22, 0x280
	s_mov_b64 s[0:1], 0
.LBB55_313:                             ; =>This Inner Loop Header: Depth=1
	scratch_load_dwordx2 v[120:121], off, s21
	v_mov_b32_e32 v119, s22
	ds_read_b64 v[122:123], v119
	v_add_u32_e32 v118, -1, v118
	s_add_i32 s22, s22, 8
	s_add_i32 s21, s21, 8
	v_cmp_eq_u32_e32 vcc, 0, v118
	s_or_b64 s[0:1], vcc, s[0:1]
	s_waitcnt vmcnt(0) lgkmcnt(0)
	v_fmac_f64_e32 v[116:117], v[120:121], v[122:123]
	s_andn2_b64 exec, exec, s[0:1]
	s_cbranch_execnz .LBB55_313
; %bb.314:
	s_or_b64 exec, exec, s[0:1]
.LBB55_315:
	s_or_b64 exec, exec, s[8:9]
	v_mov_b32_e32 v118, 0
	ds_read_b64 v[118:119], v118 offset:184
	s_waitcnt lgkmcnt(0)
	v_mul_f64 v[116:117], v[116:117], v[118:119]
	scratch_store_dwordx2 off, v[116:117], off offset:184
.LBB55_316:
	s_or_b64 exec, exec, s[4:5]
	scratch_load_dwordx2 v[116:117], off, off offset:176
	v_cmp_lt_u32_e64 s[0:1], 22, v0
	s_waitcnt vmcnt(0)
	ds_write_b64 v1, v[116:117]
	s_waitcnt lgkmcnt(0)
	; wave barrier
	s_and_saveexec_b64 s[4:5], s[0:1]
	s_cbranch_execz .LBB55_326
; %bb.317:
	s_andn2_b64 vcc, exec, s[6:7]
	s_cbranch_vccnz .LBB55_319
; %bb.318:
	scratch_load_dwordx2 v[116:117], v17, off
	ds_read_b64 v[118:119], v1
	s_waitcnt vmcnt(0) lgkmcnt(0)
	v_mul_f64 v[116:117], v[116:117], v[118:119]
	s_cbranch_execz .LBB55_320
	s_branch .LBB55_321
.LBB55_319:
                                        ; implicit-def: $vgpr116_vgpr117
.LBB55_320:
	ds_read_b64 v[116:117], v1
.LBB55_321:
	s_and_saveexec_b64 s[8:9], s[2:3]
	s_cbranch_execz .LBB55_325
; %bb.322:
	s_movk_i32 s21, 0xb8
	v_subrev_u32_e32 v118, 23, v0
	s_movk_i32 s22, 0x278
	s_mov_b64 s[2:3], 0
.LBB55_323:                             ; =>This Inner Loop Header: Depth=1
	scratch_load_dwordx2 v[120:121], off, s21
	v_mov_b32_e32 v119, s22
	ds_read_b64 v[122:123], v119
	v_add_u32_e32 v118, -1, v118
	s_add_i32 s22, s22, 8
	s_add_i32 s21, s21, 8
	v_cmp_eq_u32_e32 vcc, 0, v118
	s_or_b64 s[2:3], vcc, s[2:3]
	s_waitcnt vmcnt(0) lgkmcnt(0)
	v_fmac_f64_e32 v[116:117], v[120:121], v[122:123]
	s_andn2_b64 exec, exec, s[2:3]
	s_cbranch_execnz .LBB55_323
; %bb.324:
	s_or_b64 exec, exec, s[2:3]
.LBB55_325:
	s_or_b64 exec, exec, s[8:9]
	v_mov_b32_e32 v118, 0
	ds_read_b64 v[118:119], v118 offset:176
	s_waitcnt lgkmcnt(0)
	v_mul_f64 v[116:117], v[116:117], v[118:119]
	scratch_store_dwordx2 off, v[116:117], off offset:176
.LBB55_326:
	s_or_b64 exec, exec, s[4:5]
	scratch_load_dwordx2 v[116:117], off, off offset:168
	v_cmp_lt_u32_e64 s[2:3], 21, v0
	s_waitcnt vmcnt(0)
	ds_write_b64 v1, v[116:117]
	s_waitcnt lgkmcnt(0)
	; wave barrier
	s_and_saveexec_b64 s[4:5], s[2:3]
	s_cbranch_execz .LBB55_336
; %bb.327:
	s_andn2_b64 vcc, exec, s[6:7]
	s_cbranch_vccnz .LBB55_329
; %bb.328:
	scratch_load_dwordx2 v[116:117], v17, off
	ds_read_b64 v[118:119], v1
	s_waitcnt vmcnt(0) lgkmcnt(0)
	v_mul_f64 v[116:117], v[116:117], v[118:119]
	s_cbranch_execz .LBB55_330
	s_branch .LBB55_331
.LBB55_329:
                                        ; implicit-def: $vgpr116_vgpr117
.LBB55_330:
	ds_read_b64 v[116:117], v1
.LBB55_331:
	s_and_saveexec_b64 s[8:9], s[0:1]
	s_cbranch_execz .LBB55_335
; %bb.332:
	v_subrev_u32_e32 v118, 22, v0
	s_movk_i32 s21, 0x270
	s_mov_b64 s[0:1], 0
.LBB55_333:                             ; =>This Inner Loop Header: Depth=1
	scratch_load_dwordx2 v[120:121], off, s20
	v_mov_b32_e32 v119, s21
	ds_read_b64 v[122:123], v119
	v_add_u32_e32 v118, -1, v118
	s_add_i32 s21, s21, 8
	s_add_i32 s20, s20, 8
	v_cmp_eq_u32_e32 vcc, 0, v118
	s_or_b64 s[0:1], vcc, s[0:1]
	s_waitcnt vmcnt(0) lgkmcnt(0)
	v_fmac_f64_e32 v[116:117], v[120:121], v[122:123]
	s_andn2_b64 exec, exec, s[0:1]
	s_cbranch_execnz .LBB55_333
; %bb.334:
	s_or_b64 exec, exec, s[0:1]
.LBB55_335:
	s_or_b64 exec, exec, s[8:9]
	v_mov_b32_e32 v118, 0
	ds_read_b64 v[118:119], v118 offset:168
	s_waitcnt lgkmcnt(0)
	v_mul_f64 v[116:117], v[116:117], v[118:119]
	scratch_store_dwordx2 off, v[116:117], off offset:168
.LBB55_336:
	s_or_b64 exec, exec, s[4:5]
	scratch_load_dwordx2 v[116:117], off, off offset:160
	v_cmp_lt_u32_e64 s[0:1], 20, v0
	s_waitcnt vmcnt(0)
	ds_write_b64 v1, v[116:117]
	s_waitcnt lgkmcnt(0)
	; wave barrier
	s_and_saveexec_b64 s[4:5], s[0:1]
	s_cbranch_execz .LBB55_346
; %bb.337:
	s_andn2_b64 vcc, exec, s[6:7]
	s_cbranch_vccnz .LBB55_339
; %bb.338:
	scratch_load_dwordx2 v[116:117], v17, off
	ds_read_b64 v[118:119], v1
	s_waitcnt vmcnt(0) lgkmcnt(0)
	v_mul_f64 v[116:117], v[116:117], v[118:119]
	s_cbranch_execz .LBB55_340
	s_branch .LBB55_341
.LBB55_339:
                                        ; implicit-def: $vgpr116_vgpr117
.LBB55_340:
	ds_read_b64 v[116:117], v1
.LBB55_341:
	s_and_saveexec_b64 s[8:9], s[2:3]
	s_cbranch_execz .LBB55_345
; %bb.342:
	s_movk_i32 s20, 0xa8
	v_subrev_u32_e32 v118, 21, v0
	s_movk_i32 s21, 0x268
	s_mov_b64 s[2:3], 0
.LBB55_343:                             ; =>This Inner Loop Header: Depth=1
	scratch_load_dwordx2 v[120:121], off, s20
	v_mov_b32_e32 v119, s21
	ds_read_b64 v[122:123], v119
	v_add_u32_e32 v118, -1, v118
	s_add_i32 s21, s21, 8
	s_add_i32 s20, s20, 8
	v_cmp_eq_u32_e32 vcc, 0, v118
	s_or_b64 s[2:3], vcc, s[2:3]
	s_waitcnt vmcnt(0) lgkmcnt(0)
	v_fmac_f64_e32 v[116:117], v[120:121], v[122:123]
	s_andn2_b64 exec, exec, s[2:3]
	s_cbranch_execnz .LBB55_343
; %bb.344:
	s_or_b64 exec, exec, s[2:3]
.LBB55_345:
	s_or_b64 exec, exec, s[8:9]
	v_mov_b32_e32 v118, 0
	ds_read_b64 v[118:119], v118 offset:160
	s_waitcnt lgkmcnt(0)
	v_mul_f64 v[116:117], v[116:117], v[118:119]
	scratch_store_dwordx2 off, v[116:117], off offset:160
.LBB55_346:
	s_or_b64 exec, exec, s[4:5]
	scratch_load_dwordx2 v[116:117], off, off offset:152
	v_cmp_lt_u32_e64 s[2:3], 19, v0
	s_waitcnt vmcnt(0)
	ds_write_b64 v1, v[116:117]
	s_waitcnt lgkmcnt(0)
	; wave barrier
	s_and_saveexec_b64 s[4:5], s[2:3]
	s_cbranch_execz .LBB55_356
; %bb.347:
	s_andn2_b64 vcc, exec, s[6:7]
	s_cbranch_vccnz .LBB55_349
; %bb.348:
	scratch_load_dwordx2 v[116:117], v17, off
	ds_read_b64 v[118:119], v1
	s_waitcnt vmcnt(0) lgkmcnt(0)
	v_mul_f64 v[116:117], v[116:117], v[118:119]
	s_cbranch_execz .LBB55_350
	s_branch .LBB55_351
.LBB55_349:
                                        ; implicit-def: $vgpr116_vgpr117
.LBB55_350:
	ds_read_b64 v[116:117], v1
.LBB55_351:
	s_and_saveexec_b64 s[8:9], s[0:1]
	s_cbranch_execz .LBB55_355
; %bb.352:
	v_subrev_u32_e32 v118, 20, v0
	s_movk_i32 s20, 0x260
	s_mov_b64 s[0:1], 0
.LBB55_353:                             ; =>This Inner Loop Header: Depth=1
	scratch_load_dwordx2 v[120:121], off, s19
	v_mov_b32_e32 v119, s20
	ds_read_b64 v[122:123], v119
	v_add_u32_e32 v118, -1, v118
	s_add_i32 s20, s20, 8
	s_add_i32 s19, s19, 8
	v_cmp_eq_u32_e32 vcc, 0, v118
	s_or_b64 s[0:1], vcc, s[0:1]
	s_waitcnt vmcnt(0) lgkmcnt(0)
	v_fmac_f64_e32 v[116:117], v[120:121], v[122:123]
	s_andn2_b64 exec, exec, s[0:1]
	s_cbranch_execnz .LBB55_353
; %bb.354:
	s_or_b64 exec, exec, s[0:1]
.LBB55_355:
	s_or_b64 exec, exec, s[8:9]
	v_mov_b32_e32 v118, 0
	ds_read_b64 v[118:119], v118 offset:152
	s_waitcnt lgkmcnt(0)
	v_mul_f64 v[116:117], v[116:117], v[118:119]
	scratch_store_dwordx2 off, v[116:117], off offset:152
.LBB55_356:
	s_or_b64 exec, exec, s[4:5]
	scratch_load_dwordx2 v[116:117], off, off offset:144
	v_cmp_lt_u32_e64 s[0:1], 18, v0
	s_waitcnt vmcnt(0)
	ds_write_b64 v1, v[116:117]
	s_waitcnt lgkmcnt(0)
	; wave barrier
	s_and_saveexec_b64 s[4:5], s[0:1]
	s_cbranch_execz .LBB55_366
; %bb.357:
	s_andn2_b64 vcc, exec, s[6:7]
	s_cbranch_vccnz .LBB55_359
; %bb.358:
	scratch_load_dwordx2 v[116:117], v17, off
	ds_read_b64 v[118:119], v1
	s_waitcnt vmcnt(0) lgkmcnt(0)
	v_mul_f64 v[116:117], v[116:117], v[118:119]
	s_cbranch_execz .LBB55_360
	s_branch .LBB55_361
.LBB55_359:
                                        ; implicit-def: $vgpr116_vgpr117
.LBB55_360:
	ds_read_b64 v[116:117], v1
.LBB55_361:
	s_and_saveexec_b64 s[8:9], s[2:3]
	s_cbranch_execz .LBB55_365
; %bb.362:
	s_movk_i32 s19, 0x98
	v_subrev_u32_e32 v118, 19, v0
	s_movk_i32 s20, 0x258
	s_mov_b64 s[2:3], 0
.LBB55_363:                             ; =>This Inner Loop Header: Depth=1
	scratch_load_dwordx2 v[120:121], off, s19
	v_mov_b32_e32 v119, s20
	ds_read_b64 v[122:123], v119
	v_add_u32_e32 v118, -1, v118
	s_add_i32 s20, s20, 8
	s_add_i32 s19, s19, 8
	v_cmp_eq_u32_e32 vcc, 0, v118
	s_or_b64 s[2:3], vcc, s[2:3]
	s_waitcnt vmcnt(0) lgkmcnt(0)
	v_fmac_f64_e32 v[116:117], v[120:121], v[122:123]
	s_andn2_b64 exec, exec, s[2:3]
	s_cbranch_execnz .LBB55_363
; %bb.364:
	s_or_b64 exec, exec, s[2:3]
.LBB55_365:
	s_or_b64 exec, exec, s[8:9]
	v_mov_b32_e32 v118, 0
	ds_read_b64 v[118:119], v118 offset:144
	s_waitcnt lgkmcnt(0)
	v_mul_f64 v[116:117], v[116:117], v[118:119]
	scratch_store_dwordx2 off, v[116:117], off offset:144
.LBB55_366:
	s_or_b64 exec, exec, s[4:5]
	scratch_load_dwordx2 v[116:117], off, off offset:136
	v_cmp_lt_u32_e64 s[2:3], 17, v0
	s_waitcnt vmcnt(0)
	ds_write_b64 v1, v[116:117]
	s_waitcnt lgkmcnt(0)
	; wave barrier
	s_and_saveexec_b64 s[4:5], s[2:3]
	s_cbranch_execz .LBB55_376
; %bb.367:
	s_andn2_b64 vcc, exec, s[6:7]
	s_cbranch_vccnz .LBB55_369
; %bb.368:
	scratch_load_dwordx2 v[116:117], v17, off
	ds_read_b64 v[118:119], v1
	s_waitcnt vmcnt(0) lgkmcnt(0)
	v_mul_f64 v[116:117], v[116:117], v[118:119]
	s_cbranch_execz .LBB55_370
	s_branch .LBB55_371
.LBB55_369:
                                        ; implicit-def: $vgpr116_vgpr117
.LBB55_370:
	ds_read_b64 v[116:117], v1
.LBB55_371:
	s_and_saveexec_b64 s[8:9], s[0:1]
	s_cbranch_execz .LBB55_375
; %bb.372:
	v_subrev_u32_e32 v118, 18, v0
	s_movk_i32 s19, 0x250
	s_mov_b64 s[0:1], 0
.LBB55_373:                             ; =>This Inner Loop Header: Depth=1
	scratch_load_dwordx2 v[120:121], off, s18
	v_mov_b32_e32 v119, s19
	ds_read_b64 v[122:123], v119
	v_add_u32_e32 v118, -1, v118
	s_add_i32 s19, s19, 8
	s_add_i32 s18, s18, 8
	v_cmp_eq_u32_e32 vcc, 0, v118
	s_or_b64 s[0:1], vcc, s[0:1]
	s_waitcnt vmcnt(0) lgkmcnt(0)
	v_fmac_f64_e32 v[116:117], v[120:121], v[122:123]
	s_andn2_b64 exec, exec, s[0:1]
	s_cbranch_execnz .LBB55_373
; %bb.374:
	s_or_b64 exec, exec, s[0:1]
.LBB55_375:
	s_or_b64 exec, exec, s[8:9]
	v_mov_b32_e32 v118, 0
	ds_read_b64 v[118:119], v118 offset:136
	s_waitcnt lgkmcnt(0)
	v_mul_f64 v[116:117], v[116:117], v[118:119]
	scratch_store_dwordx2 off, v[116:117], off offset:136
.LBB55_376:
	s_or_b64 exec, exec, s[4:5]
	scratch_load_dwordx2 v[116:117], off, off offset:128
	v_cmp_lt_u32_e64 s[0:1], 16, v0
	s_waitcnt vmcnt(0)
	ds_write_b64 v1, v[116:117]
	s_waitcnt lgkmcnt(0)
	; wave barrier
	s_and_saveexec_b64 s[4:5], s[0:1]
	s_cbranch_execz .LBB55_386
; %bb.377:
	s_andn2_b64 vcc, exec, s[6:7]
	s_cbranch_vccnz .LBB55_379
; %bb.378:
	scratch_load_dwordx2 v[116:117], v17, off
	ds_read_b64 v[118:119], v1
	s_waitcnt vmcnt(0) lgkmcnt(0)
	v_mul_f64 v[116:117], v[116:117], v[118:119]
	s_cbranch_execz .LBB55_380
	s_branch .LBB55_381
.LBB55_379:
                                        ; implicit-def: $vgpr116_vgpr117
.LBB55_380:
	ds_read_b64 v[116:117], v1
.LBB55_381:
	s_and_saveexec_b64 s[8:9], s[2:3]
	s_cbranch_execz .LBB55_385
; %bb.382:
	s_movk_i32 s18, 0x88
	v_subrev_u32_e32 v118, 17, v0
	s_movk_i32 s19, 0x248
	s_mov_b64 s[2:3], 0
.LBB55_383:                             ; =>This Inner Loop Header: Depth=1
	scratch_load_dwordx2 v[120:121], off, s18
	v_mov_b32_e32 v119, s19
	ds_read_b64 v[122:123], v119
	v_add_u32_e32 v118, -1, v118
	s_add_i32 s19, s19, 8
	s_add_i32 s18, s18, 8
	v_cmp_eq_u32_e32 vcc, 0, v118
	s_or_b64 s[2:3], vcc, s[2:3]
	s_waitcnt vmcnt(0) lgkmcnt(0)
	v_fmac_f64_e32 v[116:117], v[120:121], v[122:123]
	s_andn2_b64 exec, exec, s[2:3]
	s_cbranch_execnz .LBB55_383
; %bb.384:
	s_or_b64 exec, exec, s[2:3]
.LBB55_385:
	s_or_b64 exec, exec, s[8:9]
	v_mov_b32_e32 v118, 0
	ds_read_b64 v[118:119], v118 offset:128
	s_waitcnt lgkmcnt(0)
	v_mul_f64 v[116:117], v[116:117], v[118:119]
	scratch_store_dwordx2 off, v[116:117], off offset:128
.LBB55_386:
	s_or_b64 exec, exec, s[4:5]
	scratch_load_dwordx2 v[116:117], off, off offset:120
	v_cmp_lt_u32_e64 s[2:3], 15, v0
	s_waitcnt vmcnt(0)
	ds_write_b64 v1, v[116:117]
	s_waitcnt lgkmcnt(0)
	; wave barrier
	s_and_saveexec_b64 s[4:5], s[2:3]
	s_cbranch_execz .LBB55_396
; %bb.387:
	s_andn2_b64 vcc, exec, s[6:7]
	s_cbranch_vccnz .LBB55_389
; %bb.388:
	scratch_load_dwordx2 v[116:117], v17, off
	ds_read_b64 v[118:119], v1
	s_waitcnt vmcnt(0) lgkmcnt(0)
	v_mul_f64 v[116:117], v[116:117], v[118:119]
	s_cbranch_execz .LBB55_390
	s_branch .LBB55_391
.LBB55_389:
                                        ; implicit-def: $vgpr116_vgpr117
.LBB55_390:
	ds_read_b64 v[116:117], v1
.LBB55_391:
	s_and_saveexec_b64 s[8:9], s[0:1]
	s_cbranch_execz .LBB55_395
; %bb.392:
	v_add_u32_e32 v118, -16, v0
	s_movk_i32 s18, 0x240
	s_mov_b64 s[0:1], 0
.LBB55_393:                             ; =>This Inner Loop Header: Depth=1
	scratch_load_dwordx2 v[120:121], off, s17
	v_mov_b32_e32 v119, s18
	ds_read_b64 v[122:123], v119
	v_add_u32_e32 v118, -1, v118
	s_add_i32 s18, s18, 8
	s_add_i32 s17, s17, 8
	v_cmp_eq_u32_e32 vcc, 0, v118
	s_or_b64 s[0:1], vcc, s[0:1]
	s_waitcnt vmcnt(0) lgkmcnt(0)
	v_fmac_f64_e32 v[116:117], v[120:121], v[122:123]
	s_andn2_b64 exec, exec, s[0:1]
	s_cbranch_execnz .LBB55_393
; %bb.394:
	s_or_b64 exec, exec, s[0:1]
.LBB55_395:
	s_or_b64 exec, exec, s[8:9]
	v_mov_b32_e32 v118, 0
	ds_read_b64 v[118:119], v118 offset:120
	s_waitcnt lgkmcnt(0)
	v_mul_f64 v[116:117], v[116:117], v[118:119]
	scratch_store_dwordx2 off, v[116:117], off offset:120
.LBB55_396:
	s_or_b64 exec, exec, s[4:5]
	scratch_load_dwordx2 v[116:117], off, off offset:112
	v_cmp_lt_u32_e64 s[0:1], 14, v0
	s_waitcnt vmcnt(0)
	ds_write_b64 v1, v[116:117]
	s_waitcnt lgkmcnt(0)
	; wave barrier
	s_and_saveexec_b64 s[4:5], s[0:1]
	s_cbranch_execz .LBB55_406
; %bb.397:
	s_andn2_b64 vcc, exec, s[6:7]
	s_cbranch_vccnz .LBB55_399
; %bb.398:
	scratch_load_dwordx2 v[116:117], v17, off
	ds_read_b64 v[118:119], v1
	s_waitcnt vmcnt(0) lgkmcnt(0)
	v_mul_f64 v[116:117], v[116:117], v[118:119]
	s_cbranch_execz .LBB55_400
	s_branch .LBB55_401
.LBB55_399:
                                        ; implicit-def: $vgpr116_vgpr117
.LBB55_400:
	ds_read_b64 v[116:117], v1
.LBB55_401:
	s_and_saveexec_b64 s[8:9], s[2:3]
	s_cbranch_execz .LBB55_405
; %bb.402:
	s_movk_i32 s17, 0x78
	v_add_u32_e32 v118, -15, v0
	s_movk_i32 s18, 0x238
	s_mov_b64 s[2:3], 0
.LBB55_403:                             ; =>This Inner Loop Header: Depth=1
	scratch_load_dwordx2 v[120:121], off, s17
	v_mov_b32_e32 v119, s18
	ds_read_b64 v[122:123], v119
	v_add_u32_e32 v118, -1, v118
	s_add_i32 s18, s18, 8
	s_add_i32 s17, s17, 8
	v_cmp_eq_u32_e32 vcc, 0, v118
	s_or_b64 s[2:3], vcc, s[2:3]
	s_waitcnt vmcnt(0) lgkmcnt(0)
	v_fmac_f64_e32 v[116:117], v[120:121], v[122:123]
	s_andn2_b64 exec, exec, s[2:3]
	s_cbranch_execnz .LBB55_403
; %bb.404:
	s_or_b64 exec, exec, s[2:3]
.LBB55_405:
	s_or_b64 exec, exec, s[8:9]
	v_mov_b32_e32 v118, 0
	ds_read_b64 v[118:119], v118 offset:112
	s_waitcnt lgkmcnt(0)
	v_mul_f64 v[116:117], v[116:117], v[118:119]
	scratch_store_dwordx2 off, v[116:117], off offset:112
.LBB55_406:
	s_or_b64 exec, exec, s[4:5]
	scratch_load_dwordx2 v[116:117], off, off offset:104
	v_cmp_lt_u32_e64 s[2:3], 13, v0
	s_waitcnt vmcnt(0)
	ds_write_b64 v1, v[116:117]
	s_waitcnt lgkmcnt(0)
	; wave barrier
	s_and_saveexec_b64 s[4:5], s[2:3]
	s_cbranch_execz .LBB55_416
; %bb.407:
	s_andn2_b64 vcc, exec, s[6:7]
	s_cbranch_vccnz .LBB55_409
; %bb.408:
	scratch_load_dwordx2 v[116:117], v17, off
	ds_read_b64 v[118:119], v1
	s_waitcnt vmcnt(0) lgkmcnt(0)
	v_mul_f64 v[116:117], v[116:117], v[118:119]
	s_cbranch_execz .LBB55_410
	s_branch .LBB55_411
.LBB55_409:
                                        ; implicit-def: $vgpr116_vgpr117
.LBB55_410:
	ds_read_b64 v[116:117], v1
.LBB55_411:
	s_and_saveexec_b64 s[8:9], s[0:1]
	s_cbranch_execz .LBB55_415
; %bb.412:
	v_add_u32_e32 v118, -14, v0
	s_movk_i32 s17, 0x230
	s_mov_b64 s[0:1], 0
.LBB55_413:                             ; =>This Inner Loop Header: Depth=1
	scratch_load_dwordx2 v[120:121], off, s16
	v_mov_b32_e32 v119, s17
	ds_read_b64 v[122:123], v119
	v_add_u32_e32 v118, -1, v118
	s_add_i32 s17, s17, 8
	s_add_i32 s16, s16, 8
	v_cmp_eq_u32_e32 vcc, 0, v118
	s_or_b64 s[0:1], vcc, s[0:1]
	s_waitcnt vmcnt(0) lgkmcnt(0)
	v_fmac_f64_e32 v[116:117], v[120:121], v[122:123]
	s_andn2_b64 exec, exec, s[0:1]
	s_cbranch_execnz .LBB55_413
; %bb.414:
	s_or_b64 exec, exec, s[0:1]
.LBB55_415:
	s_or_b64 exec, exec, s[8:9]
	v_mov_b32_e32 v118, 0
	ds_read_b64 v[118:119], v118 offset:104
	s_waitcnt lgkmcnt(0)
	v_mul_f64 v[116:117], v[116:117], v[118:119]
	scratch_store_dwordx2 off, v[116:117], off offset:104
.LBB55_416:
	s_or_b64 exec, exec, s[4:5]
	scratch_load_dwordx2 v[116:117], off, off offset:96
	v_cmp_lt_u32_e64 s[0:1], 12, v0
	s_waitcnt vmcnt(0)
	ds_write_b64 v1, v[116:117]
	s_waitcnt lgkmcnt(0)
	; wave barrier
	s_and_saveexec_b64 s[4:5], s[0:1]
	s_cbranch_execz .LBB55_426
; %bb.417:
	s_andn2_b64 vcc, exec, s[6:7]
	s_cbranch_vccnz .LBB55_419
; %bb.418:
	scratch_load_dwordx2 v[116:117], v17, off
	ds_read_b64 v[118:119], v1
	s_waitcnt vmcnt(0) lgkmcnt(0)
	v_mul_f64 v[116:117], v[116:117], v[118:119]
	s_cbranch_execz .LBB55_420
	s_branch .LBB55_421
.LBB55_419:
                                        ; implicit-def: $vgpr116_vgpr117
.LBB55_420:
	ds_read_b64 v[116:117], v1
.LBB55_421:
	s_and_saveexec_b64 s[8:9], s[2:3]
	s_cbranch_execz .LBB55_425
; %bb.422:
	s_movk_i32 s16, 0x68
	v_add_u32_e32 v118, -13, v0
	s_movk_i32 s17, 0x228
	s_mov_b64 s[2:3], 0
.LBB55_423:                             ; =>This Inner Loop Header: Depth=1
	scratch_load_dwordx2 v[120:121], off, s16
	v_mov_b32_e32 v119, s17
	ds_read_b64 v[122:123], v119
	v_add_u32_e32 v118, -1, v118
	s_add_i32 s17, s17, 8
	s_add_i32 s16, s16, 8
	v_cmp_eq_u32_e32 vcc, 0, v118
	s_or_b64 s[2:3], vcc, s[2:3]
	s_waitcnt vmcnt(0) lgkmcnt(0)
	v_fmac_f64_e32 v[116:117], v[120:121], v[122:123]
	s_andn2_b64 exec, exec, s[2:3]
	s_cbranch_execnz .LBB55_423
; %bb.424:
	s_or_b64 exec, exec, s[2:3]
.LBB55_425:
	s_or_b64 exec, exec, s[8:9]
	v_mov_b32_e32 v118, 0
	ds_read_b64 v[118:119], v118 offset:96
	s_waitcnt lgkmcnt(0)
	v_mul_f64 v[116:117], v[116:117], v[118:119]
	scratch_store_dwordx2 off, v[116:117], off offset:96
.LBB55_426:
	s_or_b64 exec, exec, s[4:5]
	scratch_load_dwordx2 v[116:117], off, off offset:88
	v_cmp_lt_u32_e64 s[2:3], 11, v0
	s_waitcnt vmcnt(0)
	ds_write_b64 v1, v[116:117]
	s_waitcnt lgkmcnt(0)
	; wave barrier
	s_and_saveexec_b64 s[4:5], s[2:3]
	s_cbranch_execz .LBB55_436
; %bb.427:
	s_andn2_b64 vcc, exec, s[6:7]
	s_cbranch_vccnz .LBB55_429
; %bb.428:
	scratch_load_dwordx2 v[116:117], v17, off
	ds_read_b64 v[118:119], v1
	s_waitcnt vmcnt(0) lgkmcnt(0)
	v_mul_f64 v[116:117], v[116:117], v[118:119]
	s_cbranch_execz .LBB55_430
	s_branch .LBB55_431
.LBB55_429:
                                        ; implicit-def: $vgpr116_vgpr117
.LBB55_430:
	ds_read_b64 v[116:117], v1
.LBB55_431:
	s_and_saveexec_b64 s[8:9], s[0:1]
	s_cbranch_execz .LBB55_435
; %bb.432:
	v_add_u32_e32 v118, -12, v0
	s_movk_i32 s16, 0x220
	s_mov_b64 s[0:1], 0
.LBB55_433:                             ; =>This Inner Loop Header: Depth=1
	scratch_load_dwordx2 v[120:121], off, s15
	v_mov_b32_e32 v119, s16
	ds_read_b64 v[122:123], v119
	v_add_u32_e32 v118, -1, v118
	s_add_i32 s16, s16, 8
	s_add_i32 s15, s15, 8
	v_cmp_eq_u32_e32 vcc, 0, v118
	s_or_b64 s[0:1], vcc, s[0:1]
	s_waitcnt vmcnt(0) lgkmcnt(0)
	v_fmac_f64_e32 v[116:117], v[120:121], v[122:123]
	s_andn2_b64 exec, exec, s[0:1]
	s_cbranch_execnz .LBB55_433
; %bb.434:
	s_or_b64 exec, exec, s[0:1]
.LBB55_435:
	s_or_b64 exec, exec, s[8:9]
	v_mov_b32_e32 v118, 0
	ds_read_b64 v[118:119], v118 offset:88
	s_waitcnt lgkmcnt(0)
	v_mul_f64 v[116:117], v[116:117], v[118:119]
	scratch_store_dwordx2 off, v[116:117], off offset:88
.LBB55_436:
	s_or_b64 exec, exec, s[4:5]
	scratch_load_dwordx2 v[116:117], off, off offset:80
	v_cmp_lt_u32_e64 s[0:1], 10, v0
	s_waitcnt vmcnt(0)
	ds_write_b64 v1, v[116:117]
	s_waitcnt lgkmcnt(0)
	; wave barrier
	s_and_saveexec_b64 s[4:5], s[0:1]
	s_cbranch_execz .LBB55_446
; %bb.437:
	s_andn2_b64 vcc, exec, s[6:7]
	s_cbranch_vccnz .LBB55_439
; %bb.438:
	scratch_load_dwordx2 v[116:117], v17, off
	ds_read_b64 v[118:119], v1
	s_waitcnt vmcnt(0) lgkmcnt(0)
	v_mul_f64 v[116:117], v[116:117], v[118:119]
	s_cbranch_execz .LBB55_440
	s_branch .LBB55_441
.LBB55_439:
                                        ; implicit-def: $vgpr116_vgpr117
.LBB55_440:
	ds_read_b64 v[116:117], v1
.LBB55_441:
	s_and_saveexec_b64 s[8:9], s[2:3]
	s_cbranch_execz .LBB55_445
; %bb.442:
	s_movk_i32 s15, 0x58
	v_add_u32_e32 v118, -11, v0
	s_movk_i32 s16, 0x218
	s_mov_b64 s[2:3], 0
.LBB55_443:                             ; =>This Inner Loop Header: Depth=1
	scratch_load_dwordx2 v[120:121], off, s15
	v_mov_b32_e32 v119, s16
	ds_read_b64 v[122:123], v119
	v_add_u32_e32 v118, -1, v118
	s_add_i32 s16, s16, 8
	s_add_i32 s15, s15, 8
	v_cmp_eq_u32_e32 vcc, 0, v118
	s_or_b64 s[2:3], vcc, s[2:3]
	s_waitcnt vmcnt(0) lgkmcnt(0)
	v_fmac_f64_e32 v[116:117], v[120:121], v[122:123]
	s_andn2_b64 exec, exec, s[2:3]
	s_cbranch_execnz .LBB55_443
; %bb.444:
	s_or_b64 exec, exec, s[2:3]
.LBB55_445:
	s_or_b64 exec, exec, s[8:9]
	v_mov_b32_e32 v118, 0
	ds_read_b64 v[118:119], v118 offset:80
	s_waitcnt lgkmcnt(0)
	v_mul_f64 v[116:117], v[116:117], v[118:119]
	scratch_store_dwordx2 off, v[116:117], off offset:80
.LBB55_446:
	s_or_b64 exec, exec, s[4:5]
	scratch_load_dwordx2 v[116:117], off, off offset:72
	v_cmp_lt_u32_e64 s[2:3], 9, v0
	s_waitcnt vmcnt(0)
	ds_write_b64 v1, v[116:117]
	s_waitcnt lgkmcnt(0)
	; wave barrier
	s_and_saveexec_b64 s[4:5], s[2:3]
	s_cbranch_execz .LBB55_456
; %bb.447:
	s_andn2_b64 vcc, exec, s[6:7]
	s_cbranch_vccnz .LBB55_449
; %bb.448:
	scratch_load_dwordx2 v[116:117], v17, off
	ds_read_b64 v[118:119], v1
	s_waitcnt vmcnt(0) lgkmcnt(0)
	v_mul_f64 v[116:117], v[116:117], v[118:119]
	s_cbranch_execz .LBB55_450
	s_branch .LBB55_451
.LBB55_449:
                                        ; implicit-def: $vgpr116_vgpr117
.LBB55_450:
	ds_read_b64 v[116:117], v1
.LBB55_451:
	s_and_saveexec_b64 s[8:9], s[0:1]
	s_cbranch_execz .LBB55_455
; %bb.452:
	v_add_u32_e32 v118, -10, v0
	s_movk_i32 s15, 0x210
	s_mov_b64 s[0:1], 0
.LBB55_453:                             ; =>This Inner Loop Header: Depth=1
	scratch_load_dwordx2 v[120:121], off, s14
	v_mov_b32_e32 v119, s15
	ds_read_b64 v[122:123], v119
	v_add_u32_e32 v118, -1, v118
	s_add_i32 s15, s15, 8
	s_add_i32 s14, s14, 8
	v_cmp_eq_u32_e32 vcc, 0, v118
	s_or_b64 s[0:1], vcc, s[0:1]
	s_waitcnt vmcnt(0) lgkmcnt(0)
	v_fmac_f64_e32 v[116:117], v[120:121], v[122:123]
	s_andn2_b64 exec, exec, s[0:1]
	s_cbranch_execnz .LBB55_453
; %bb.454:
	s_or_b64 exec, exec, s[0:1]
.LBB55_455:
	s_or_b64 exec, exec, s[8:9]
	v_mov_b32_e32 v118, 0
	ds_read_b64 v[118:119], v118 offset:72
	s_waitcnt lgkmcnt(0)
	v_mul_f64 v[116:117], v[116:117], v[118:119]
	scratch_store_dwordx2 off, v[116:117], off offset:72
.LBB55_456:
	s_or_b64 exec, exec, s[4:5]
	scratch_load_dwordx2 v[116:117], off, off offset:64
	v_cmp_lt_u32_e64 s[0:1], 8, v0
	s_waitcnt vmcnt(0)
	ds_write_b64 v1, v[116:117]
	s_waitcnt lgkmcnt(0)
	; wave barrier
	s_and_saveexec_b64 s[4:5], s[0:1]
	s_cbranch_execz .LBB55_466
; %bb.457:
	s_andn2_b64 vcc, exec, s[6:7]
	s_cbranch_vccnz .LBB55_459
; %bb.458:
	scratch_load_dwordx2 v[116:117], v17, off
	ds_read_b64 v[118:119], v1
	s_waitcnt vmcnt(0) lgkmcnt(0)
	v_mul_f64 v[116:117], v[116:117], v[118:119]
	s_cbranch_execz .LBB55_460
	s_branch .LBB55_461
.LBB55_459:
                                        ; implicit-def: $vgpr116_vgpr117
.LBB55_460:
	ds_read_b64 v[116:117], v1
.LBB55_461:
	s_and_saveexec_b64 s[8:9], s[2:3]
	s_cbranch_execz .LBB55_465
; %bb.462:
	s_movk_i32 s14, 0x48
	v_add_u32_e32 v118, -9, v0
	s_movk_i32 s15, 0x208
	s_mov_b64 s[2:3], 0
.LBB55_463:                             ; =>This Inner Loop Header: Depth=1
	scratch_load_dwordx2 v[120:121], off, s14
	v_mov_b32_e32 v119, s15
	ds_read_b64 v[122:123], v119
	v_add_u32_e32 v118, -1, v118
	s_add_i32 s15, s15, 8
	s_add_i32 s14, s14, 8
	v_cmp_eq_u32_e32 vcc, 0, v118
	s_or_b64 s[2:3], vcc, s[2:3]
	s_waitcnt vmcnt(0) lgkmcnt(0)
	v_fmac_f64_e32 v[116:117], v[120:121], v[122:123]
	s_andn2_b64 exec, exec, s[2:3]
	s_cbranch_execnz .LBB55_463
; %bb.464:
	s_or_b64 exec, exec, s[2:3]
.LBB55_465:
	s_or_b64 exec, exec, s[8:9]
	v_mov_b32_e32 v118, 0
	ds_read_b64 v[118:119], v118 offset:64
	s_waitcnt lgkmcnt(0)
	v_mul_f64 v[116:117], v[116:117], v[118:119]
	scratch_store_dwordx2 off, v[116:117], off offset:64
.LBB55_466:
	s_or_b64 exec, exec, s[4:5]
	scratch_load_dwordx2 v[116:117], off, off offset:56
	v_cmp_lt_u32_e64 s[2:3], 7, v0
	s_waitcnt vmcnt(0)
	ds_write_b64 v1, v[116:117]
	s_waitcnt lgkmcnt(0)
	; wave barrier
	s_and_saveexec_b64 s[4:5], s[2:3]
	s_cbranch_execz .LBB55_476
; %bb.467:
	s_andn2_b64 vcc, exec, s[6:7]
	s_cbranch_vccnz .LBB55_469
; %bb.468:
	scratch_load_dwordx2 v[116:117], v17, off
	ds_read_b64 v[118:119], v1
	s_waitcnt vmcnt(0) lgkmcnt(0)
	v_mul_f64 v[116:117], v[116:117], v[118:119]
	s_cbranch_execz .LBB55_470
	s_branch .LBB55_471
.LBB55_469:
                                        ; implicit-def: $vgpr116_vgpr117
.LBB55_470:
	ds_read_b64 v[116:117], v1
.LBB55_471:
	s_and_saveexec_b64 s[8:9], s[0:1]
	s_cbranch_execz .LBB55_475
; %bb.472:
	v_add_u32_e32 v118, -8, v0
	s_movk_i32 s14, 0x200
	s_mov_b64 s[0:1], 0
.LBB55_473:                             ; =>This Inner Loop Header: Depth=1
	scratch_load_dwordx2 v[120:121], off, s13
	v_mov_b32_e32 v119, s14
	ds_read_b64 v[122:123], v119
	v_add_u32_e32 v118, -1, v118
	s_add_i32 s14, s14, 8
	s_add_i32 s13, s13, 8
	v_cmp_eq_u32_e32 vcc, 0, v118
	s_or_b64 s[0:1], vcc, s[0:1]
	s_waitcnt vmcnt(0) lgkmcnt(0)
	v_fmac_f64_e32 v[116:117], v[120:121], v[122:123]
	s_andn2_b64 exec, exec, s[0:1]
	s_cbranch_execnz .LBB55_473
; %bb.474:
	s_or_b64 exec, exec, s[0:1]
.LBB55_475:
	s_or_b64 exec, exec, s[8:9]
	v_mov_b32_e32 v118, 0
	ds_read_b64 v[118:119], v118 offset:56
	s_waitcnt lgkmcnt(0)
	v_mul_f64 v[116:117], v[116:117], v[118:119]
	scratch_store_dwordx2 off, v[116:117], off offset:56
.LBB55_476:
	s_or_b64 exec, exec, s[4:5]
	scratch_load_dwordx2 v[116:117], off, off offset:48
	v_cmp_lt_u32_e64 s[0:1], 6, v0
	s_waitcnt vmcnt(0)
	ds_write_b64 v1, v[116:117]
	s_waitcnt lgkmcnt(0)
	; wave barrier
	s_and_saveexec_b64 s[4:5], s[0:1]
	s_cbranch_execz .LBB55_486
; %bb.477:
	s_andn2_b64 vcc, exec, s[6:7]
	s_cbranch_vccnz .LBB55_479
; %bb.478:
	scratch_load_dwordx2 v[116:117], v17, off
	ds_read_b64 v[118:119], v1
	s_waitcnt vmcnt(0) lgkmcnt(0)
	v_mul_f64 v[116:117], v[116:117], v[118:119]
	s_cbranch_execz .LBB55_480
	s_branch .LBB55_481
.LBB55_479:
                                        ; implicit-def: $vgpr116_vgpr117
.LBB55_480:
	ds_read_b64 v[116:117], v1
.LBB55_481:
	s_and_saveexec_b64 s[8:9], s[2:3]
	s_cbranch_execz .LBB55_485
; %bb.482:
	s_mov_b32 s13, 56
	v_add_u32_e32 v118, -7, v0
	s_movk_i32 s14, 0x1f8
	s_mov_b64 s[2:3], 0
.LBB55_483:                             ; =>This Inner Loop Header: Depth=1
	scratch_load_dwordx2 v[120:121], off, s13
	v_mov_b32_e32 v119, s14
	ds_read_b64 v[122:123], v119
	v_add_u32_e32 v118, -1, v118
	s_add_i32 s14, s14, 8
	s_add_i32 s13, s13, 8
	v_cmp_eq_u32_e32 vcc, 0, v118
	s_or_b64 s[2:3], vcc, s[2:3]
	s_waitcnt vmcnt(0) lgkmcnt(0)
	v_fmac_f64_e32 v[116:117], v[120:121], v[122:123]
	s_andn2_b64 exec, exec, s[2:3]
	s_cbranch_execnz .LBB55_483
; %bb.484:
	s_or_b64 exec, exec, s[2:3]
.LBB55_485:
	s_or_b64 exec, exec, s[8:9]
	v_mov_b32_e32 v118, 0
	ds_read_b64 v[118:119], v118 offset:48
	s_waitcnt lgkmcnt(0)
	v_mul_f64 v[116:117], v[116:117], v[118:119]
	scratch_store_dwordx2 off, v[116:117], off offset:48
.LBB55_486:
	s_or_b64 exec, exec, s[4:5]
	scratch_load_dwordx2 v[116:117], off, off offset:40
	v_cmp_lt_u32_e64 s[2:3], 5, v0
	s_waitcnt vmcnt(0)
	ds_write_b64 v1, v[116:117]
	s_waitcnt lgkmcnt(0)
	; wave barrier
	s_and_saveexec_b64 s[4:5], s[2:3]
	s_cbranch_execz .LBB55_496
; %bb.487:
	s_andn2_b64 vcc, exec, s[6:7]
	s_cbranch_vccnz .LBB55_489
; %bb.488:
	scratch_load_dwordx2 v[116:117], v17, off
	ds_read_b64 v[118:119], v1
	s_waitcnt vmcnt(0) lgkmcnt(0)
	v_mul_f64 v[116:117], v[116:117], v[118:119]
	s_cbranch_execz .LBB55_490
	s_branch .LBB55_491
.LBB55_489:
                                        ; implicit-def: $vgpr116_vgpr117
.LBB55_490:
	ds_read_b64 v[116:117], v1
.LBB55_491:
	s_and_saveexec_b64 s[8:9], s[0:1]
	s_cbranch_execz .LBB55_495
; %bb.492:
	v_add_u32_e32 v118, -6, v0
	s_movk_i32 s13, 0x1f0
	s_mov_b64 s[0:1], 0
.LBB55_493:                             ; =>This Inner Loop Header: Depth=1
	scratch_load_dwordx2 v[120:121], off, s12
	v_mov_b32_e32 v119, s13
	ds_read_b64 v[122:123], v119
	v_add_u32_e32 v118, -1, v118
	s_add_i32 s13, s13, 8
	s_add_i32 s12, s12, 8
	v_cmp_eq_u32_e32 vcc, 0, v118
	s_or_b64 s[0:1], vcc, s[0:1]
	s_waitcnt vmcnt(0) lgkmcnt(0)
	v_fmac_f64_e32 v[116:117], v[120:121], v[122:123]
	s_andn2_b64 exec, exec, s[0:1]
	s_cbranch_execnz .LBB55_493
; %bb.494:
	s_or_b64 exec, exec, s[0:1]
.LBB55_495:
	s_or_b64 exec, exec, s[8:9]
	v_mov_b32_e32 v118, 0
	ds_read_b64 v[118:119], v118 offset:40
	s_waitcnt lgkmcnt(0)
	v_mul_f64 v[116:117], v[116:117], v[118:119]
	scratch_store_dwordx2 off, v[116:117], off offset:40
.LBB55_496:
	s_or_b64 exec, exec, s[4:5]
	scratch_load_dwordx2 v[116:117], off, off offset:32
	v_cmp_lt_u32_e64 s[0:1], 4, v0
	s_waitcnt vmcnt(0)
	ds_write_b64 v1, v[116:117]
	s_waitcnt lgkmcnt(0)
	; wave barrier
	s_and_saveexec_b64 s[4:5], s[0:1]
	s_cbranch_execz .LBB55_506
; %bb.497:
	s_andn2_b64 vcc, exec, s[6:7]
	s_cbranch_vccnz .LBB55_499
; %bb.498:
	scratch_load_dwordx2 v[116:117], v17, off
	ds_read_b64 v[118:119], v1
	s_waitcnt vmcnt(0) lgkmcnt(0)
	v_mul_f64 v[116:117], v[116:117], v[118:119]
	s_cbranch_execz .LBB55_500
	s_branch .LBB55_501
.LBB55_499:
                                        ; implicit-def: $vgpr116_vgpr117
.LBB55_500:
	ds_read_b64 v[116:117], v1
.LBB55_501:
	s_and_saveexec_b64 s[8:9], s[2:3]
	s_cbranch_execz .LBB55_505
; %bb.502:
	s_mov_b32 s12, 40
	v_add_u32_e32 v118, -5, v0
	s_movk_i32 s13, 0x1e8
	s_mov_b64 s[2:3], 0
.LBB55_503:                             ; =>This Inner Loop Header: Depth=1
	scratch_load_dwordx2 v[120:121], off, s12
	v_mov_b32_e32 v119, s13
	ds_read_b64 v[122:123], v119
	v_add_u32_e32 v118, -1, v118
	s_add_i32 s13, s13, 8
	s_add_i32 s12, s12, 8
	v_cmp_eq_u32_e32 vcc, 0, v118
	s_or_b64 s[2:3], vcc, s[2:3]
	s_waitcnt vmcnt(0) lgkmcnt(0)
	v_fmac_f64_e32 v[116:117], v[120:121], v[122:123]
	s_andn2_b64 exec, exec, s[2:3]
	s_cbranch_execnz .LBB55_503
; %bb.504:
	s_or_b64 exec, exec, s[2:3]
.LBB55_505:
	s_or_b64 exec, exec, s[8:9]
	v_mov_b32_e32 v118, 0
	ds_read_b64 v[118:119], v118 offset:32
	s_waitcnt lgkmcnt(0)
	v_mul_f64 v[116:117], v[116:117], v[118:119]
	scratch_store_dwordx2 off, v[116:117], off offset:32
.LBB55_506:
	s_or_b64 exec, exec, s[4:5]
	scratch_load_dwordx2 v[116:117], off, off offset:24
	v_cmp_lt_u32_e64 s[2:3], 3, v0
	s_waitcnt vmcnt(0)
	ds_write_b64 v1, v[116:117]
	s_waitcnt lgkmcnt(0)
	; wave barrier
	s_and_saveexec_b64 s[4:5], s[2:3]
	s_cbranch_execz .LBB55_516
; %bb.507:
	s_andn2_b64 vcc, exec, s[6:7]
	s_cbranch_vccnz .LBB55_509
; %bb.508:
	scratch_load_dwordx2 v[116:117], v17, off
	ds_read_b64 v[118:119], v1
	s_waitcnt vmcnt(0) lgkmcnt(0)
	v_mul_f64 v[116:117], v[116:117], v[118:119]
	s_cbranch_execz .LBB55_510
	s_branch .LBB55_511
.LBB55_509:
                                        ; implicit-def: $vgpr116_vgpr117
.LBB55_510:
	ds_read_b64 v[116:117], v1
.LBB55_511:
	s_and_saveexec_b64 s[8:9], s[0:1]
	s_cbranch_execz .LBB55_515
; %bb.512:
	v_add_u32_e32 v118, -4, v0
	s_movk_i32 s12, 0x1e0
	s_mov_b64 s[0:1], 0
.LBB55_513:                             ; =>This Inner Loop Header: Depth=1
	scratch_load_dwordx2 v[120:121], off, s11
	v_mov_b32_e32 v119, s12
	ds_read_b64 v[122:123], v119
	v_add_u32_e32 v118, -1, v118
	s_add_i32 s12, s12, 8
	s_add_i32 s11, s11, 8
	v_cmp_eq_u32_e32 vcc, 0, v118
	s_or_b64 s[0:1], vcc, s[0:1]
	s_waitcnt vmcnt(0) lgkmcnt(0)
	v_fmac_f64_e32 v[116:117], v[120:121], v[122:123]
	s_andn2_b64 exec, exec, s[0:1]
	s_cbranch_execnz .LBB55_513
; %bb.514:
	s_or_b64 exec, exec, s[0:1]
.LBB55_515:
	s_or_b64 exec, exec, s[8:9]
	v_mov_b32_e32 v118, 0
	ds_read_b64 v[118:119], v118 offset:24
	s_waitcnt lgkmcnt(0)
	v_mul_f64 v[116:117], v[116:117], v[118:119]
	scratch_store_dwordx2 off, v[116:117], off offset:24
.LBB55_516:
	s_or_b64 exec, exec, s[4:5]
	scratch_load_dwordx2 v[116:117], off, off offset:16
	v_cmp_lt_u32_e64 s[0:1], 2, v0
	s_waitcnt vmcnt(0)
	ds_write_b64 v1, v[116:117]
	s_waitcnt lgkmcnt(0)
	; wave barrier
	s_and_saveexec_b64 s[4:5], s[0:1]
	s_cbranch_execz .LBB55_526
; %bb.517:
	s_andn2_b64 vcc, exec, s[6:7]
	s_cbranch_vccnz .LBB55_519
; %bb.518:
	scratch_load_dwordx2 v[116:117], v17, off
	ds_read_b64 v[118:119], v1
	s_waitcnt vmcnt(0) lgkmcnt(0)
	v_mul_f64 v[116:117], v[116:117], v[118:119]
	s_cbranch_execz .LBB55_520
	s_branch .LBB55_521
.LBB55_519:
                                        ; implicit-def: $vgpr116_vgpr117
.LBB55_520:
	ds_read_b64 v[116:117], v1
.LBB55_521:
	s_and_saveexec_b64 s[8:9], s[2:3]
	s_cbranch_execz .LBB55_525
; %bb.522:
	s_mov_b32 s11, 24
	v_add_u32_e32 v118, -3, v0
	s_movk_i32 s12, 0x1d8
	s_mov_b64 s[2:3], 0
.LBB55_523:                             ; =>This Inner Loop Header: Depth=1
	scratch_load_dwordx2 v[120:121], off, s11
	v_mov_b32_e32 v119, s12
	ds_read_b64 v[122:123], v119
	v_add_u32_e32 v118, -1, v118
	s_add_i32 s12, s12, 8
	s_add_i32 s11, s11, 8
	v_cmp_eq_u32_e32 vcc, 0, v118
	s_or_b64 s[2:3], vcc, s[2:3]
	s_waitcnt vmcnt(0) lgkmcnt(0)
	v_fmac_f64_e32 v[116:117], v[120:121], v[122:123]
	s_andn2_b64 exec, exec, s[2:3]
	s_cbranch_execnz .LBB55_523
; %bb.524:
	s_or_b64 exec, exec, s[2:3]
.LBB55_525:
	s_or_b64 exec, exec, s[8:9]
	v_mov_b32_e32 v118, 0
	ds_read_b64 v[118:119], v118 offset:16
	s_waitcnt lgkmcnt(0)
	v_mul_f64 v[116:117], v[116:117], v[118:119]
	scratch_store_dwordx2 off, v[116:117], off offset:16
.LBB55_526:
	s_or_b64 exec, exec, s[4:5]
	scratch_load_dwordx2 v[116:117], off, off offset:8
	v_cmp_lt_u32_e64 s[2:3], 1, v0
	s_waitcnt vmcnt(0)
	ds_write_b64 v1, v[116:117]
	s_waitcnt lgkmcnt(0)
	; wave barrier
	s_and_saveexec_b64 s[4:5], s[2:3]
	s_cbranch_execz .LBB55_536
; %bb.527:
	s_andn2_b64 vcc, exec, s[6:7]
	s_cbranch_vccnz .LBB55_529
; %bb.528:
	scratch_load_dwordx2 v[116:117], v17, off
	ds_read_b64 v[118:119], v1
	s_waitcnt vmcnt(0) lgkmcnt(0)
	v_mul_f64 v[116:117], v[116:117], v[118:119]
	s_cbranch_execz .LBB55_530
	s_branch .LBB55_531
.LBB55_529:
                                        ; implicit-def: $vgpr116_vgpr117
.LBB55_530:
	ds_read_b64 v[116:117], v1
.LBB55_531:
	s_and_saveexec_b64 s[8:9], s[0:1]
	s_cbranch_execz .LBB55_535
; %bb.532:
	v_add_u32_e32 v118, -2, v0
	s_movk_i32 s11, 0x1d0
	s_mov_b64 s[0:1], 0
.LBB55_533:                             ; =>This Inner Loop Header: Depth=1
	scratch_load_dwordx2 v[120:121], off, s10
	v_mov_b32_e32 v119, s11
	ds_read_b64 v[122:123], v119
	v_add_u32_e32 v118, -1, v118
	s_add_i32 s11, s11, 8
	s_add_i32 s10, s10, 8
	v_cmp_eq_u32_e32 vcc, 0, v118
	s_or_b64 s[0:1], vcc, s[0:1]
	s_waitcnt vmcnt(0) lgkmcnt(0)
	v_fmac_f64_e32 v[116:117], v[120:121], v[122:123]
	s_andn2_b64 exec, exec, s[0:1]
	s_cbranch_execnz .LBB55_533
; %bb.534:
	s_or_b64 exec, exec, s[0:1]
.LBB55_535:
	s_or_b64 exec, exec, s[8:9]
	v_mov_b32_e32 v118, 0
	ds_read_b64 v[118:119], v118 offset:8
	s_waitcnt lgkmcnt(0)
	v_mul_f64 v[116:117], v[116:117], v[118:119]
	scratch_store_dwordx2 off, v[116:117], off offset:8
.LBB55_536:
	s_or_b64 exec, exec, s[4:5]
	scratch_load_dwordx2 v[116:117], off, off
	v_cmp_ne_u32_e32 vcc, 0, v0
	s_waitcnt vmcnt(0)
	ds_write_b64 v1, v[116:117]
	s_waitcnt lgkmcnt(0)
	; wave barrier
	s_and_saveexec_b64 s[0:1], vcc
	s_cbranch_execz .LBB55_546
; %bb.537:
	s_andn2_b64 vcc, exec, s[6:7]
	s_cbranch_vccnz .LBB55_539
; %bb.538:
	scratch_load_dwordx2 v[116:117], v17, off
	ds_read_b64 v[118:119], v1
	s_waitcnt vmcnt(0) lgkmcnt(0)
	v_mul_f64 v[116:117], v[116:117], v[118:119]
	s_cbranch_execz .LBB55_540
	s_branch .LBB55_541
.LBB55_539:
                                        ; implicit-def: $vgpr116_vgpr117
.LBB55_540:
	ds_read_b64 v[116:117], v1
.LBB55_541:
	s_and_saveexec_b64 s[4:5], s[2:3]
	s_cbranch_execz .LBB55_545
; %bb.542:
	s_or_b32 s8, 0, 8
	v_add_u32_e32 v118, -1, v0
	s_movk_i32 s9, 0x1c8
	s_mov_b64 s[2:3], 0
.LBB55_543:                             ; =>This Inner Loop Header: Depth=1
	scratch_load_dwordx2 v[120:121], off, s8
	v_mov_b32_e32 v119, s9
	ds_read_b64 v[122:123], v119
	v_add_u32_e32 v118, -1, v118
	s_add_i32 s9, s9, 8
	s_add_i32 s8, s8, 8
	v_cmp_eq_u32_e32 vcc, 0, v118
	s_or_b64 s[2:3], vcc, s[2:3]
	s_waitcnt vmcnt(0) lgkmcnt(0)
	v_fmac_f64_e32 v[116:117], v[120:121], v[122:123]
	s_andn2_b64 exec, exec, s[2:3]
	s_cbranch_execnz .LBB55_543
; %bb.544:
	s_or_b64 exec, exec, s[2:3]
.LBB55_545:
	s_or_b64 exec, exec, s[4:5]
	v_mov_b32_e32 v118, 0
	ds_read_b64 v[118:119], v118
	s_waitcnt lgkmcnt(0)
	v_mul_f64 v[116:117], v[116:117], v[118:119]
	scratch_store_dwordx2 off, v[116:117], off
.LBB55_546:
	s_or_b64 exec, exec, s[0:1]
	s_mov_b64 s[0:1], 0
.LBB55_547:
	s_and_b64 vcc, exec, s[0:1]
	s_cbranch_vccz .LBB55_1089
; %bb.548:
	scratch_load_dwordx2 v[116:117], off, off offset:8
	v_cmp_eq_u32_e64 s[2:3], 0, v0
	s_waitcnt vmcnt(0)
	ds_write_b64 v1, v[116:117]
	s_waitcnt lgkmcnt(0)
	; wave barrier
	s_and_saveexec_b64 s[0:1], s[2:3]
	s_cbranch_execz .LBB55_554
; %bb.549:
	s_and_b64 vcc, exec, s[6:7]
	s_cbranch_vccz .LBB55_551
; %bb.550:
	scratch_load_dwordx2 v[116:117], v17, off
	ds_read_b64 v[118:119], v1
	s_waitcnt vmcnt(0) lgkmcnt(0)
	v_mul_f64 v[116:117], v[116:117], v[118:119]
	s_cbranch_execz .LBB55_552
	s_branch .LBB55_553
.LBB55_551:
                                        ; implicit-def: $vgpr116_vgpr117
.LBB55_552:
	ds_read_b64 v[116:117], v1
.LBB55_553:
	v_mov_b32_e32 v118, 0
	ds_read_b64 v[118:119], v118 offset:8
	s_waitcnt lgkmcnt(0)
	v_mul_f64 v[116:117], v[116:117], v[118:119]
	scratch_store_dwordx2 off, v[116:117], off offset:8
.LBB55_554:
	s_or_b64 exec, exec, s[0:1]
	scratch_load_dwordx2 v[116:117], off, off offset:16
	v_cndmask_b32_e64 v118, 0, 1, s[6:7]
	v_cmp_gt_u32_e32 vcc, 2, v0
	v_cmp_ne_u32_e64 s[0:1], 1, v118
	s_waitcnt vmcnt(0)
	ds_write_b64 v1, v[116:117]
	s_waitcnt lgkmcnt(0)
	; wave barrier
	s_and_saveexec_b64 s[4:5], vcc
	s_cbranch_execz .LBB55_560
; %bb.555:
	s_and_b64 vcc, exec, s[0:1]
	s_cbranch_vccnz .LBB55_557
; %bb.556:
	scratch_load_dwordx2 v[116:117], v17, off
	ds_read_b64 v[118:119], v1
	s_waitcnt vmcnt(0) lgkmcnt(0)
	v_mul_f64 v[116:117], v[116:117], v[118:119]
	s_cbranch_execz .LBB55_558
	s_branch .LBB55_559
.LBB55_557:
                                        ; implicit-def: $vgpr116_vgpr117
.LBB55_558:
	ds_read_b64 v[116:117], v1
.LBB55_559:
	scratch_load_dwordx2 v[122:123], off, off offset:8
	v_mov_b32_e32 v118, 0
	ds_read2_b64 v[118:121], v118 offset0:2 offset1:57
	s_waitcnt vmcnt(0) lgkmcnt(0)
	v_fma_f64 v[120:121], v[122:123], v[120:121], v[116:117]
	v_cndmask_b32_e64 v117, v117, v121, s[2:3]
	v_cndmask_b32_e64 v116, v116, v120, s[2:3]
	v_mul_f64 v[116:117], v[116:117], v[118:119]
	scratch_store_dwordx2 off, v[116:117], off offset:16
.LBB55_560:
	s_or_b64 exec, exec, s[4:5]
	scratch_load_dwordx2 v[116:117], off, off offset:24
	v_cmp_gt_u32_e32 vcc, 3, v0
	s_waitcnt vmcnt(0)
	ds_write_b64 v1, v[116:117]
	s_waitcnt lgkmcnt(0)
	; wave barrier
	s_and_saveexec_b64 s[4:5], vcc
	s_cbranch_execz .LBB55_568
; %bb.561:
	s_and_b64 vcc, exec, s[0:1]
	s_cbranch_vccnz .LBB55_563
; %bb.562:
	scratch_load_dwordx2 v[116:117], v17, off
	ds_read_b64 v[118:119], v1
	s_waitcnt vmcnt(0) lgkmcnt(0)
	v_mul_f64 v[116:117], v[116:117], v[118:119]
	s_cbranch_execz .LBB55_564
	s_branch .LBB55_565
.LBB55_563:
                                        ; implicit-def: $vgpr116_vgpr117
.LBB55_564:
	ds_read_b64 v[116:117], v1
.LBB55_565:
	v_cmp_ne_u32_e32 vcc, 2, v0
	s_and_saveexec_b64 s[6:7], vcc
	s_cbranch_execz .LBB55_567
; %bb.566:
	scratch_load_dwordx2 v[118:119], v17, off offset:8
	scratch_load_dwordx2 v[120:121], off, off offset:16
	ds_read_b64 v[122:123], v1 offset:8
	v_mov_b32_e32 v124, 0
	ds_read_b64 v[124:125], v124 offset:464
	s_waitcnt vmcnt(1) lgkmcnt(1)
	v_fmac_f64_e32 v[116:117], v[118:119], v[122:123]
	s_waitcnt vmcnt(0) lgkmcnt(0)
	v_fma_f64 v[118:119], v[120:121], v[124:125], v[116:117]
	v_cndmask_b32_e64 v117, v117, v119, s[2:3]
	v_cndmask_b32_e64 v116, v116, v118, s[2:3]
.LBB55_567:
	s_or_b64 exec, exec, s[6:7]
	v_mov_b32_e32 v118, 0
	ds_read_b64 v[118:119], v118 offset:24
	s_waitcnt lgkmcnt(0)
	v_mul_f64 v[116:117], v[116:117], v[118:119]
	scratch_store_dwordx2 off, v[116:117], off offset:24
.LBB55_568:
	s_or_b64 exec, exec, s[4:5]
	scratch_load_dwordx2 v[116:117], off, off offset:32
	v_cmp_gt_u32_e32 vcc, 4, v0
	s_waitcnt vmcnt(0)
	ds_write_b64 v1, v[116:117]
	s_waitcnt lgkmcnt(0)
	; wave barrier
	s_and_saveexec_b64 s[2:3], vcc
	s_cbranch_execz .LBB55_578
; %bb.569:
	s_and_b64 vcc, exec, s[0:1]
	s_cbranch_vccnz .LBB55_571
; %bb.570:
	scratch_load_dwordx2 v[116:117], v17, off
	ds_read_b64 v[118:119], v1
	s_waitcnt vmcnt(0) lgkmcnt(0)
	v_mul_f64 v[116:117], v[116:117], v[118:119]
	s_cbranch_execz .LBB55_572
	s_branch .LBB55_573
.LBB55_571:
                                        ; implicit-def: $vgpr116_vgpr117
.LBB55_572:
	ds_read_b64 v[116:117], v1
.LBB55_573:
	v_cmp_ne_u32_e32 vcc, 3, v0
	s_and_saveexec_b64 s[4:5], vcc
	s_cbranch_execz .LBB55_577
; %bb.574:
	s_mov_b32 s6, 0
	v_add_u32_e32 v118, 0x1c8, v16
	v_add3_u32 v119, v16, s6, 8
	s_mov_b64 s[6:7], 0
	v_mov_b32_e32 v120, v0
.LBB55_575:                             ; =>This Inner Loop Header: Depth=1
	scratch_load_dwordx2 v[122:123], v119, off
	ds_read_b64 v[124:125], v118
	v_add_u32_e32 v120, 1, v120
	v_cmp_lt_u32_e32 vcc, 2, v120
	v_add_u32_e32 v118, 8, v118
	v_add_u32_e32 v119, 8, v119
	s_or_b64 s[6:7], vcc, s[6:7]
	s_waitcnt vmcnt(0) lgkmcnt(0)
	v_fmac_f64_e32 v[116:117], v[122:123], v[124:125]
	s_andn2_b64 exec, exec, s[6:7]
	s_cbranch_execnz .LBB55_575
; %bb.576:
	s_or_b64 exec, exec, s[6:7]
.LBB55_577:
	s_or_b64 exec, exec, s[4:5]
	v_mov_b32_e32 v118, 0
	ds_read_b64 v[118:119], v118 offset:32
	s_waitcnt lgkmcnt(0)
	v_mul_f64 v[116:117], v[116:117], v[118:119]
	scratch_store_dwordx2 off, v[116:117], off offset:32
.LBB55_578:
	s_or_b64 exec, exec, s[2:3]
	scratch_load_dwordx2 v[116:117], off, off offset:40
	v_cmp_gt_u32_e32 vcc, 5, v0
	s_waitcnt vmcnt(0)
	ds_write_b64 v1, v[116:117]
	s_waitcnt lgkmcnt(0)
	; wave barrier
	s_and_saveexec_b64 s[2:3], vcc
	s_cbranch_execz .LBB55_588
; %bb.579:
	s_and_b64 vcc, exec, s[0:1]
	s_cbranch_vccnz .LBB55_581
; %bb.580:
	scratch_load_dwordx2 v[116:117], v17, off
	ds_read_b64 v[118:119], v1
	s_waitcnt vmcnt(0) lgkmcnt(0)
	v_mul_f64 v[116:117], v[116:117], v[118:119]
	s_cbranch_execz .LBB55_582
	s_branch .LBB55_583
.LBB55_581:
                                        ; implicit-def: $vgpr116_vgpr117
.LBB55_582:
	ds_read_b64 v[116:117], v1
.LBB55_583:
	v_cmp_ne_u32_e32 vcc, 4, v0
	s_and_saveexec_b64 s[4:5], vcc
	s_cbranch_execz .LBB55_587
; %bb.584:
	s_mov_b32 s6, 0
	v_add_u32_e32 v118, 0x1c8, v16
	v_add3_u32 v119, v16, s6, 8
	s_mov_b64 s[6:7], 0
	v_mov_b32_e32 v120, v0
.LBB55_585:                             ; =>This Inner Loop Header: Depth=1
	scratch_load_dwordx2 v[122:123], v119, off
	ds_read_b64 v[124:125], v118
	v_add_u32_e32 v120, 1, v120
	v_cmp_lt_u32_e32 vcc, 3, v120
	v_add_u32_e32 v118, 8, v118
	v_add_u32_e32 v119, 8, v119
	s_or_b64 s[6:7], vcc, s[6:7]
	s_waitcnt vmcnt(0) lgkmcnt(0)
	v_fmac_f64_e32 v[116:117], v[122:123], v[124:125]
	s_andn2_b64 exec, exec, s[6:7]
	s_cbranch_execnz .LBB55_585
; %bb.586:
	s_or_b64 exec, exec, s[6:7]
.LBB55_587:
	s_or_b64 exec, exec, s[4:5]
	v_mov_b32_e32 v118, 0
	ds_read_b64 v[118:119], v118 offset:40
	s_waitcnt lgkmcnt(0)
	v_mul_f64 v[116:117], v[116:117], v[118:119]
	scratch_store_dwordx2 off, v[116:117], off offset:40
.LBB55_588:
	;; [unrolled: 55-line block ×43, first 2 shown]
	s_or_b64 exec, exec, s[2:3]
	scratch_load_dwordx2 v[116:117], off, off offset:376
	v_cmp_gt_u32_e32 vcc, 47, v0
	s_waitcnt vmcnt(0)
	ds_write_b64 v1, v[116:117]
	s_waitcnt lgkmcnt(0)
	; wave barrier
	s_and_saveexec_b64 s[2:3], vcc
	s_cbranch_execz .LBB55_1008
; %bb.999:
	s_and_b64 vcc, exec, s[0:1]
	s_cbranch_vccnz .LBB55_1001
; %bb.1000:
	scratch_load_dwordx2 v[116:117], v17, off
	ds_read_b64 v[118:119], v1
	s_waitcnt vmcnt(0) lgkmcnt(0)
	v_mul_f64 v[116:117], v[116:117], v[118:119]
	s_cbranch_execz .LBB55_1002
	s_branch .LBB55_1003
.LBB55_1001:
                                        ; implicit-def: $vgpr116_vgpr117
.LBB55_1002:
	ds_read_b64 v[116:117], v1
.LBB55_1003:
	v_cmp_ne_u32_e32 vcc, 46, v0
	s_and_saveexec_b64 s[4:5], vcc
	s_cbranch_execz .LBB55_1007
; %bb.1004:
	s_mov_b32 s6, 0
	v_add_u32_e32 v118, 0x1c8, v16
	v_add3_u32 v119, v16, s6, 8
	s_mov_b64 s[6:7], 0
	v_mov_b32_e32 v120, v0
.LBB55_1005:                            ; =>This Inner Loop Header: Depth=1
	scratch_load_dwordx2 v[122:123], v119, off
	ds_read_b64 v[124:125], v118
	v_add_u32_e32 v120, 1, v120
	v_cmp_lt_u32_e32 vcc, 45, v120
	v_add_u32_e32 v118, 8, v118
	v_add_u32_e32 v119, 8, v119
	s_or_b64 s[6:7], vcc, s[6:7]
	s_waitcnt vmcnt(0) lgkmcnt(0)
	v_fmac_f64_e32 v[116:117], v[122:123], v[124:125]
	s_andn2_b64 exec, exec, s[6:7]
	s_cbranch_execnz .LBB55_1005
; %bb.1006:
	s_or_b64 exec, exec, s[6:7]
.LBB55_1007:
	s_or_b64 exec, exec, s[4:5]
	v_mov_b32_e32 v118, 0
	ds_read_b64 v[118:119], v118 offset:376
	s_waitcnt lgkmcnt(0)
	v_mul_f64 v[116:117], v[116:117], v[118:119]
	scratch_store_dwordx2 off, v[116:117], off offset:376
.LBB55_1008:
	s_or_b64 exec, exec, s[2:3]
	scratch_load_dwordx2 v[116:117], off, off offset:384
	v_cmp_gt_u32_e32 vcc, 48, v0
	s_waitcnt vmcnt(0)
	ds_write_b64 v1, v[116:117]
	s_waitcnt lgkmcnt(0)
	; wave barrier
	s_and_saveexec_b64 s[2:3], vcc
	s_cbranch_execz .LBB55_1018
; %bb.1009:
	s_and_b64 vcc, exec, s[0:1]
	s_cbranch_vccnz .LBB55_1011
; %bb.1010:
	scratch_load_dwordx2 v[116:117], v17, off
	ds_read_b64 v[118:119], v1
	s_waitcnt vmcnt(0) lgkmcnt(0)
	v_mul_f64 v[116:117], v[116:117], v[118:119]
	s_cbranch_execz .LBB55_1012
	s_branch .LBB55_1013
.LBB55_1011:
                                        ; implicit-def: $vgpr116_vgpr117
.LBB55_1012:
	ds_read_b64 v[116:117], v1
.LBB55_1013:
	v_cmp_ne_u32_e32 vcc, 47, v0
	s_and_saveexec_b64 s[4:5], vcc
	s_cbranch_execz .LBB55_1017
; %bb.1014:
	s_mov_b32 s6, 0
	v_add_u32_e32 v118, 0x1c8, v16
	v_add3_u32 v119, v16, s6, 8
	s_mov_b64 s[6:7], 0
	v_mov_b32_e32 v120, v0
.LBB55_1015:                            ; =>This Inner Loop Header: Depth=1
	scratch_load_dwordx2 v[122:123], v119, off
	ds_read_b64 v[124:125], v118
	v_add_u32_e32 v120, 1, v120
	v_cmp_lt_u32_e32 vcc, 46, v120
	v_add_u32_e32 v118, 8, v118
	v_add_u32_e32 v119, 8, v119
	s_or_b64 s[6:7], vcc, s[6:7]
	s_waitcnt vmcnt(0) lgkmcnt(0)
	v_fmac_f64_e32 v[116:117], v[122:123], v[124:125]
	s_andn2_b64 exec, exec, s[6:7]
	s_cbranch_execnz .LBB55_1015
; %bb.1016:
	s_or_b64 exec, exec, s[6:7]
.LBB55_1017:
	s_or_b64 exec, exec, s[4:5]
	v_mov_b32_e32 v118, 0
	ds_read_b64 v[118:119], v118 offset:384
	s_waitcnt lgkmcnt(0)
	v_mul_f64 v[116:117], v[116:117], v[118:119]
	scratch_store_dwordx2 off, v[116:117], off offset:384
.LBB55_1018:
	s_or_b64 exec, exec, s[2:3]
	scratch_load_dwordx2 v[116:117], off, off offset:392
	v_cmp_gt_u32_e32 vcc, 49, v0
	s_waitcnt vmcnt(0)
	ds_write_b64 v1, v[116:117]
	s_waitcnt lgkmcnt(0)
	; wave barrier
	s_and_saveexec_b64 s[2:3], vcc
	s_cbranch_execz .LBB55_1028
; %bb.1019:
	s_and_b64 vcc, exec, s[0:1]
	s_cbranch_vccnz .LBB55_1021
; %bb.1020:
	scratch_load_dwordx2 v[116:117], v17, off
	ds_read_b64 v[118:119], v1
	s_waitcnt vmcnt(0) lgkmcnt(0)
	v_mul_f64 v[116:117], v[116:117], v[118:119]
	s_cbranch_execz .LBB55_1022
	s_branch .LBB55_1023
.LBB55_1021:
                                        ; implicit-def: $vgpr116_vgpr117
.LBB55_1022:
	ds_read_b64 v[116:117], v1
.LBB55_1023:
	v_cmp_ne_u32_e32 vcc, 48, v0
	s_and_saveexec_b64 s[4:5], vcc
	s_cbranch_execz .LBB55_1027
; %bb.1024:
	s_mov_b32 s6, 0
	v_add_u32_e32 v118, 0x1c8, v16
	v_add3_u32 v119, v16, s6, 8
	s_mov_b64 s[6:7], 0
	v_mov_b32_e32 v120, v0
.LBB55_1025:                            ; =>This Inner Loop Header: Depth=1
	scratch_load_dwordx2 v[122:123], v119, off
	ds_read_b64 v[124:125], v118
	v_add_u32_e32 v120, 1, v120
	v_cmp_lt_u32_e32 vcc, 47, v120
	v_add_u32_e32 v118, 8, v118
	v_add_u32_e32 v119, 8, v119
	s_or_b64 s[6:7], vcc, s[6:7]
	s_waitcnt vmcnt(0) lgkmcnt(0)
	v_fmac_f64_e32 v[116:117], v[122:123], v[124:125]
	s_andn2_b64 exec, exec, s[6:7]
	s_cbranch_execnz .LBB55_1025
; %bb.1026:
	s_or_b64 exec, exec, s[6:7]
.LBB55_1027:
	s_or_b64 exec, exec, s[4:5]
	v_mov_b32_e32 v118, 0
	ds_read_b64 v[118:119], v118 offset:392
	s_waitcnt lgkmcnt(0)
	v_mul_f64 v[116:117], v[116:117], v[118:119]
	scratch_store_dwordx2 off, v[116:117], off offset:392
.LBB55_1028:
	s_or_b64 exec, exec, s[2:3]
	scratch_load_dwordx2 v[116:117], off, off offset:400
	v_cmp_gt_u32_e32 vcc, 50, v0
	s_waitcnt vmcnt(0)
	ds_write_b64 v1, v[116:117]
	s_waitcnt lgkmcnt(0)
	; wave barrier
	s_and_saveexec_b64 s[2:3], vcc
	s_cbranch_execz .LBB55_1038
; %bb.1029:
	s_and_b64 vcc, exec, s[0:1]
	s_cbranch_vccnz .LBB55_1031
; %bb.1030:
	scratch_load_dwordx2 v[116:117], v17, off
	ds_read_b64 v[118:119], v1
	s_waitcnt vmcnt(0) lgkmcnt(0)
	v_mul_f64 v[116:117], v[116:117], v[118:119]
	s_cbranch_execz .LBB55_1032
	s_branch .LBB55_1033
.LBB55_1031:
                                        ; implicit-def: $vgpr116_vgpr117
.LBB55_1032:
	ds_read_b64 v[116:117], v1
.LBB55_1033:
	v_cmp_ne_u32_e32 vcc, 49, v0
	s_and_saveexec_b64 s[4:5], vcc
	s_cbranch_execz .LBB55_1037
; %bb.1034:
	s_mov_b32 s6, 0
	v_add_u32_e32 v118, 0x1c8, v16
	v_add3_u32 v119, v16, s6, 8
	s_mov_b64 s[6:7], 0
	v_mov_b32_e32 v120, v0
.LBB55_1035:                            ; =>This Inner Loop Header: Depth=1
	scratch_load_dwordx2 v[122:123], v119, off
	ds_read_b64 v[124:125], v118
	v_add_u32_e32 v120, 1, v120
	v_cmp_lt_u32_e32 vcc, 48, v120
	v_add_u32_e32 v118, 8, v118
	v_add_u32_e32 v119, 8, v119
	s_or_b64 s[6:7], vcc, s[6:7]
	s_waitcnt vmcnt(0) lgkmcnt(0)
	v_fmac_f64_e32 v[116:117], v[122:123], v[124:125]
	s_andn2_b64 exec, exec, s[6:7]
	s_cbranch_execnz .LBB55_1035
; %bb.1036:
	s_or_b64 exec, exec, s[6:7]
.LBB55_1037:
	s_or_b64 exec, exec, s[4:5]
	v_mov_b32_e32 v118, 0
	ds_read_b64 v[118:119], v118 offset:400
	s_waitcnt lgkmcnt(0)
	v_mul_f64 v[116:117], v[116:117], v[118:119]
	scratch_store_dwordx2 off, v[116:117], off offset:400
.LBB55_1038:
	s_or_b64 exec, exec, s[2:3]
	scratch_load_dwordx2 v[116:117], off, off offset:408
	v_cmp_gt_u32_e32 vcc, 51, v0
	s_waitcnt vmcnt(0)
	ds_write_b64 v1, v[116:117]
	s_waitcnt lgkmcnt(0)
	; wave barrier
	s_and_saveexec_b64 s[2:3], vcc
	s_cbranch_execz .LBB55_1048
; %bb.1039:
	s_and_b64 vcc, exec, s[0:1]
	s_cbranch_vccnz .LBB55_1041
; %bb.1040:
	scratch_load_dwordx2 v[116:117], v17, off
	ds_read_b64 v[118:119], v1
	s_waitcnt vmcnt(0) lgkmcnt(0)
	v_mul_f64 v[116:117], v[116:117], v[118:119]
	s_cbranch_execz .LBB55_1042
	s_branch .LBB55_1043
.LBB55_1041:
                                        ; implicit-def: $vgpr116_vgpr117
.LBB55_1042:
	ds_read_b64 v[116:117], v1
.LBB55_1043:
	v_cmp_ne_u32_e32 vcc, 50, v0
	s_and_saveexec_b64 s[4:5], vcc
	s_cbranch_execz .LBB55_1047
; %bb.1044:
	s_mov_b32 s6, 0
	v_add_u32_e32 v118, 0x1c8, v16
	v_add3_u32 v119, v16, s6, 8
	s_mov_b64 s[6:7], 0
	v_mov_b32_e32 v120, v0
.LBB55_1045:                            ; =>This Inner Loop Header: Depth=1
	scratch_load_dwordx2 v[122:123], v119, off
	ds_read_b64 v[124:125], v118
	v_add_u32_e32 v120, 1, v120
	v_cmp_lt_u32_e32 vcc, 49, v120
	v_add_u32_e32 v118, 8, v118
	v_add_u32_e32 v119, 8, v119
	s_or_b64 s[6:7], vcc, s[6:7]
	s_waitcnt vmcnt(0) lgkmcnt(0)
	v_fmac_f64_e32 v[116:117], v[122:123], v[124:125]
	s_andn2_b64 exec, exec, s[6:7]
	s_cbranch_execnz .LBB55_1045
; %bb.1046:
	s_or_b64 exec, exec, s[6:7]
.LBB55_1047:
	s_or_b64 exec, exec, s[4:5]
	v_mov_b32_e32 v118, 0
	ds_read_b64 v[118:119], v118 offset:408
	s_waitcnt lgkmcnt(0)
	v_mul_f64 v[116:117], v[116:117], v[118:119]
	scratch_store_dwordx2 off, v[116:117], off offset:408
.LBB55_1048:
	s_or_b64 exec, exec, s[2:3]
	scratch_load_dwordx2 v[116:117], off, off offset:416
	v_cmp_gt_u32_e32 vcc, 52, v0
	s_waitcnt vmcnt(0)
	ds_write_b64 v1, v[116:117]
	s_waitcnt lgkmcnt(0)
	; wave barrier
	s_and_saveexec_b64 s[2:3], vcc
	s_cbranch_execz .LBB55_1058
; %bb.1049:
	s_and_b64 vcc, exec, s[0:1]
	s_cbranch_vccnz .LBB55_1051
; %bb.1050:
	scratch_load_dwordx2 v[116:117], v17, off
	ds_read_b64 v[118:119], v1
	s_waitcnt vmcnt(0) lgkmcnt(0)
	v_mul_f64 v[116:117], v[116:117], v[118:119]
	s_cbranch_execz .LBB55_1052
	s_branch .LBB55_1053
.LBB55_1051:
                                        ; implicit-def: $vgpr116_vgpr117
.LBB55_1052:
	ds_read_b64 v[116:117], v1
.LBB55_1053:
	v_cmp_ne_u32_e32 vcc, 51, v0
	s_and_saveexec_b64 s[4:5], vcc
	s_cbranch_execz .LBB55_1057
; %bb.1054:
	s_mov_b32 s6, 0
	v_add_u32_e32 v118, 0x1c8, v16
	v_add3_u32 v119, v16, s6, 8
	s_mov_b64 s[6:7], 0
	v_mov_b32_e32 v120, v0
.LBB55_1055:                            ; =>This Inner Loop Header: Depth=1
	scratch_load_dwordx2 v[122:123], v119, off
	ds_read_b64 v[124:125], v118
	v_add_u32_e32 v120, 1, v120
	v_cmp_lt_u32_e32 vcc, 50, v120
	v_add_u32_e32 v118, 8, v118
	v_add_u32_e32 v119, 8, v119
	s_or_b64 s[6:7], vcc, s[6:7]
	s_waitcnt vmcnt(0) lgkmcnt(0)
	v_fmac_f64_e32 v[116:117], v[122:123], v[124:125]
	s_andn2_b64 exec, exec, s[6:7]
	s_cbranch_execnz .LBB55_1055
; %bb.1056:
	s_or_b64 exec, exec, s[6:7]
.LBB55_1057:
	s_or_b64 exec, exec, s[4:5]
	v_mov_b32_e32 v118, 0
	ds_read_b64 v[118:119], v118 offset:416
	s_waitcnt lgkmcnt(0)
	v_mul_f64 v[116:117], v[116:117], v[118:119]
	scratch_store_dwordx2 off, v[116:117], off offset:416
.LBB55_1058:
	s_or_b64 exec, exec, s[2:3]
	scratch_load_dwordx2 v[116:117], off, off offset:424
	v_cmp_gt_u32_e32 vcc, 53, v0
	s_waitcnt vmcnt(0)
	ds_write_b64 v1, v[116:117]
	s_waitcnt lgkmcnt(0)
	; wave barrier
	s_and_saveexec_b64 s[2:3], vcc
	s_cbranch_execz .LBB55_1068
; %bb.1059:
	s_and_b64 vcc, exec, s[0:1]
	s_cbranch_vccnz .LBB55_1061
; %bb.1060:
	scratch_load_dwordx2 v[116:117], v17, off
	ds_read_b64 v[118:119], v1
	s_waitcnt vmcnt(0) lgkmcnt(0)
	v_mul_f64 v[116:117], v[116:117], v[118:119]
	s_cbranch_execz .LBB55_1062
	s_branch .LBB55_1063
.LBB55_1061:
                                        ; implicit-def: $vgpr116_vgpr117
.LBB55_1062:
	ds_read_b64 v[116:117], v1
.LBB55_1063:
	v_cmp_ne_u32_e32 vcc, 52, v0
	s_and_saveexec_b64 s[4:5], vcc
	s_cbranch_execz .LBB55_1067
; %bb.1064:
	s_mov_b32 s6, 0
	v_add_u32_e32 v118, 0x1c8, v16
	v_add3_u32 v119, v16, s6, 8
	s_mov_b64 s[6:7], 0
	v_mov_b32_e32 v120, v0
.LBB55_1065:                            ; =>This Inner Loop Header: Depth=1
	scratch_load_dwordx2 v[122:123], v119, off
	ds_read_b64 v[124:125], v118
	v_add_u32_e32 v120, 1, v120
	v_cmp_lt_u32_e32 vcc, 51, v120
	v_add_u32_e32 v118, 8, v118
	v_add_u32_e32 v119, 8, v119
	s_or_b64 s[6:7], vcc, s[6:7]
	s_waitcnt vmcnt(0) lgkmcnt(0)
	v_fmac_f64_e32 v[116:117], v[122:123], v[124:125]
	s_andn2_b64 exec, exec, s[6:7]
	s_cbranch_execnz .LBB55_1065
; %bb.1066:
	s_or_b64 exec, exec, s[6:7]
.LBB55_1067:
	s_or_b64 exec, exec, s[4:5]
	v_mov_b32_e32 v118, 0
	ds_read_b64 v[118:119], v118 offset:424
	s_waitcnt lgkmcnt(0)
	v_mul_f64 v[116:117], v[116:117], v[118:119]
	scratch_store_dwordx2 off, v[116:117], off offset:424
.LBB55_1068:
	s_or_b64 exec, exec, s[2:3]
	scratch_load_dwordx2 v[116:117], off, off offset:432
	v_cmp_gt_u32_e64 s[2:3], 54, v0
	s_waitcnt vmcnt(0)
	ds_write_b64 v1, v[116:117]
	s_waitcnt lgkmcnt(0)
	; wave barrier
	s_and_saveexec_b64 s[4:5], s[2:3]
	s_cbranch_execz .LBB55_1078
; %bb.1069:
	s_and_b64 vcc, exec, s[0:1]
	s_cbranch_vccnz .LBB55_1071
; %bb.1070:
	scratch_load_dwordx2 v[116:117], v17, off
	ds_read_b64 v[118:119], v1
	s_waitcnt vmcnt(0) lgkmcnt(0)
	v_mul_f64 v[116:117], v[116:117], v[118:119]
	s_cbranch_execz .LBB55_1072
	s_branch .LBB55_1073
.LBB55_1071:
                                        ; implicit-def: $vgpr116_vgpr117
.LBB55_1072:
	ds_read_b64 v[116:117], v1
.LBB55_1073:
	v_cmp_ne_u32_e32 vcc, 53, v0
	s_and_saveexec_b64 s[6:7], vcc
	s_cbranch_execz .LBB55_1077
; %bb.1074:
	s_mov_b32 s8, 0
	v_add_u32_e32 v118, 0x1c8, v16
	v_add3_u32 v119, v16, s8, 8
	s_mov_b64 s[8:9], 0
	v_mov_b32_e32 v120, v0
.LBB55_1075:                            ; =>This Inner Loop Header: Depth=1
	scratch_load_dwordx2 v[122:123], v119, off
	ds_read_b64 v[124:125], v118
	v_add_u32_e32 v120, 1, v120
	v_cmp_lt_u32_e32 vcc, 52, v120
	v_add_u32_e32 v118, 8, v118
	v_add_u32_e32 v119, 8, v119
	s_or_b64 s[8:9], vcc, s[8:9]
	s_waitcnt vmcnt(0) lgkmcnt(0)
	v_fmac_f64_e32 v[116:117], v[122:123], v[124:125]
	s_andn2_b64 exec, exec, s[8:9]
	s_cbranch_execnz .LBB55_1075
; %bb.1076:
	s_or_b64 exec, exec, s[8:9]
.LBB55_1077:
	s_or_b64 exec, exec, s[6:7]
	v_mov_b32_e32 v118, 0
	ds_read_b64 v[118:119], v118 offset:432
	s_waitcnt lgkmcnt(0)
	v_mul_f64 v[116:117], v[116:117], v[118:119]
	scratch_store_dwordx2 off, v[116:117], off offset:432
.LBB55_1078:
	s_or_b64 exec, exec, s[4:5]
	scratch_load_dwordx2 v[116:117], off, off offset:440
	v_cmp_ne_u32_e32 vcc, 55, v0
	s_waitcnt vmcnt(0)
	ds_write_b64 v1, v[116:117]
	s_waitcnt lgkmcnt(0)
	; wave barrier
	s_and_saveexec_b64 s[4:5], vcc
	s_cbranch_execz .LBB55_1088
; %bb.1079:
	s_and_b64 vcc, exec, s[0:1]
	s_cbranch_vccnz .LBB55_1081
; %bb.1080:
	scratch_load_dwordx2 v[116:117], v17, off
	ds_read_b64 v[118:119], v1
	s_waitcnt vmcnt(0) lgkmcnt(0)
	v_mul_f64 v[116:117], v[116:117], v[118:119]
	s_cbranch_execz .LBB55_1082
	s_branch .LBB55_1083
.LBB55_1081:
                                        ; implicit-def: $vgpr116_vgpr117
.LBB55_1082:
	ds_read_b64 v[116:117], v1
.LBB55_1083:
	s_and_saveexec_b64 s[0:1], s[2:3]
	s_cbranch_execz .LBB55_1087
; %bb.1084:
	s_mov_b32 s2, 0
	v_add_u32_e32 v1, 0x1c8, v16
	v_add3_u32 v16, v16, s2, 8
	s_mov_b64 s[2:3], 0
.LBB55_1085:                            ; =>This Inner Loop Header: Depth=1
	scratch_load_dwordx2 v[118:119], v16, off
	ds_read_b64 v[120:121], v1
	v_add_u32_e32 v0, 1, v0
	v_cmp_lt_u32_e32 vcc, 53, v0
	v_add_u32_e32 v1, 8, v1
	v_add_u32_e32 v16, 8, v16
	s_or_b64 s[2:3], vcc, s[2:3]
	s_waitcnt vmcnt(0) lgkmcnt(0)
	v_fmac_f64_e32 v[116:117], v[118:119], v[120:121]
	s_andn2_b64 exec, exec, s[2:3]
	s_cbranch_execnz .LBB55_1085
; %bb.1086:
	s_or_b64 exec, exec, s[2:3]
.LBB55_1087:
	s_or_b64 exec, exec, s[0:1]
	v_mov_b32_e32 v0, 0
	ds_read_b64 v[0:1], v0 offset:440
	s_waitcnt lgkmcnt(0)
	v_mul_f64 v[0:1], v[116:117], v[0:1]
	scratch_store_dwordx2 off, v[0:1], off offset:440
.LBB55_1088:
	s_or_b64 exec, exec, s[4:5]
.LBB55_1089:
	scratch_load_dwordx4 v[116:119], off, off
	s_waitcnt vmcnt(0)
	global_store_dwordx2 v[2:3], v[116:117], off
	global_store_dwordx2 v[4:5], v[118:119], off
	scratch_load_dwordx4 v[0:3], off, off offset:16
	s_waitcnt vmcnt(0)
	global_store_dwordx2 v[6:7], v[0:1], off
	global_store_dwordx2 v[8:9], v[2:3], off
	scratch_load_dwordx4 v[0:3], off, off offset:32
	;; [unrolled: 4-line block ×27, first 2 shown]
	s_waitcnt vmcnt(0)
	global_store_dwordx2 v[96:97], v[0:1], off
	global_store_dwordx2 v[102:103], v[2:3], off
.LBB55_1090:
	s_endpgm
	.section	.rodata,"a",@progbits
	.p2align	6, 0x0
	.amdhsa_kernel _ZN9rocsolver6v33100L18trti2_kernel_smallILi56EdPdEEv13rocblas_fill_17rocblas_diagonal_T1_iil
		.amdhsa_group_segment_fixed_size 896
		.amdhsa_private_segment_fixed_size 464
		.amdhsa_kernarg_size 32
		.amdhsa_user_sgpr_count 2
		.amdhsa_user_sgpr_dispatch_ptr 0
		.amdhsa_user_sgpr_queue_ptr 0
		.amdhsa_user_sgpr_kernarg_segment_ptr 1
		.amdhsa_user_sgpr_dispatch_id 0
		.amdhsa_user_sgpr_kernarg_preload_length 0
		.amdhsa_user_sgpr_kernarg_preload_offset 0
		.amdhsa_user_sgpr_private_segment_size 0
		.amdhsa_uses_dynamic_stack 0
		.amdhsa_enable_private_segment 1
		.amdhsa_system_sgpr_workgroup_id_x 1
		.amdhsa_system_sgpr_workgroup_id_y 0
		.amdhsa_system_sgpr_workgroup_id_z 0
		.amdhsa_system_sgpr_workgroup_info 0
		.amdhsa_system_vgpr_workitem_id 0
		.amdhsa_next_free_vgpr 126
		.amdhsa_next_free_sgpr 39
		.amdhsa_accum_offset 128
		.amdhsa_reserve_vcc 1
		.amdhsa_float_round_mode_32 0
		.amdhsa_float_round_mode_16_64 0
		.amdhsa_float_denorm_mode_32 3
		.amdhsa_float_denorm_mode_16_64 3
		.amdhsa_dx10_clamp 1
		.amdhsa_ieee_mode 1
		.amdhsa_fp16_overflow 0
		.amdhsa_tg_split 0
		.amdhsa_exception_fp_ieee_invalid_op 0
		.amdhsa_exception_fp_denorm_src 0
		.amdhsa_exception_fp_ieee_div_zero 0
		.amdhsa_exception_fp_ieee_overflow 0
		.amdhsa_exception_fp_ieee_underflow 0
		.amdhsa_exception_fp_ieee_inexact 0
		.amdhsa_exception_int_div_zero 0
	.end_amdhsa_kernel
	.section	.text._ZN9rocsolver6v33100L18trti2_kernel_smallILi56EdPdEEv13rocblas_fill_17rocblas_diagonal_T1_iil,"axG",@progbits,_ZN9rocsolver6v33100L18trti2_kernel_smallILi56EdPdEEv13rocblas_fill_17rocblas_diagonal_T1_iil,comdat
.Lfunc_end55:
	.size	_ZN9rocsolver6v33100L18trti2_kernel_smallILi56EdPdEEv13rocblas_fill_17rocblas_diagonal_T1_iil, .Lfunc_end55-_ZN9rocsolver6v33100L18trti2_kernel_smallILi56EdPdEEv13rocblas_fill_17rocblas_diagonal_T1_iil
                                        ; -- End function
	.set _ZN9rocsolver6v33100L18trti2_kernel_smallILi56EdPdEEv13rocblas_fill_17rocblas_diagonal_T1_iil.num_vgpr, 126
	.set _ZN9rocsolver6v33100L18trti2_kernel_smallILi56EdPdEEv13rocblas_fill_17rocblas_diagonal_T1_iil.num_agpr, 0
	.set _ZN9rocsolver6v33100L18trti2_kernel_smallILi56EdPdEEv13rocblas_fill_17rocblas_diagonal_T1_iil.numbered_sgpr, 39
	.set _ZN9rocsolver6v33100L18trti2_kernel_smallILi56EdPdEEv13rocblas_fill_17rocblas_diagonal_T1_iil.num_named_barrier, 0
	.set _ZN9rocsolver6v33100L18trti2_kernel_smallILi56EdPdEEv13rocblas_fill_17rocblas_diagonal_T1_iil.private_seg_size, 464
	.set _ZN9rocsolver6v33100L18trti2_kernel_smallILi56EdPdEEv13rocblas_fill_17rocblas_diagonal_T1_iil.uses_vcc, 1
	.set _ZN9rocsolver6v33100L18trti2_kernel_smallILi56EdPdEEv13rocblas_fill_17rocblas_diagonal_T1_iil.uses_flat_scratch, 0
	.set _ZN9rocsolver6v33100L18trti2_kernel_smallILi56EdPdEEv13rocblas_fill_17rocblas_diagonal_T1_iil.has_dyn_sized_stack, 0
	.set _ZN9rocsolver6v33100L18trti2_kernel_smallILi56EdPdEEv13rocblas_fill_17rocblas_diagonal_T1_iil.has_recursion, 0
	.set _ZN9rocsolver6v33100L18trti2_kernel_smallILi56EdPdEEv13rocblas_fill_17rocblas_diagonal_T1_iil.has_indirect_call, 0
	.section	.AMDGPU.csdata,"",@progbits
; Kernel info:
; codeLenInByte = 26732
; TotalNumSgprs: 45
; NumVgprs: 126
; NumAgprs: 0
; TotalNumVgprs: 126
; ScratchSize: 464
; MemoryBound: 0
; FloatMode: 240
; IeeeMode: 1
; LDSByteSize: 896 bytes/workgroup (compile time only)
; SGPRBlocks: 5
; VGPRBlocks: 15
; NumSGPRsForWavesPerEU: 45
; NumVGPRsForWavesPerEU: 126
; AccumOffset: 128
; Occupancy: 4
; WaveLimiterHint : 0
; COMPUTE_PGM_RSRC2:SCRATCH_EN: 1
; COMPUTE_PGM_RSRC2:USER_SGPR: 2
; COMPUTE_PGM_RSRC2:TRAP_HANDLER: 0
; COMPUTE_PGM_RSRC2:TGID_X_EN: 1
; COMPUTE_PGM_RSRC2:TGID_Y_EN: 0
; COMPUTE_PGM_RSRC2:TGID_Z_EN: 0
; COMPUTE_PGM_RSRC2:TIDIG_COMP_CNT: 0
; COMPUTE_PGM_RSRC3_GFX90A:ACCUM_OFFSET: 31
; COMPUTE_PGM_RSRC3_GFX90A:TG_SPLIT: 0
	.section	.text._ZN9rocsolver6v33100L18trti2_kernel_smallILi57EdPdEEv13rocblas_fill_17rocblas_diagonal_T1_iil,"axG",@progbits,_ZN9rocsolver6v33100L18trti2_kernel_smallILi57EdPdEEv13rocblas_fill_17rocblas_diagonal_T1_iil,comdat
	.globl	_ZN9rocsolver6v33100L18trti2_kernel_smallILi57EdPdEEv13rocblas_fill_17rocblas_diagonal_T1_iil ; -- Begin function _ZN9rocsolver6v33100L18trti2_kernel_smallILi57EdPdEEv13rocblas_fill_17rocblas_diagonal_T1_iil
	.p2align	8
	.type	_ZN9rocsolver6v33100L18trti2_kernel_smallILi57EdPdEEv13rocblas_fill_17rocblas_diagonal_T1_iil,@function
_ZN9rocsolver6v33100L18trti2_kernel_smallILi57EdPdEEv13rocblas_fill_17rocblas_diagonal_T1_iil: ; @_ZN9rocsolver6v33100L18trti2_kernel_smallILi57EdPdEEv13rocblas_fill_17rocblas_diagonal_T1_iil
; %bb.0:
	v_cmp_gt_u32_e32 vcc, 57, v0
	s_and_saveexec_b64 s[4:5], vcc
	s_cbranch_execz .LBB56_1110
; %bb.1:
	s_load_dwordx8 s[4:11], s[0:1], 0x0
	s_ashr_i32 s3, s2, 31
	v_lshlrev_b32_e32 v10, 3, v0
	v_mov_b32_e32 v11, 0
	s_waitcnt lgkmcnt(0)
	s_ashr_i32 s1, s8, 31
	s_mov_b32 s0, s8
	s_mul_hi_u32 s8, s10, s2
	s_mul_i32 s3, s10, s3
	s_add_i32 s3, s8, s3
	s_mul_i32 s8, s11, s2
	s_add_i32 s3, s3, s8
	s_mul_i32 s2, s10, s2
	s_lshl_b64 s[2:3], s[2:3], 3
	s_add_u32 s2, s6, s2
	s_addc_u32 s3, s7, s3
	s_lshl_b64 s[0:1], s[0:1], 3
	s_add_u32 s0, s2, s0
	s_addc_u32 s1, s3, s1
	v_lshl_add_u64 v[2:3], s[0:1], 0, v[10:11]
	s_ashr_i32 s3, s9, 31
	s_mov_b32 s2, s9
	v_lshl_add_u64 v[4:5], s[2:3], 3, v[2:3]
	global_load_dwordx2 v[6:7], v10, s[0:1]
	global_load_dwordx2 v[8:9], v[4:5], off
	s_add_i32 s2, s9, s9
	s_cmpk_lg_i32 s5, 0x84
	s_cselect_b64 s[6:7], -1, 0
	s_cmpk_eq_i32 s5, 0x84
	s_waitcnt vmcnt(0)
	scratch_store_dwordx4 off, v[6:9], off
	s_nop 1
	v_add_u32_e32 v8, s2, v0
	v_add_u32_e32 v12, s9, v8
	v_ashrrev_i32_e32 v9, 31, v8
	v_ashrrev_i32_e32 v13, 31, v12
	v_lshl_add_u64 v[6:7], v[8:9], 3, s[0:1]
	v_lshl_add_u64 v[8:9], v[12:13], 3, s[0:1]
	global_load_dwordx2 v[14:15], v[6:7], off
	global_load_dwordx2 v[16:17], v[8:9], off
	s_waitcnt vmcnt(0)
	scratch_store_dwordx4 off, v[14:17], off offset:16
	s_nop 1
	v_add_u32_e32 v14, s9, v12
	v_add_u32_e32 v16, s9, v14
	v_ashrrev_i32_e32 v15, 31, v14
	v_ashrrev_i32_e32 v17, 31, v16
	v_lshl_add_u64 v[12:13], v[14:15], 3, s[0:1]
	v_lshl_add_u64 v[14:15], v[16:17], 3, s[0:1]
	global_load_dwordx2 v[18:19], v[12:13], off
	global_load_dwordx2 v[20:21], v[14:15], off
	s_waitcnt vmcnt(0)
	scratch_store_dwordx4 off, v[18:21], off offset:32
	;; [unrolled: 11-line block ×24, first 2 shown]
	s_nop 1
	v_add_u32_e32 v106, s9, v104
	v_add_u32_e32 v108, s9, v106
	v_ashrrev_i32_e32 v107, 31, v106
	v_ashrrev_i32_e32 v109, 31, v108
	v_lshl_add_u64 v[104:105], v[106:107], 3, s[0:1]
	v_lshl_add_u64 v[106:107], v[108:109], 3, s[0:1]
	global_load_dwordx2 v[110:111], v[104:105], off
	global_load_dwordx2 v[112:113], v[106:107], off
	v_add_u32_e32 v108, s9, v108
	v_ashrrev_i32_e32 v109, 31, v108
	s_waitcnt vmcnt(0)
	scratch_store_dwordx4 off, v[110:113], off offset:400
	s_nop 1
	v_lshl_add_u64 v[110:111], v[108:109], 3, s[0:1]
	v_add_u32_e32 v108, s9, v108
	v_ashrrev_i32_e32 v109, 31, v108
	v_lshl_add_u64 v[112:113], v[108:109], 3, s[0:1]
	global_load_dwordx2 v[114:115], v[110:111], off
	global_load_dwordx2 v[116:117], v[112:113], off
	v_add_u32_e32 v108, s9, v108
	v_ashrrev_i32_e32 v109, 31, v108
	s_waitcnt vmcnt(0)
	scratch_store_dwordx4 off, v[114:117], off offset:416
	s_nop 1
	v_lshl_add_u64 v[114:115], v[108:109], 3, s[0:1]
	v_add_u32_e32 v108, s9, v108
	v_ashrrev_i32_e32 v109, 31, v108
	v_lshl_add_u64 v[116:117], v[108:109], 3, s[0:1]
	global_load_dwordx2 v[118:119], v[114:115], off
	global_load_dwordx2 v[120:121], v[116:117], off
	v_add_u32_e32 v108, s9, v108
	v_ashrrev_i32_e32 v109, 31, v108
	v_lshl_add_u64 v[108:109], v[108:109], 3, s[0:1]
	s_waitcnt vmcnt(0)
	scratch_store_dwordx4 off, v[118:121], off offset:432
	global_load_dwordx2 v[118:119], v[108:109], off
	s_waitcnt vmcnt(0)
	scratch_store_dwordx2 off, v[118:119], off offset:448
	v_mov_b64_e32 v[118:119], -1.0
	s_cbranch_scc1 .LBB56_3
; %bb.2:
	scratch_load_dwordx2 v[118:119], v10, off
	s_waitcnt vmcnt(0)
	v_div_scale_f64 v[120:121], s[0:1], v[118:119], v[118:119], 1.0
	v_rcp_f64_e32 v[122:123], v[120:121]
	v_div_scale_f64 v[124:125], vcc, 1.0, v[118:119], 1.0
	v_fma_f64 v[126:127], -v[120:121], v[122:123], 1.0
	v_fmac_f64_e32 v[122:123], v[122:123], v[126:127]
	v_fma_f64 v[126:127], -v[120:121], v[122:123], 1.0
	v_fmac_f64_e32 v[122:123], v[122:123], v[126:127]
	v_mul_f64 v[126:127], v[124:125], v[122:123]
	v_fma_f64 v[120:121], -v[120:121], v[126:127], v[124:125]
	v_div_fmas_f64 v[120:121], v[120:121], v[122:123], v[126:127]
	v_div_fixup_f64 v[118:119], v[120:121], v[118:119], 1.0
	scratch_store_dwordx2 v10, v[118:119], off
	v_xor_b32_e32 v119, 0x80000000, v119
.LBB56_3:
	s_cmpk_eq_i32 s4, 0x79
	v_add_u32_e32 v1, 0x1d0, v10
	v_mov_b32_e32 v11, v10
	s_mov_b64 s[0:1], -1
	ds_write_b64 v10, v[118:119]
	s_cbranch_scc1 .LBB56_557
; %bb.4:
	scratch_load_dwordx2 v[118:119], off, off offset:440
	s_movk_i32 s8, 0x50
	s_movk_i32 s9, 0x60
	;; [unrolled: 1-line block ×23, first 2 shown]
	v_cmp_eq_u32_e64 s[0:1], 56, v0
	s_waitcnt vmcnt(0)
	ds_write_b64 v1, v[118:119]
	s_waitcnt lgkmcnt(0)
	; wave barrier
	s_and_saveexec_b64 s[2:3], s[0:1]
	s_cbranch_execz .LBB56_10
; %bb.5:
	s_and_b64 vcc, exec, s[6:7]
	s_cbranch_vccz .LBB56_7
; %bb.6:
	scratch_load_dwordx2 v[118:119], v11, off
	ds_read_b64 v[120:121], v1
	s_waitcnt vmcnt(0) lgkmcnt(0)
	v_mul_f64 v[118:119], v[118:119], v[120:121]
	s_cbranch_execz .LBB56_8
	s_branch .LBB56_9
.LBB56_7:
                                        ; implicit-def: $vgpr118_vgpr119
.LBB56_8:
	ds_read_b64 v[118:119], v1
.LBB56_9:
	v_mov_b32_e32 v120, 0
	ds_read_b64 v[120:121], v120 offset:440
	s_waitcnt lgkmcnt(0)
	v_mul_f64 v[118:119], v[118:119], v[120:121]
	scratch_store_dwordx2 off, v[118:119], off offset:440
.LBB56_10:
	s_or_b64 exec, exec, s[2:3]
	scratch_load_dwordx2 v[118:119], off, off offset:432
	s_mov_b32 s10, 16
	s_mov_b32 s11, 32
	;; [unrolled: 1-line block ×6, first 2 shown]
	v_cmp_lt_u32_e64 s[4:5], 54, v0
	s_waitcnt vmcnt(0)
	ds_write_b64 v1, v[118:119]
	s_waitcnt lgkmcnt(0)
	; wave barrier
	s_and_saveexec_b64 s[2:3], s[4:5]
	s_cbranch_execz .LBB56_16
; %bb.11:
	s_andn2_b64 vcc, exec, s[6:7]
	s_cbranch_vccnz .LBB56_13
; %bb.12:
	scratch_load_dwordx2 v[118:119], v11, off
	ds_read_b64 v[120:121], v1
	s_waitcnt vmcnt(0) lgkmcnt(0)
	v_mul_f64 v[118:119], v[118:119], v[120:121]
	s_cbranch_execz .LBB56_14
	s_branch .LBB56_15
.LBB56_13:
                                        ; implicit-def: $vgpr118_vgpr119
.LBB56_14:
	ds_read_b64 v[118:119], v1
.LBB56_15:
	scratch_load_dwordx2 v[124:125], off, off offset:440
	v_mov_b32_e32 v120, 0
	ds_read2_b64 v[120:123], v120 offset0:54 offset1:113
	s_waitcnt vmcnt(0) lgkmcnt(0)
	v_fma_f64 v[122:123], v[124:125], v[122:123], v[118:119]
	v_cndmask_b32_e64 v119, v119, v123, s[0:1]
	v_cndmask_b32_e64 v118, v118, v122, s[0:1]
	v_mul_f64 v[118:119], v[118:119], v[120:121]
	scratch_store_dwordx2 off, v[118:119], off offset:432
.LBB56_16:
	s_or_b64 exec, exec, s[2:3]
	scratch_load_dwordx2 v[118:119], off, off offset:424
	v_cmp_lt_u32_e64 s[2:3], 53, v0
	s_waitcnt vmcnt(0)
	ds_write_b64 v1, v[118:119]
	s_waitcnt lgkmcnt(0)
	; wave barrier
	s_and_saveexec_b64 s[0:1], s[2:3]
	s_cbranch_execz .LBB56_26
; %bb.17:
	s_andn2_b64 vcc, exec, s[6:7]
	s_cbranch_vccnz .LBB56_19
; %bb.18:
	scratch_load_dwordx2 v[118:119], v11, off
	ds_read_b64 v[120:121], v1
	s_waitcnt vmcnt(0) lgkmcnt(0)
	v_mul_f64 v[118:119], v[118:119], v[120:121]
	s_cbranch_execz .LBB56_20
	s_branch .LBB56_21
.LBB56_19:
                                        ; implicit-def: $vgpr118_vgpr119
.LBB56_20:
	ds_read_b64 v[118:119], v1
.LBB56_21:
	s_and_saveexec_b64 s[8:9], s[4:5]
	s_cbranch_execz .LBB56_25
; %bb.22:
	v_subrev_u32_e32 v120, 54, v0
	s_movk_i32 s38, 0x380
	s_mov_b64 s[4:5], 0
.LBB56_23:                              ; =>This Inner Loop Header: Depth=1
	scratch_load_dwordx2 v[122:123], off, s37
	v_mov_b32_e32 v121, s38
	ds_read_b64 v[124:125], v121
	v_add_u32_e32 v120, -1, v120
	s_add_i32 s38, s38, 8
	s_add_i32 s37, s37, 8
	v_cmp_eq_u32_e32 vcc, 0, v120
	s_or_b64 s[4:5], vcc, s[4:5]
	s_waitcnt vmcnt(0) lgkmcnt(0)
	v_fmac_f64_e32 v[118:119], v[122:123], v[124:125]
	s_andn2_b64 exec, exec, s[4:5]
	s_cbranch_execnz .LBB56_23
; %bb.24:
	s_or_b64 exec, exec, s[4:5]
.LBB56_25:
	s_or_b64 exec, exec, s[8:9]
	v_mov_b32_e32 v120, 0
	ds_read_b64 v[120:121], v120 offset:424
	s_waitcnt lgkmcnt(0)
	v_mul_f64 v[118:119], v[118:119], v[120:121]
	scratch_store_dwordx2 off, v[118:119], off offset:424
.LBB56_26:
	s_or_b64 exec, exec, s[0:1]
	scratch_load_dwordx2 v[118:119], off, off offset:416
	v_cmp_lt_u32_e64 s[0:1], 52, v0
	s_waitcnt vmcnt(0)
	ds_write_b64 v1, v[118:119]
	s_waitcnt lgkmcnt(0)
	; wave barrier
	s_and_saveexec_b64 s[4:5], s[0:1]
	s_cbranch_execz .LBB56_36
; %bb.27:
	s_andn2_b64 vcc, exec, s[6:7]
	s_cbranch_vccnz .LBB56_29
; %bb.28:
	scratch_load_dwordx2 v[118:119], v11, off
	ds_read_b64 v[120:121], v1
	s_waitcnt vmcnt(0) lgkmcnt(0)
	v_mul_f64 v[118:119], v[118:119], v[120:121]
	s_cbranch_execz .LBB56_30
	s_branch .LBB56_31
.LBB56_29:
                                        ; implicit-def: $vgpr118_vgpr119
.LBB56_30:
	ds_read_b64 v[118:119], v1
.LBB56_31:
	s_and_saveexec_b64 s[8:9], s[2:3]
	s_cbranch_execz .LBB56_35
; %bb.32:
	s_movk_i32 s37, 0x1a8
	v_subrev_u32_e32 v120, 53, v0
	s_movk_i32 s38, 0x378
	s_mov_b64 s[2:3], 0
.LBB56_33:                              ; =>This Inner Loop Header: Depth=1
	scratch_load_dwordx2 v[122:123], off, s37
	v_mov_b32_e32 v121, s38
	ds_read_b64 v[124:125], v121
	v_add_u32_e32 v120, -1, v120
	s_add_i32 s38, s38, 8
	s_add_i32 s37, s37, 8
	v_cmp_eq_u32_e32 vcc, 0, v120
	s_or_b64 s[2:3], vcc, s[2:3]
	s_waitcnt vmcnt(0) lgkmcnt(0)
	v_fmac_f64_e32 v[118:119], v[122:123], v[124:125]
	s_andn2_b64 exec, exec, s[2:3]
	s_cbranch_execnz .LBB56_33
; %bb.34:
	s_or_b64 exec, exec, s[2:3]
.LBB56_35:
	s_or_b64 exec, exec, s[8:9]
	v_mov_b32_e32 v120, 0
	ds_read_b64 v[120:121], v120 offset:416
	s_waitcnt lgkmcnt(0)
	v_mul_f64 v[118:119], v[118:119], v[120:121]
	scratch_store_dwordx2 off, v[118:119], off offset:416
.LBB56_36:
	s_or_b64 exec, exec, s[4:5]
	scratch_load_dwordx2 v[118:119], off, off offset:408
	v_cmp_lt_u32_e64 s[2:3], 51, v0
	s_waitcnt vmcnt(0)
	ds_write_b64 v1, v[118:119]
	s_waitcnt lgkmcnt(0)
	; wave barrier
	s_and_saveexec_b64 s[4:5], s[2:3]
	s_cbranch_execz .LBB56_46
; %bb.37:
	s_andn2_b64 vcc, exec, s[6:7]
	s_cbranch_vccnz .LBB56_39
; %bb.38:
	scratch_load_dwordx2 v[118:119], v11, off
	ds_read_b64 v[120:121], v1
	s_waitcnt vmcnt(0) lgkmcnt(0)
	v_mul_f64 v[118:119], v[118:119], v[120:121]
	s_cbranch_execz .LBB56_40
	s_branch .LBB56_41
.LBB56_39:
                                        ; implicit-def: $vgpr118_vgpr119
.LBB56_40:
	ds_read_b64 v[118:119], v1
.LBB56_41:
	s_and_saveexec_b64 s[8:9], s[0:1]
	s_cbranch_execz .LBB56_45
; %bb.42:
	v_subrev_u32_e32 v120, 52, v0
	s_movk_i32 s37, 0x370
	s_mov_b64 s[0:1], 0
.LBB56_43:                              ; =>This Inner Loop Header: Depth=1
	scratch_load_dwordx2 v[122:123], off, s36
	v_mov_b32_e32 v121, s37
	ds_read_b64 v[124:125], v121
	v_add_u32_e32 v120, -1, v120
	s_add_i32 s37, s37, 8
	s_add_i32 s36, s36, 8
	v_cmp_eq_u32_e32 vcc, 0, v120
	s_or_b64 s[0:1], vcc, s[0:1]
	s_waitcnt vmcnt(0) lgkmcnt(0)
	v_fmac_f64_e32 v[118:119], v[122:123], v[124:125]
	s_andn2_b64 exec, exec, s[0:1]
	s_cbranch_execnz .LBB56_43
; %bb.44:
	s_or_b64 exec, exec, s[0:1]
.LBB56_45:
	s_or_b64 exec, exec, s[8:9]
	v_mov_b32_e32 v120, 0
	ds_read_b64 v[120:121], v120 offset:408
	s_waitcnt lgkmcnt(0)
	v_mul_f64 v[118:119], v[118:119], v[120:121]
	scratch_store_dwordx2 off, v[118:119], off offset:408
.LBB56_46:
	s_or_b64 exec, exec, s[4:5]
	scratch_load_dwordx2 v[118:119], off, off offset:400
	v_cmp_lt_u32_e64 s[0:1], 50, v0
	s_waitcnt vmcnt(0)
	ds_write_b64 v1, v[118:119]
	s_waitcnt lgkmcnt(0)
	; wave barrier
	s_and_saveexec_b64 s[4:5], s[0:1]
	s_cbranch_execz .LBB56_56
; %bb.47:
	s_andn2_b64 vcc, exec, s[6:7]
	s_cbranch_vccnz .LBB56_49
; %bb.48:
	scratch_load_dwordx2 v[118:119], v11, off
	ds_read_b64 v[120:121], v1
	s_waitcnt vmcnt(0) lgkmcnt(0)
	v_mul_f64 v[118:119], v[118:119], v[120:121]
	s_cbranch_execz .LBB56_50
	s_branch .LBB56_51
.LBB56_49:
                                        ; implicit-def: $vgpr118_vgpr119
.LBB56_50:
	ds_read_b64 v[118:119], v1
.LBB56_51:
	s_and_saveexec_b64 s[8:9], s[2:3]
	s_cbranch_execz .LBB56_55
; %bb.52:
	s_movk_i32 s36, 0x198
	v_subrev_u32_e32 v120, 51, v0
	s_movk_i32 s37, 0x368
	s_mov_b64 s[2:3], 0
.LBB56_53:                              ; =>This Inner Loop Header: Depth=1
	scratch_load_dwordx2 v[122:123], off, s36
	v_mov_b32_e32 v121, s37
	ds_read_b64 v[124:125], v121
	v_add_u32_e32 v120, -1, v120
	s_add_i32 s37, s37, 8
	s_add_i32 s36, s36, 8
	v_cmp_eq_u32_e32 vcc, 0, v120
	s_or_b64 s[2:3], vcc, s[2:3]
	s_waitcnt vmcnt(0) lgkmcnt(0)
	v_fmac_f64_e32 v[118:119], v[122:123], v[124:125]
	s_andn2_b64 exec, exec, s[2:3]
	s_cbranch_execnz .LBB56_53
; %bb.54:
	s_or_b64 exec, exec, s[2:3]
.LBB56_55:
	s_or_b64 exec, exec, s[8:9]
	v_mov_b32_e32 v120, 0
	ds_read_b64 v[120:121], v120 offset:400
	s_waitcnt lgkmcnt(0)
	v_mul_f64 v[118:119], v[118:119], v[120:121]
	scratch_store_dwordx2 off, v[118:119], off offset:400
.LBB56_56:
	s_or_b64 exec, exec, s[4:5]
	scratch_load_dwordx2 v[118:119], off, off offset:392
	v_cmp_lt_u32_e64 s[2:3], 49, v0
	s_waitcnt vmcnt(0)
	ds_write_b64 v1, v[118:119]
	s_waitcnt lgkmcnt(0)
	; wave barrier
	s_and_saveexec_b64 s[4:5], s[2:3]
	s_cbranch_execz .LBB56_66
; %bb.57:
	s_andn2_b64 vcc, exec, s[6:7]
	s_cbranch_vccnz .LBB56_59
; %bb.58:
	scratch_load_dwordx2 v[118:119], v11, off
	ds_read_b64 v[120:121], v1
	s_waitcnt vmcnt(0) lgkmcnt(0)
	v_mul_f64 v[118:119], v[118:119], v[120:121]
	s_cbranch_execz .LBB56_60
	s_branch .LBB56_61
.LBB56_59:
                                        ; implicit-def: $vgpr118_vgpr119
.LBB56_60:
	ds_read_b64 v[118:119], v1
.LBB56_61:
	s_and_saveexec_b64 s[8:9], s[0:1]
	s_cbranch_execz .LBB56_65
; %bb.62:
	v_subrev_u32_e32 v120, 50, v0
	s_movk_i32 s36, 0x360
	s_mov_b64 s[0:1], 0
.LBB56_63:                              ; =>This Inner Loop Header: Depth=1
	scratch_load_dwordx2 v[122:123], off, s35
	v_mov_b32_e32 v121, s36
	ds_read_b64 v[124:125], v121
	v_add_u32_e32 v120, -1, v120
	s_add_i32 s36, s36, 8
	s_add_i32 s35, s35, 8
	v_cmp_eq_u32_e32 vcc, 0, v120
	s_or_b64 s[0:1], vcc, s[0:1]
	s_waitcnt vmcnt(0) lgkmcnt(0)
	v_fmac_f64_e32 v[118:119], v[122:123], v[124:125]
	s_andn2_b64 exec, exec, s[0:1]
	s_cbranch_execnz .LBB56_63
; %bb.64:
	s_or_b64 exec, exec, s[0:1]
.LBB56_65:
	s_or_b64 exec, exec, s[8:9]
	v_mov_b32_e32 v120, 0
	ds_read_b64 v[120:121], v120 offset:392
	s_waitcnt lgkmcnt(0)
	v_mul_f64 v[118:119], v[118:119], v[120:121]
	scratch_store_dwordx2 off, v[118:119], off offset:392
.LBB56_66:
	s_or_b64 exec, exec, s[4:5]
	scratch_load_dwordx2 v[118:119], off, off offset:384
	v_cmp_lt_u32_e64 s[0:1], 48, v0
	s_waitcnt vmcnt(0)
	ds_write_b64 v1, v[118:119]
	s_waitcnt lgkmcnt(0)
	; wave barrier
	s_and_saveexec_b64 s[4:5], s[0:1]
	s_cbranch_execz .LBB56_76
; %bb.67:
	s_andn2_b64 vcc, exec, s[6:7]
	s_cbranch_vccnz .LBB56_69
; %bb.68:
	scratch_load_dwordx2 v[118:119], v11, off
	ds_read_b64 v[120:121], v1
	s_waitcnt vmcnt(0) lgkmcnt(0)
	v_mul_f64 v[118:119], v[118:119], v[120:121]
	s_cbranch_execz .LBB56_70
	s_branch .LBB56_71
.LBB56_69:
                                        ; implicit-def: $vgpr118_vgpr119
.LBB56_70:
	ds_read_b64 v[118:119], v1
.LBB56_71:
	s_and_saveexec_b64 s[8:9], s[2:3]
	s_cbranch_execz .LBB56_75
; %bb.72:
	s_movk_i32 s35, 0x188
	v_subrev_u32_e32 v120, 49, v0
	s_movk_i32 s36, 0x358
	s_mov_b64 s[2:3], 0
.LBB56_73:                              ; =>This Inner Loop Header: Depth=1
	scratch_load_dwordx2 v[122:123], off, s35
	v_mov_b32_e32 v121, s36
	ds_read_b64 v[124:125], v121
	v_add_u32_e32 v120, -1, v120
	s_add_i32 s36, s36, 8
	s_add_i32 s35, s35, 8
	v_cmp_eq_u32_e32 vcc, 0, v120
	s_or_b64 s[2:3], vcc, s[2:3]
	s_waitcnt vmcnt(0) lgkmcnt(0)
	v_fmac_f64_e32 v[118:119], v[122:123], v[124:125]
	s_andn2_b64 exec, exec, s[2:3]
	s_cbranch_execnz .LBB56_73
; %bb.74:
	s_or_b64 exec, exec, s[2:3]
.LBB56_75:
	s_or_b64 exec, exec, s[8:9]
	v_mov_b32_e32 v120, 0
	ds_read_b64 v[120:121], v120 offset:384
	s_waitcnt lgkmcnt(0)
	v_mul_f64 v[118:119], v[118:119], v[120:121]
	scratch_store_dwordx2 off, v[118:119], off offset:384
.LBB56_76:
	s_or_b64 exec, exec, s[4:5]
	scratch_load_dwordx2 v[118:119], off, off offset:376
	v_cmp_lt_u32_e64 s[2:3], 47, v0
	s_waitcnt vmcnt(0)
	ds_write_b64 v1, v[118:119]
	s_waitcnt lgkmcnt(0)
	; wave barrier
	s_and_saveexec_b64 s[4:5], s[2:3]
	s_cbranch_execz .LBB56_86
; %bb.77:
	s_andn2_b64 vcc, exec, s[6:7]
	s_cbranch_vccnz .LBB56_79
; %bb.78:
	scratch_load_dwordx2 v[118:119], v11, off
	ds_read_b64 v[120:121], v1
	s_waitcnt vmcnt(0) lgkmcnt(0)
	v_mul_f64 v[118:119], v[118:119], v[120:121]
	s_cbranch_execz .LBB56_80
	s_branch .LBB56_81
.LBB56_79:
                                        ; implicit-def: $vgpr118_vgpr119
.LBB56_80:
	ds_read_b64 v[118:119], v1
.LBB56_81:
	s_and_saveexec_b64 s[8:9], s[0:1]
	s_cbranch_execz .LBB56_85
; %bb.82:
	v_subrev_u32_e32 v120, 48, v0
	s_movk_i32 s35, 0x350
	s_mov_b64 s[0:1], 0
.LBB56_83:                              ; =>This Inner Loop Header: Depth=1
	scratch_load_dwordx2 v[122:123], off, s34
	v_mov_b32_e32 v121, s35
	ds_read_b64 v[124:125], v121
	v_add_u32_e32 v120, -1, v120
	s_add_i32 s35, s35, 8
	s_add_i32 s34, s34, 8
	v_cmp_eq_u32_e32 vcc, 0, v120
	s_or_b64 s[0:1], vcc, s[0:1]
	s_waitcnt vmcnt(0) lgkmcnt(0)
	v_fmac_f64_e32 v[118:119], v[122:123], v[124:125]
	s_andn2_b64 exec, exec, s[0:1]
	s_cbranch_execnz .LBB56_83
; %bb.84:
	s_or_b64 exec, exec, s[0:1]
.LBB56_85:
	s_or_b64 exec, exec, s[8:9]
	v_mov_b32_e32 v120, 0
	ds_read_b64 v[120:121], v120 offset:376
	s_waitcnt lgkmcnt(0)
	v_mul_f64 v[118:119], v[118:119], v[120:121]
	scratch_store_dwordx2 off, v[118:119], off offset:376
.LBB56_86:
	s_or_b64 exec, exec, s[4:5]
	scratch_load_dwordx2 v[118:119], off, off offset:368
	v_cmp_lt_u32_e64 s[0:1], 46, v0
	s_waitcnt vmcnt(0)
	ds_write_b64 v1, v[118:119]
	s_waitcnt lgkmcnt(0)
	; wave barrier
	s_and_saveexec_b64 s[4:5], s[0:1]
	s_cbranch_execz .LBB56_96
; %bb.87:
	s_andn2_b64 vcc, exec, s[6:7]
	s_cbranch_vccnz .LBB56_89
; %bb.88:
	scratch_load_dwordx2 v[118:119], v11, off
	ds_read_b64 v[120:121], v1
	s_waitcnt vmcnt(0) lgkmcnt(0)
	v_mul_f64 v[118:119], v[118:119], v[120:121]
	s_cbranch_execz .LBB56_90
	s_branch .LBB56_91
.LBB56_89:
                                        ; implicit-def: $vgpr118_vgpr119
.LBB56_90:
	ds_read_b64 v[118:119], v1
.LBB56_91:
	s_and_saveexec_b64 s[8:9], s[2:3]
	s_cbranch_execz .LBB56_95
; %bb.92:
	s_movk_i32 s34, 0x178
	v_subrev_u32_e32 v120, 47, v0
	s_movk_i32 s35, 0x348
	s_mov_b64 s[2:3], 0
.LBB56_93:                              ; =>This Inner Loop Header: Depth=1
	scratch_load_dwordx2 v[122:123], off, s34
	v_mov_b32_e32 v121, s35
	ds_read_b64 v[124:125], v121
	v_add_u32_e32 v120, -1, v120
	s_add_i32 s35, s35, 8
	s_add_i32 s34, s34, 8
	v_cmp_eq_u32_e32 vcc, 0, v120
	s_or_b64 s[2:3], vcc, s[2:3]
	s_waitcnt vmcnt(0) lgkmcnt(0)
	v_fmac_f64_e32 v[118:119], v[122:123], v[124:125]
	s_andn2_b64 exec, exec, s[2:3]
	s_cbranch_execnz .LBB56_93
; %bb.94:
	s_or_b64 exec, exec, s[2:3]
.LBB56_95:
	s_or_b64 exec, exec, s[8:9]
	v_mov_b32_e32 v120, 0
	ds_read_b64 v[120:121], v120 offset:368
	s_waitcnt lgkmcnt(0)
	v_mul_f64 v[118:119], v[118:119], v[120:121]
	scratch_store_dwordx2 off, v[118:119], off offset:368
.LBB56_96:
	s_or_b64 exec, exec, s[4:5]
	scratch_load_dwordx2 v[118:119], off, off offset:360
	v_cmp_lt_u32_e64 s[2:3], 45, v0
	s_waitcnt vmcnt(0)
	ds_write_b64 v1, v[118:119]
	s_waitcnt lgkmcnt(0)
	; wave barrier
	s_and_saveexec_b64 s[4:5], s[2:3]
	s_cbranch_execz .LBB56_106
; %bb.97:
	s_andn2_b64 vcc, exec, s[6:7]
	s_cbranch_vccnz .LBB56_99
; %bb.98:
	scratch_load_dwordx2 v[118:119], v11, off
	ds_read_b64 v[120:121], v1
	s_waitcnt vmcnt(0) lgkmcnt(0)
	v_mul_f64 v[118:119], v[118:119], v[120:121]
	s_cbranch_execz .LBB56_100
	s_branch .LBB56_101
.LBB56_99:
                                        ; implicit-def: $vgpr118_vgpr119
.LBB56_100:
	ds_read_b64 v[118:119], v1
.LBB56_101:
	s_and_saveexec_b64 s[8:9], s[0:1]
	s_cbranch_execz .LBB56_105
; %bb.102:
	v_subrev_u32_e32 v120, 46, v0
	s_movk_i32 s34, 0x340
	s_mov_b64 s[0:1], 0
.LBB56_103:                             ; =>This Inner Loop Header: Depth=1
	scratch_load_dwordx2 v[122:123], off, s33
	v_mov_b32_e32 v121, s34
	ds_read_b64 v[124:125], v121
	v_add_u32_e32 v120, -1, v120
	s_add_i32 s34, s34, 8
	s_add_i32 s33, s33, 8
	v_cmp_eq_u32_e32 vcc, 0, v120
	s_or_b64 s[0:1], vcc, s[0:1]
	s_waitcnt vmcnt(0) lgkmcnt(0)
	v_fmac_f64_e32 v[118:119], v[122:123], v[124:125]
	s_andn2_b64 exec, exec, s[0:1]
	s_cbranch_execnz .LBB56_103
; %bb.104:
	s_or_b64 exec, exec, s[0:1]
.LBB56_105:
	s_or_b64 exec, exec, s[8:9]
	v_mov_b32_e32 v120, 0
	ds_read_b64 v[120:121], v120 offset:360
	s_waitcnt lgkmcnt(0)
	v_mul_f64 v[118:119], v[118:119], v[120:121]
	scratch_store_dwordx2 off, v[118:119], off offset:360
.LBB56_106:
	s_or_b64 exec, exec, s[4:5]
	scratch_load_dwordx2 v[118:119], off, off offset:352
	v_cmp_lt_u32_e64 s[0:1], 44, v0
	s_waitcnt vmcnt(0)
	ds_write_b64 v1, v[118:119]
	s_waitcnt lgkmcnt(0)
	; wave barrier
	s_and_saveexec_b64 s[4:5], s[0:1]
	s_cbranch_execz .LBB56_116
; %bb.107:
	s_andn2_b64 vcc, exec, s[6:7]
	s_cbranch_vccnz .LBB56_109
; %bb.108:
	scratch_load_dwordx2 v[118:119], v11, off
	ds_read_b64 v[120:121], v1
	s_waitcnt vmcnt(0) lgkmcnt(0)
	v_mul_f64 v[118:119], v[118:119], v[120:121]
	s_cbranch_execz .LBB56_110
	s_branch .LBB56_111
.LBB56_109:
                                        ; implicit-def: $vgpr118_vgpr119
.LBB56_110:
	ds_read_b64 v[118:119], v1
.LBB56_111:
	s_and_saveexec_b64 s[8:9], s[2:3]
	s_cbranch_execz .LBB56_115
; %bb.112:
	s_movk_i32 s33, 0x168
	v_subrev_u32_e32 v120, 45, v0
	s_movk_i32 s34, 0x338
	s_mov_b64 s[2:3], 0
.LBB56_113:                             ; =>This Inner Loop Header: Depth=1
	scratch_load_dwordx2 v[122:123], off, s33
	v_mov_b32_e32 v121, s34
	ds_read_b64 v[124:125], v121
	v_add_u32_e32 v120, -1, v120
	s_add_i32 s34, s34, 8
	s_add_i32 s33, s33, 8
	v_cmp_eq_u32_e32 vcc, 0, v120
	s_or_b64 s[2:3], vcc, s[2:3]
	s_waitcnt vmcnt(0) lgkmcnt(0)
	v_fmac_f64_e32 v[118:119], v[122:123], v[124:125]
	s_andn2_b64 exec, exec, s[2:3]
	s_cbranch_execnz .LBB56_113
; %bb.114:
	s_or_b64 exec, exec, s[2:3]
.LBB56_115:
	s_or_b64 exec, exec, s[8:9]
	v_mov_b32_e32 v120, 0
	ds_read_b64 v[120:121], v120 offset:352
	s_waitcnt lgkmcnt(0)
	v_mul_f64 v[118:119], v[118:119], v[120:121]
	scratch_store_dwordx2 off, v[118:119], off offset:352
.LBB56_116:
	s_or_b64 exec, exec, s[4:5]
	scratch_load_dwordx2 v[118:119], off, off offset:344
	v_cmp_lt_u32_e64 s[2:3], 43, v0
	s_waitcnt vmcnt(0)
	ds_write_b64 v1, v[118:119]
	s_waitcnt lgkmcnt(0)
	; wave barrier
	s_and_saveexec_b64 s[4:5], s[2:3]
	s_cbranch_execz .LBB56_126
; %bb.117:
	s_andn2_b64 vcc, exec, s[6:7]
	s_cbranch_vccnz .LBB56_119
; %bb.118:
	scratch_load_dwordx2 v[118:119], v11, off
	ds_read_b64 v[120:121], v1
	s_waitcnt vmcnt(0) lgkmcnt(0)
	v_mul_f64 v[118:119], v[118:119], v[120:121]
	s_cbranch_execz .LBB56_120
	s_branch .LBB56_121
.LBB56_119:
                                        ; implicit-def: $vgpr118_vgpr119
.LBB56_120:
	ds_read_b64 v[118:119], v1
.LBB56_121:
	s_and_saveexec_b64 s[8:9], s[0:1]
	s_cbranch_execz .LBB56_125
; %bb.122:
	v_subrev_u32_e32 v120, 44, v0
	s_movk_i32 s33, 0x330
	s_mov_b64 s[0:1], 0
.LBB56_123:                             ; =>This Inner Loop Header: Depth=1
	scratch_load_dwordx2 v[122:123], off, s31
	v_mov_b32_e32 v121, s33
	ds_read_b64 v[124:125], v121
	v_add_u32_e32 v120, -1, v120
	s_add_i32 s33, s33, 8
	s_add_i32 s31, s31, 8
	v_cmp_eq_u32_e32 vcc, 0, v120
	s_or_b64 s[0:1], vcc, s[0:1]
	s_waitcnt vmcnt(0) lgkmcnt(0)
	v_fmac_f64_e32 v[118:119], v[122:123], v[124:125]
	s_andn2_b64 exec, exec, s[0:1]
	s_cbranch_execnz .LBB56_123
; %bb.124:
	s_or_b64 exec, exec, s[0:1]
.LBB56_125:
	s_or_b64 exec, exec, s[8:9]
	v_mov_b32_e32 v120, 0
	ds_read_b64 v[120:121], v120 offset:344
	s_waitcnt lgkmcnt(0)
	v_mul_f64 v[118:119], v[118:119], v[120:121]
	scratch_store_dwordx2 off, v[118:119], off offset:344
.LBB56_126:
	s_or_b64 exec, exec, s[4:5]
	scratch_load_dwordx2 v[118:119], off, off offset:336
	v_cmp_lt_u32_e64 s[0:1], 42, v0
	s_waitcnt vmcnt(0)
	ds_write_b64 v1, v[118:119]
	s_waitcnt lgkmcnt(0)
	; wave barrier
	s_and_saveexec_b64 s[4:5], s[0:1]
	s_cbranch_execz .LBB56_136
; %bb.127:
	s_andn2_b64 vcc, exec, s[6:7]
	s_cbranch_vccnz .LBB56_129
; %bb.128:
	scratch_load_dwordx2 v[118:119], v11, off
	ds_read_b64 v[120:121], v1
	s_waitcnt vmcnt(0) lgkmcnt(0)
	v_mul_f64 v[118:119], v[118:119], v[120:121]
	s_cbranch_execz .LBB56_130
	s_branch .LBB56_131
.LBB56_129:
                                        ; implicit-def: $vgpr118_vgpr119
.LBB56_130:
	ds_read_b64 v[118:119], v1
.LBB56_131:
	s_and_saveexec_b64 s[8:9], s[2:3]
	s_cbranch_execz .LBB56_135
; %bb.132:
	s_movk_i32 s31, 0x158
	v_subrev_u32_e32 v120, 43, v0
	s_movk_i32 s33, 0x328
	s_mov_b64 s[2:3], 0
.LBB56_133:                             ; =>This Inner Loop Header: Depth=1
	scratch_load_dwordx2 v[122:123], off, s31
	v_mov_b32_e32 v121, s33
	ds_read_b64 v[124:125], v121
	v_add_u32_e32 v120, -1, v120
	s_add_i32 s33, s33, 8
	s_add_i32 s31, s31, 8
	v_cmp_eq_u32_e32 vcc, 0, v120
	s_or_b64 s[2:3], vcc, s[2:3]
	s_waitcnt vmcnt(0) lgkmcnt(0)
	v_fmac_f64_e32 v[118:119], v[122:123], v[124:125]
	s_andn2_b64 exec, exec, s[2:3]
	s_cbranch_execnz .LBB56_133
; %bb.134:
	s_or_b64 exec, exec, s[2:3]
.LBB56_135:
	s_or_b64 exec, exec, s[8:9]
	v_mov_b32_e32 v120, 0
	ds_read_b64 v[120:121], v120 offset:336
	s_waitcnt lgkmcnt(0)
	v_mul_f64 v[118:119], v[118:119], v[120:121]
	scratch_store_dwordx2 off, v[118:119], off offset:336
.LBB56_136:
	s_or_b64 exec, exec, s[4:5]
	scratch_load_dwordx2 v[118:119], off, off offset:328
	v_cmp_lt_u32_e64 s[2:3], 41, v0
	s_waitcnt vmcnt(0)
	ds_write_b64 v1, v[118:119]
	s_waitcnt lgkmcnt(0)
	; wave barrier
	s_and_saveexec_b64 s[4:5], s[2:3]
	s_cbranch_execz .LBB56_146
; %bb.137:
	s_andn2_b64 vcc, exec, s[6:7]
	s_cbranch_vccnz .LBB56_139
; %bb.138:
	scratch_load_dwordx2 v[118:119], v11, off
	ds_read_b64 v[120:121], v1
	s_waitcnt vmcnt(0) lgkmcnt(0)
	v_mul_f64 v[118:119], v[118:119], v[120:121]
	s_cbranch_execz .LBB56_140
	s_branch .LBB56_141
.LBB56_139:
                                        ; implicit-def: $vgpr118_vgpr119
.LBB56_140:
	ds_read_b64 v[118:119], v1
.LBB56_141:
	s_and_saveexec_b64 s[8:9], s[0:1]
	s_cbranch_execz .LBB56_145
; %bb.142:
	v_subrev_u32_e32 v120, 42, v0
	s_movk_i32 s31, 0x320
	s_mov_b64 s[0:1], 0
.LBB56_143:                             ; =>This Inner Loop Header: Depth=1
	scratch_load_dwordx2 v[122:123], off, s30
	v_mov_b32_e32 v121, s31
	ds_read_b64 v[124:125], v121
	v_add_u32_e32 v120, -1, v120
	s_add_i32 s31, s31, 8
	s_add_i32 s30, s30, 8
	v_cmp_eq_u32_e32 vcc, 0, v120
	s_or_b64 s[0:1], vcc, s[0:1]
	s_waitcnt vmcnt(0) lgkmcnt(0)
	v_fmac_f64_e32 v[118:119], v[122:123], v[124:125]
	s_andn2_b64 exec, exec, s[0:1]
	s_cbranch_execnz .LBB56_143
; %bb.144:
	s_or_b64 exec, exec, s[0:1]
.LBB56_145:
	s_or_b64 exec, exec, s[8:9]
	v_mov_b32_e32 v120, 0
	ds_read_b64 v[120:121], v120 offset:328
	s_waitcnt lgkmcnt(0)
	v_mul_f64 v[118:119], v[118:119], v[120:121]
	scratch_store_dwordx2 off, v[118:119], off offset:328
.LBB56_146:
	s_or_b64 exec, exec, s[4:5]
	scratch_load_dwordx2 v[118:119], off, off offset:320
	v_cmp_lt_u32_e64 s[0:1], 40, v0
	s_waitcnt vmcnt(0)
	ds_write_b64 v1, v[118:119]
	s_waitcnt lgkmcnt(0)
	; wave barrier
	s_and_saveexec_b64 s[4:5], s[0:1]
	s_cbranch_execz .LBB56_156
; %bb.147:
	s_andn2_b64 vcc, exec, s[6:7]
	s_cbranch_vccnz .LBB56_149
; %bb.148:
	scratch_load_dwordx2 v[118:119], v11, off
	ds_read_b64 v[120:121], v1
	s_waitcnt vmcnt(0) lgkmcnt(0)
	v_mul_f64 v[118:119], v[118:119], v[120:121]
	s_cbranch_execz .LBB56_150
	s_branch .LBB56_151
.LBB56_149:
                                        ; implicit-def: $vgpr118_vgpr119
.LBB56_150:
	ds_read_b64 v[118:119], v1
.LBB56_151:
	s_and_saveexec_b64 s[8:9], s[2:3]
	s_cbranch_execz .LBB56_155
; %bb.152:
	s_movk_i32 s30, 0x148
	v_subrev_u32_e32 v120, 41, v0
	s_movk_i32 s31, 0x318
	s_mov_b64 s[2:3], 0
.LBB56_153:                             ; =>This Inner Loop Header: Depth=1
	scratch_load_dwordx2 v[122:123], off, s30
	v_mov_b32_e32 v121, s31
	ds_read_b64 v[124:125], v121
	v_add_u32_e32 v120, -1, v120
	s_add_i32 s31, s31, 8
	s_add_i32 s30, s30, 8
	v_cmp_eq_u32_e32 vcc, 0, v120
	s_or_b64 s[2:3], vcc, s[2:3]
	s_waitcnt vmcnt(0) lgkmcnt(0)
	v_fmac_f64_e32 v[118:119], v[122:123], v[124:125]
	s_andn2_b64 exec, exec, s[2:3]
	s_cbranch_execnz .LBB56_153
; %bb.154:
	s_or_b64 exec, exec, s[2:3]
.LBB56_155:
	s_or_b64 exec, exec, s[8:9]
	v_mov_b32_e32 v120, 0
	ds_read_b64 v[120:121], v120 offset:320
	s_waitcnt lgkmcnt(0)
	v_mul_f64 v[118:119], v[118:119], v[120:121]
	scratch_store_dwordx2 off, v[118:119], off offset:320
.LBB56_156:
	s_or_b64 exec, exec, s[4:5]
	scratch_load_dwordx2 v[118:119], off, off offset:312
	v_cmp_lt_u32_e64 s[2:3], 39, v0
	s_waitcnt vmcnt(0)
	ds_write_b64 v1, v[118:119]
	s_waitcnt lgkmcnt(0)
	; wave barrier
	s_and_saveexec_b64 s[4:5], s[2:3]
	s_cbranch_execz .LBB56_166
; %bb.157:
	s_andn2_b64 vcc, exec, s[6:7]
	s_cbranch_vccnz .LBB56_159
; %bb.158:
	scratch_load_dwordx2 v[118:119], v11, off
	ds_read_b64 v[120:121], v1
	s_waitcnt vmcnt(0) lgkmcnt(0)
	v_mul_f64 v[118:119], v[118:119], v[120:121]
	s_cbranch_execz .LBB56_160
	s_branch .LBB56_161
.LBB56_159:
                                        ; implicit-def: $vgpr118_vgpr119
.LBB56_160:
	ds_read_b64 v[118:119], v1
.LBB56_161:
	s_and_saveexec_b64 s[8:9], s[0:1]
	s_cbranch_execz .LBB56_165
; %bb.162:
	v_subrev_u32_e32 v120, 40, v0
	s_movk_i32 s30, 0x310
	s_mov_b64 s[0:1], 0
.LBB56_163:                             ; =>This Inner Loop Header: Depth=1
	scratch_load_dwordx2 v[122:123], off, s29
	v_mov_b32_e32 v121, s30
	ds_read_b64 v[124:125], v121
	v_add_u32_e32 v120, -1, v120
	s_add_i32 s30, s30, 8
	s_add_i32 s29, s29, 8
	v_cmp_eq_u32_e32 vcc, 0, v120
	s_or_b64 s[0:1], vcc, s[0:1]
	s_waitcnt vmcnt(0) lgkmcnt(0)
	v_fmac_f64_e32 v[118:119], v[122:123], v[124:125]
	s_andn2_b64 exec, exec, s[0:1]
	s_cbranch_execnz .LBB56_163
; %bb.164:
	s_or_b64 exec, exec, s[0:1]
.LBB56_165:
	s_or_b64 exec, exec, s[8:9]
	v_mov_b32_e32 v120, 0
	ds_read_b64 v[120:121], v120 offset:312
	s_waitcnt lgkmcnt(0)
	v_mul_f64 v[118:119], v[118:119], v[120:121]
	scratch_store_dwordx2 off, v[118:119], off offset:312
.LBB56_166:
	s_or_b64 exec, exec, s[4:5]
	scratch_load_dwordx2 v[118:119], off, off offset:304
	v_cmp_lt_u32_e64 s[0:1], 38, v0
	s_waitcnt vmcnt(0)
	ds_write_b64 v1, v[118:119]
	s_waitcnt lgkmcnt(0)
	; wave barrier
	s_and_saveexec_b64 s[4:5], s[0:1]
	s_cbranch_execz .LBB56_176
; %bb.167:
	s_andn2_b64 vcc, exec, s[6:7]
	s_cbranch_vccnz .LBB56_169
; %bb.168:
	scratch_load_dwordx2 v[118:119], v11, off
	ds_read_b64 v[120:121], v1
	s_waitcnt vmcnt(0) lgkmcnt(0)
	v_mul_f64 v[118:119], v[118:119], v[120:121]
	s_cbranch_execz .LBB56_170
	s_branch .LBB56_171
.LBB56_169:
                                        ; implicit-def: $vgpr118_vgpr119
.LBB56_170:
	ds_read_b64 v[118:119], v1
.LBB56_171:
	s_and_saveexec_b64 s[8:9], s[2:3]
	s_cbranch_execz .LBB56_175
; %bb.172:
	s_movk_i32 s29, 0x138
	v_subrev_u32_e32 v120, 39, v0
	s_movk_i32 s30, 0x308
	s_mov_b64 s[2:3], 0
.LBB56_173:                             ; =>This Inner Loop Header: Depth=1
	scratch_load_dwordx2 v[122:123], off, s29
	v_mov_b32_e32 v121, s30
	ds_read_b64 v[124:125], v121
	v_add_u32_e32 v120, -1, v120
	s_add_i32 s30, s30, 8
	s_add_i32 s29, s29, 8
	v_cmp_eq_u32_e32 vcc, 0, v120
	s_or_b64 s[2:3], vcc, s[2:3]
	s_waitcnt vmcnt(0) lgkmcnt(0)
	v_fmac_f64_e32 v[118:119], v[122:123], v[124:125]
	s_andn2_b64 exec, exec, s[2:3]
	s_cbranch_execnz .LBB56_173
; %bb.174:
	s_or_b64 exec, exec, s[2:3]
.LBB56_175:
	s_or_b64 exec, exec, s[8:9]
	v_mov_b32_e32 v120, 0
	ds_read_b64 v[120:121], v120 offset:304
	s_waitcnt lgkmcnt(0)
	v_mul_f64 v[118:119], v[118:119], v[120:121]
	scratch_store_dwordx2 off, v[118:119], off offset:304
.LBB56_176:
	s_or_b64 exec, exec, s[4:5]
	scratch_load_dwordx2 v[118:119], off, off offset:296
	v_cmp_lt_u32_e64 s[2:3], 37, v0
	s_waitcnt vmcnt(0)
	ds_write_b64 v1, v[118:119]
	s_waitcnt lgkmcnt(0)
	; wave barrier
	s_and_saveexec_b64 s[4:5], s[2:3]
	s_cbranch_execz .LBB56_186
; %bb.177:
	s_andn2_b64 vcc, exec, s[6:7]
	s_cbranch_vccnz .LBB56_179
; %bb.178:
	scratch_load_dwordx2 v[118:119], v11, off
	ds_read_b64 v[120:121], v1
	s_waitcnt vmcnt(0) lgkmcnt(0)
	v_mul_f64 v[118:119], v[118:119], v[120:121]
	s_cbranch_execz .LBB56_180
	s_branch .LBB56_181
.LBB56_179:
                                        ; implicit-def: $vgpr118_vgpr119
.LBB56_180:
	ds_read_b64 v[118:119], v1
.LBB56_181:
	s_and_saveexec_b64 s[8:9], s[0:1]
	s_cbranch_execz .LBB56_185
; %bb.182:
	v_subrev_u32_e32 v120, 38, v0
	s_movk_i32 s29, 0x300
	s_mov_b64 s[0:1], 0
.LBB56_183:                             ; =>This Inner Loop Header: Depth=1
	scratch_load_dwordx2 v[122:123], off, s28
	v_mov_b32_e32 v121, s29
	ds_read_b64 v[124:125], v121
	v_add_u32_e32 v120, -1, v120
	s_add_i32 s29, s29, 8
	s_add_i32 s28, s28, 8
	v_cmp_eq_u32_e32 vcc, 0, v120
	s_or_b64 s[0:1], vcc, s[0:1]
	s_waitcnt vmcnt(0) lgkmcnt(0)
	v_fmac_f64_e32 v[118:119], v[122:123], v[124:125]
	s_andn2_b64 exec, exec, s[0:1]
	s_cbranch_execnz .LBB56_183
; %bb.184:
	s_or_b64 exec, exec, s[0:1]
.LBB56_185:
	s_or_b64 exec, exec, s[8:9]
	v_mov_b32_e32 v120, 0
	ds_read_b64 v[120:121], v120 offset:296
	s_waitcnt lgkmcnt(0)
	v_mul_f64 v[118:119], v[118:119], v[120:121]
	scratch_store_dwordx2 off, v[118:119], off offset:296
.LBB56_186:
	s_or_b64 exec, exec, s[4:5]
	scratch_load_dwordx2 v[118:119], off, off offset:288
	v_cmp_lt_u32_e64 s[0:1], 36, v0
	s_waitcnt vmcnt(0)
	ds_write_b64 v1, v[118:119]
	s_waitcnt lgkmcnt(0)
	; wave barrier
	s_and_saveexec_b64 s[4:5], s[0:1]
	s_cbranch_execz .LBB56_196
; %bb.187:
	s_andn2_b64 vcc, exec, s[6:7]
	s_cbranch_vccnz .LBB56_189
; %bb.188:
	scratch_load_dwordx2 v[118:119], v11, off
	ds_read_b64 v[120:121], v1
	s_waitcnt vmcnt(0) lgkmcnt(0)
	v_mul_f64 v[118:119], v[118:119], v[120:121]
	s_cbranch_execz .LBB56_190
	s_branch .LBB56_191
.LBB56_189:
                                        ; implicit-def: $vgpr118_vgpr119
.LBB56_190:
	ds_read_b64 v[118:119], v1
.LBB56_191:
	s_and_saveexec_b64 s[8:9], s[2:3]
	s_cbranch_execz .LBB56_195
; %bb.192:
	s_movk_i32 s28, 0x128
	v_subrev_u32_e32 v120, 37, v0
	s_movk_i32 s29, 0x2f8
	s_mov_b64 s[2:3], 0
.LBB56_193:                             ; =>This Inner Loop Header: Depth=1
	scratch_load_dwordx2 v[122:123], off, s28
	v_mov_b32_e32 v121, s29
	ds_read_b64 v[124:125], v121
	v_add_u32_e32 v120, -1, v120
	s_add_i32 s29, s29, 8
	s_add_i32 s28, s28, 8
	v_cmp_eq_u32_e32 vcc, 0, v120
	s_or_b64 s[2:3], vcc, s[2:3]
	s_waitcnt vmcnt(0) lgkmcnt(0)
	v_fmac_f64_e32 v[118:119], v[122:123], v[124:125]
	s_andn2_b64 exec, exec, s[2:3]
	s_cbranch_execnz .LBB56_193
; %bb.194:
	s_or_b64 exec, exec, s[2:3]
.LBB56_195:
	s_or_b64 exec, exec, s[8:9]
	v_mov_b32_e32 v120, 0
	ds_read_b64 v[120:121], v120 offset:288
	s_waitcnt lgkmcnt(0)
	v_mul_f64 v[118:119], v[118:119], v[120:121]
	scratch_store_dwordx2 off, v[118:119], off offset:288
.LBB56_196:
	s_or_b64 exec, exec, s[4:5]
	scratch_load_dwordx2 v[118:119], off, off offset:280
	v_cmp_lt_u32_e64 s[2:3], 35, v0
	s_waitcnt vmcnt(0)
	ds_write_b64 v1, v[118:119]
	s_waitcnt lgkmcnt(0)
	; wave barrier
	s_and_saveexec_b64 s[4:5], s[2:3]
	s_cbranch_execz .LBB56_206
; %bb.197:
	s_andn2_b64 vcc, exec, s[6:7]
	s_cbranch_vccnz .LBB56_199
; %bb.198:
	scratch_load_dwordx2 v[118:119], v11, off
	ds_read_b64 v[120:121], v1
	s_waitcnt vmcnt(0) lgkmcnt(0)
	v_mul_f64 v[118:119], v[118:119], v[120:121]
	s_cbranch_execz .LBB56_200
	s_branch .LBB56_201
.LBB56_199:
                                        ; implicit-def: $vgpr118_vgpr119
.LBB56_200:
	ds_read_b64 v[118:119], v1
.LBB56_201:
	s_and_saveexec_b64 s[8:9], s[0:1]
	s_cbranch_execz .LBB56_205
; %bb.202:
	v_subrev_u32_e32 v120, 36, v0
	s_movk_i32 s28, 0x2f0
	s_mov_b64 s[0:1], 0
.LBB56_203:                             ; =>This Inner Loop Header: Depth=1
	scratch_load_dwordx2 v[122:123], off, s27
	v_mov_b32_e32 v121, s28
	ds_read_b64 v[124:125], v121
	v_add_u32_e32 v120, -1, v120
	s_add_i32 s28, s28, 8
	s_add_i32 s27, s27, 8
	v_cmp_eq_u32_e32 vcc, 0, v120
	s_or_b64 s[0:1], vcc, s[0:1]
	s_waitcnt vmcnt(0) lgkmcnt(0)
	v_fmac_f64_e32 v[118:119], v[122:123], v[124:125]
	s_andn2_b64 exec, exec, s[0:1]
	s_cbranch_execnz .LBB56_203
; %bb.204:
	s_or_b64 exec, exec, s[0:1]
.LBB56_205:
	s_or_b64 exec, exec, s[8:9]
	v_mov_b32_e32 v120, 0
	ds_read_b64 v[120:121], v120 offset:280
	s_waitcnt lgkmcnt(0)
	v_mul_f64 v[118:119], v[118:119], v[120:121]
	scratch_store_dwordx2 off, v[118:119], off offset:280
.LBB56_206:
	s_or_b64 exec, exec, s[4:5]
	scratch_load_dwordx2 v[118:119], off, off offset:272
	v_cmp_lt_u32_e64 s[0:1], 34, v0
	s_waitcnt vmcnt(0)
	ds_write_b64 v1, v[118:119]
	s_waitcnt lgkmcnt(0)
	; wave barrier
	s_and_saveexec_b64 s[4:5], s[0:1]
	s_cbranch_execz .LBB56_216
; %bb.207:
	s_andn2_b64 vcc, exec, s[6:7]
	s_cbranch_vccnz .LBB56_209
; %bb.208:
	scratch_load_dwordx2 v[118:119], v11, off
	ds_read_b64 v[120:121], v1
	s_waitcnt vmcnt(0) lgkmcnt(0)
	v_mul_f64 v[118:119], v[118:119], v[120:121]
	s_cbranch_execz .LBB56_210
	s_branch .LBB56_211
.LBB56_209:
                                        ; implicit-def: $vgpr118_vgpr119
.LBB56_210:
	ds_read_b64 v[118:119], v1
.LBB56_211:
	s_and_saveexec_b64 s[8:9], s[2:3]
	s_cbranch_execz .LBB56_215
; %bb.212:
	s_movk_i32 s27, 0x118
	v_subrev_u32_e32 v120, 35, v0
	s_movk_i32 s28, 0x2e8
	s_mov_b64 s[2:3], 0
.LBB56_213:                             ; =>This Inner Loop Header: Depth=1
	scratch_load_dwordx2 v[122:123], off, s27
	v_mov_b32_e32 v121, s28
	ds_read_b64 v[124:125], v121
	v_add_u32_e32 v120, -1, v120
	s_add_i32 s28, s28, 8
	s_add_i32 s27, s27, 8
	v_cmp_eq_u32_e32 vcc, 0, v120
	s_or_b64 s[2:3], vcc, s[2:3]
	s_waitcnt vmcnt(0) lgkmcnt(0)
	v_fmac_f64_e32 v[118:119], v[122:123], v[124:125]
	s_andn2_b64 exec, exec, s[2:3]
	s_cbranch_execnz .LBB56_213
; %bb.214:
	s_or_b64 exec, exec, s[2:3]
.LBB56_215:
	s_or_b64 exec, exec, s[8:9]
	v_mov_b32_e32 v120, 0
	ds_read_b64 v[120:121], v120 offset:272
	s_waitcnt lgkmcnt(0)
	v_mul_f64 v[118:119], v[118:119], v[120:121]
	scratch_store_dwordx2 off, v[118:119], off offset:272
.LBB56_216:
	s_or_b64 exec, exec, s[4:5]
	scratch_load_dwordx2 v[118:119], off, off offset:264
	v_cmp_lt_u32_e64 s[2:3], 33, v0
	s_waitcnt vmcnt(0)
	ds_write_b64 v1, v[118:119]
	s_waitcnt lgkmcnt(0)
	; wave barrier
	s_and_saveexec_b64 s[4:5], s[2:3]
	s_cbranch_execz .LBB56_226
; %bb.217:
	s_andn2_b64 vcc, exec, s[6:7]
	s_cbranch_vccnz .LBB56_219
; %bb.218:
	scratch_load_dwordx2 v[118:119], v11, off
	ds_read_b64 v[120:121], v1
	s_waitcnt vmcnt(0) lgkmcnt(0)
	v_mul_f64 v[118:119], v[118:119], v[120:121]
	s_cbranch_execz .LBB56_220
	s_branch .LBB56_221
.LBB56_219:
                                        ; implicit-def: $vgpr118_vgpr119
.LBB56_220:
	ds_read_b64 v[118:119], v1
.LBB56_221:
	s_and_saveexec_b64 s[8:9], s[0:1]
	s_cbranch_execz .LBB56_225
; %bb.222:
	v_subrev_u32_e32 v120, 34, v0
	s_movk_i32 s27, 0x2e0
	s_mov_b64 s[0:1], 0
.LBB56_223:                             ; =>This Inner Loop Header: Depth=1
	scratch_load_dwordx2 v[122:123], off, s26
	v_mov_b32_e32 v121, s27
	ds_read_b64 v[124:125], v121
	v_add_u32_e32 v120, -1, v120
	s_add_i32 s27, s27, 8
	s_add_i32 s26, s26, 8
	v_cmp_eq_u32_e32 vcc, 0, v120
	s_or_b64 s[0:1], vcc, s[0:1]
	s_waitcnt vmcnt(0) lgkmcnt(0)
	v_fmac_f64_e32 v[118:119], v[122:123], v[124:125]
	s_andn2_b64 exec, exec, s[0:1]
	s_cbranch_execnz .LBB56_223
; %bb.224:
	s_or_b64 exec, exec, s[0:1]
.LBB56_225:
	s_or_b64 exec, exec, s[8:9]
	v_mov_b32_e32 v120, 0
	ds_read_b64 v[120:121], v120 offset:264
	s_waitcnt lgkmcnt(0)
	v_mul_f64 v[118:119], v[118:119], v[120:121]
	scratch_store_dwordx2 off, v[118:119], off offset:264
.LBB56_226:
	s_or_b64 exec, exec, s[4:5]
	scratch_load_dwordx2 v[118:119], off, off offset:256
	v_cmp_lt_u32_e64 s[0:1], 32, v0
	s_waitcnt vmcnt(0)
	ds_write_b64 v1, v[118:119]
	s_waitcnt lgkmcnt(0)
	; wave barrier
	s_and_saveexec_b64 s[4:5], s[0:1]
	s_cbranch_execz .LBB56_236
; %bb.227:
	s_andn2_b64 vcc, exec, s[6:7]
	s_cbranch_vccnz .LBB56_229
; %bb.228:
	scratch_load_dwordx2 v[118:119], v11, off
	ds_read_b64 v[120:121], v1
	s_waitcnt vmcnt(0) lgkmcnt(0)
	v_mul_f64 v[118:119], v[118:119], v[120:121]
	s_cbranch_execz .LBB56_230
	s_branch .LBB56_231
.LBB56_229:
                                        ; implicit-def: $vgpr118_vgpr119
.LBB56_230:
	ds_read_b64 v[118:119], v1
.LBB56_231:
	s_and_saveexec_b64 s[8:9], s[2:3]
	s_cbranch_execz .LBB56_235
; %bb.232:
	s_movk_i32 s26, 0x108
	v_subrev_u32_e32 v120, 33, v0
	s_movk_i32 s27, 0x2d8
	s_mov_b64 s[2:3], 0
.LBB56_233:                             ; =>This Inner Loop Header: Depth=1
	scratch_load_dwordx2 v[122:123], off, s26
	v_mov_b32_e32 v121, s27
	ds_read_b64 v[124:125], v121
	v_add_u32_e32 v120, -1, v120
	s_add_i32 s27, s27, 8
	s_add_i32 s26, s26, 8
	v_cmp_eq_u32_e32 vcc, 0, v120
	s_or_b64 s[2:3], vcc, s[2:3]
	s_waitcnt vmcnt(0) lgkmcnt(0)
	v_fmac_f64_e32 v[118:119], v[122:123], v[124:125]
	s_andn2_b64 exec, exec, s[2:3]
	s_cbranch_execnz .LBB56_233
; %bb.234:
	s_or_b64 exec, exec, s[2:3]
.LBB56_235:
	s_or_b64 exec, exec, s[8:9]
	v_mov_b32_e32 v120, 0
	ds_read_b64 v[120:121], v120 offset:256
	s_waitcnt lgkmcnt(0)
	v_mul_f64 v[118:119], v[118:119], v[120:121]
	scratch_store_dwordx2 off, v[118:119], off offset:256
.LBB56_236:
	s_or_b64 exec, exec, s[4:5]
	scratch_load_dwordx2 v[118:119], off, off offset:248
	v_cmp_lt_u32_e64 s[2:3], 31, v0
	s_waitcnt vmcnt(0)
	ds_write_b64 v1, v[118:119]
	s_waitcnt lgkmcnt(0)
	; wave barrier
	s_and_saveexec_b64 s[4:5], s[2:3]
	s_cbranch_execz .LBB56_246
; %bb.237:
	s_andn2_b64 vcc, exec, s[6:7]
	s_cbranch_vccnz .LBB56_239
; %bb.238:
	scratch_load_dwordx2 v[118:119], v11, off
	ds_read_b64 v[120:121], v1
	s_waitcnt vmcnt(0) lgkmcnt(0)
	v_mul_f64 v[118:119], v[118:119], v[120:121]
	s_cbranch_execz .LBB56_240
	s_branch .LBB56_241
.LBB56_239:
                                        ; implicit-def: $vgpr118_vgpr119
.LBB56_240:
	ds_read_b64 v[118:119], v1
.LBB56_241:
	s_and_saveexec_b64 s[8:9], s[0:1]
	s_cbranch_execz .LBB56_245
; %bb.242:
	v_subrev_u32_e32 v120, 32, v0
	s_movk_i32 s26, 0x2d0
	s_mov_b64 s[0:1], 0
.LBB56_243:                             ; =>This Inner Loop Header: Depth=1
	scratch_load_dwordx2 v[122:123], off, s25
	v_mov_b32_e32 v121, s26
	ds_read_b64 v[124:125], v121
	v_add_u32_e32 v120, -1, v120
	s_add_i32 s26, s26, 8
	s_add_i32 s25, s25, 8
	v_cmp_eq_u32_e32 vcc, 0, v120
	s_or_b64 s[0:1], vcc, s[0:1]
	s_waitcnt vmcnt(0) lgkmcnt(0)
	v_fmac_f64_e32 v[118:119], v[122:123], v[124:125]
	s_andn2_b64 exec, exec, s[0:1]
	s_cbranch_execnz .LBB56_243
; %bb.244:
	s_or_b64 exec, exec, s[0:1]
.LBB56_245:
	s_or_b64 exec, exec, s[8:9]
	v_mov_b32_e32 v120, 0
	ds_read_b64 v[120:121], v120 offset:248
	s_waitcnt lgkmcnt(0)
	v_mul_f64 v[118:119], v[118:119], v[120:121]
	scratch_store_dwordx2 off, v[118:119], off offset:248
.LBB56_246:
	s_or_b64 exec, exec, s[4:5]
	scratch_load_dwordx2 v[118:119], off, off offset:240
	v_cmp_lt_u32_e64 s[0:1], 30, v0
	s_waitcnt vmcnt(0)
	ds_write_b64 v1, v[118:119]
	s_waitcnt lgkmcnt(0)
	; wave barrier
	s_and_saveexec_b64 s[4:5], s[0:1]
	s_cbranch_execz .LBB56_256
; %bb.247:
	s_andn2_b64 vcc, exec, s[6:7]
	s_cbranch_vccnz .LBB56_249
; %bb.248:
	scratch_load_dwordx2 v[118:119], v11, off
	ds_read_b64 v[120:121], v1
	s_waitcnt vmcnt(0) lgkmcnt(0)
	v_mul_f64 v[118:119], v[118:119], v[120:121]
	s_cbranch_execz .LBB56_250
	s_branch .LBB56_251
.LBB56_249:
                                        ; implicit-def: $vgpr118_vgpr119
.LBB56_250:
	ds_read_b64 v[118:119], v1
.LBB56_251:
	s_and_saveexec_b64 s[8:9], s[2:3]
	s_cbranch_execz .LBB56_255
; %bb.252:
	s_movk_i32 s25, 0xf8
	v_subrev_u32_e32 v120, 31, v0
	s_movk_i32 s26, 0x2c8
	s_mov_b64 s[2:3], 0
.LBB56_253:                             ; =>This Inner Loop Header: Depth=1
	scratch_load_dwordx2 v[122:123], off, s25
	v_mov_b32_e32 v121, s26
	ds_read_b64 v[124:125], v121
	v_add_u32_e32 v120, -1, v120
	s_add_i32 s26, s26, 8
	s_add_i32 s25, s25, 8
	v_cmp_eq_u32_e32 vcc, 0, v120
	s_or_b64 s[2:3], vcc, s[2:3]
	s_waitcnt vmcnt(0) lgkmcnt(0)
	v_fmac_f64_e32 v[118:119], v[122:123], v[124:125]
	s_andn2_b64 exec, exec, s[2:3]
	s_cbranch_execnz .LBB56_253
; %bb.254:
	s_or_b64 exec, exec, s[2:3]
.LBB56_255:
	s_or_b64 exec, exec, s[8:9]
	v_mov_b32_e32 v120, 0
	ds_read_b64 v[120:121], v120 offset:240
	s_waitcnt lgkmcnt(0)
	v_mul_f64 v[118:119], v[118:119], v[120:121]
	scratch_store_dwordx2 off, v[118:119], off offset:240
.LBB56_256:
	s_or_b64 exec, exec, s[4:5]
	scratch_load_dwordx2 v[118:119], off, off offset:232
	v_cmp_lt_u32_e64 s[2:3], 29, v0
	s_waitcnt vmcnt(0)
	ds_write_b64 v1, v[118:119]
	s_waitcnt lgkmcnt(0)
	; wave barrier
	s_and_saveexec_b64 s[4:5], s[2:3]
	s_cbranch_execz .LBB56_266
; %bb.257:
	s_andn2_b64 vcc, exec, s[6:7]
	s_cbranch_vccnz .LBB56_259
; %bb.258:
	scratch_load_dwordx2 v[118:119], v11, off
	ds_read_b64 v[120:121], v1
	s_waitcnt vmcnt(0) lgkmcnt(0)
	v_mul_f64 v[118:119], v[118:119], v[120:121]
	s_cbranch_execz .LBB56_260
	s_branch .LBB56_261
.LBB56_259:
                                        ; implicit-def: $vgpr118_vgpr119
.LBB56_260:
	ds_read_b64 v[118:119], v1
.LBB56_261:
	s_and_saveexec_b64 s[8:9], s[0:1]
	s_cbranch_execz .LBB56_265
; %bb.262:
	v_subrev_u32_e32 v120, 30, v0
	s_movk_i32 s25, 0x2c0
	s_mov_b64 s[0:1], 0
.LBB56_263:                             ; =>This Inner Loop Header: Depth=1
	scratch_load_dwordx2 v[122:123], off, s24
	v_mov_b32_e32 v121, s25
	ds_read_b64 v[124:125], v121
	v_add_u32_e32 v120, -1, v120
	s_add_i32 s25, s25, 8
	s_add_i32 s24, s24, 8
	v_cmp_eq_u32_e32 vcc, 0, v120
	s_or_b64 s[0:1], vcc, s[0:1]
	s_waitcnt vmcnt(0) lgkmcnt(0)
	v_fmac_f64_e32 v[118:119], v[122:123], v[124:125]
	s_andn2_b64 exec, exec, s[0:1]
	s_cbranch_execnz .LBB56_263
; %bb.264:
	s_or_b64 exec, exec, s[0:1]
.LBB56_265:
	s_or_b64 exec, exec, s[8:9]
	v_mov_b32_e32 v120, 0
	ds_read_b64 v[120:121], v120 offset:232
	s_waitcnt lgkmcnt(0)
	v_mul_f64 v[118:119], v[118:119], v[120:121]
	scratch_store_dwordx2 off, v[118:119], off offset:232
.LBB56_266:
	s_or_b64 exec, exec, s[4:5]
	scratch_load_dwordx2 v[118:119], off, off offset:224
	v_cmp_lt_u32_e64 s[0:1], 28, v0
	s_waitcnt vmcnt(0)
	ds_write_b64 v1, v[118:119]
	s_waitcnt lgkmcnt(0)
	; wave barrier
	s_and_saveexec_b64 s[4:5], s[0:1]
	s_cbranch_execz .LBB56_276
; %bb.267:
	s_andn2_b64 vcc, exec, s[6:7]
	s_cbranch_vccnz .LBB56_269
; %bb.268:
	scratch_load_dwordx2 v[118:119], v11, off
	ds_read_b64 v[120:121], v1
	s_waitcnt vmcnt(0) lgkmcnt(0)
	v_mul_f64 v[118:119], v[118:119], v[120:121]
	s_cbranch_execz .LBB56_270
	s_branch .LBB56_271
.LBB56_269:
                                        ; implicit-def: $vgpr118_vgpr119
.LBB56_270:
	ds_read_b64 v[118:119], v1
.LBB56_271:
	s_and_saveexec_b64 s[8:9], s[2:3]
	s_cbranch_execz .LBB56_275
; %bb.272:
	s_movk_i32 s24, 0xe8
	v_subrev_u32_e32 v120, 29, v0
	s_movk_i32 s25, 0x2b8
	s_mov_b64 s[2:3], 0
.LBB56_273:                             ; =>This Inner Loop Header: Depth=1
	scratch_load_dwordx2 v[122:123], off, s24
	v_mov_b32_e32 v121, s25
	ds_read_b64 v[124:125], v121
	v_add_u32_e32 v120, -1, v120
	s_add_i32 s25, s25, 8
	s_add_i32 s24, s24, 8
	v_cmp_eq_u32_e32 vcc, 0, v120
	s_or_b64 s[2:3], vcc, s[2:3]
	s_waitcnt vmcnt(0) lgkmcnt(0)
	v_fmac_f64_e32 v[118:119], v[122:123], v[124:125]
	s_andn2_b64 exec, exec, s[2:3]
	s_cbranch_execnz .LBB56_273
; %bb.274:
	s_or_b64 exec, exec, s[2:3]
.LBB56_275:
	s_or_b64 exec, exec, s[8:9]
	v_mov_b32_e32 v120, 0
	ds_read_b64 v[120:121], v120 offset:224
	s_waitcnt lgkmcnt(0)
	v_mul_f64 v[118:119], v[118:119], v[120:121]
	scratch_store_dwordx2 off, v[118:119], off offset:224
.LBB56_276:
	s_or_b64 exec, exec, s[4:5]
	scratch_load_dwordx2 v[118:119], off, off offset:216
	v_cmp_lt_u32_e64 s[2:3], 27, v0
	s_waitcnt vmcnt(0)
	ds_write_b64 v1, v[118:119]
	s_waitcnt lgkmcnt(0)
	; wave barrier
	s_and_saveexec_b64 s[4:5], s[2:3]
	s_cbranch_execz .LBB56_286
; %bb.277:
	s_andn2_b64 vcc, exec, s[6:7]
	s_cbranch_vccnz .LBB56_279
; %bb.278:
	scratch_load_dwordx2 v[118:119], v11, off
	ds_read_b64 v[120:121], v1
	s_waitcnt vmcnt(0) lgkmcnt(0)
	v_mul_f64 v[118:119], v[118:119], v[120:121]
	s_cbranch_execz .LBB56_280
	s_branch .LBB56_281
.LBB56_279:
                                        ; implicit-def: $vgpr118_vgpr119
.LBB56_280:
	ds_read_b64 v[118:119], v1
.LBB56_281:
	s_and_saveexec_b64 s[8:9], s[0:1]
	s_cbranch_execz .LBB56_285
; %bb.282:
	v_subrev_u32_e32 v120, 28, v0
	s_movk_i32 s24, 0x2b0
	s_mov_b64 s[0:1], 0
.LBB56_283:                             ; =>This Inner Loop Header: Depth=1
	scratch_load_dwordx2 v[122:123], off, s23
	v_mov_b32_e32 v121, s24
	ds_read_b64 v[124:125], v121
	v_add_u32_e32 v120, -1, v120
	s_add_i32 s24, s24, 8
	s_add_i32 s23, s23, 8
	v_cmp_eq_u32_e32 vcc, 0, v120
	s_or_b64 s[0:1], vcc, s[0:1]
	s_waitcnt vmcnt(0) lgkmcnt(0)
	v_fmac_f64_e32 v[118:119], v[122:123], v[124:125]
	s_andn2_b64 exec, exec, s[0:1]
	s_cbranch_execnz .LBB56_283
; %bb.284:
	s_or_b64 exec, exec, s[0:1]
.LBB56_285:
	s_or_b64 exec, exec, s[8:9]
	v_mov_b32_e32 v120, 0
	ds_read_b64 v[120:121], v120 offset:216
	s_waitcnt lgkmcnt(0)
	v_mul_f64 v[118:119], v[118:119], v[120:121]
	scratch_store_dwordx2 off, v[118:119], off offset:216
.LBB56_286:
	s_or_b64 exec, exec, s[4:5]
	scratch_load_dwordx2 v[118:119], off, off offset:208
	v_cmp_lt_u32_e64 s[0:1], 26, v0
	s_waitcnt vmcnt(0)
	ds_write_b64 v1, v[118:119]
	s_waitcnt lgkmcnt(0)
	; wave barrier
	s_and_saveexec_b64 s[4:5], s[0:1]
	s_cbranch_execz .LBB56_296
; %bb.287:
	s_andn2_b64 vcc, exec, s[6:7]
	s_cbranch_vccnz .LBB56_289
; %bb.288:
	scratch_load_dwordx2 v[118:119], v11, off
	ds_read_b64 v[120:121], v1
	s_waitcnt vmcnt(0) lgkmcnt(0)
	v_mul_f64 v[118:119], v[118:119], v[120:121]
	s_cbranch_execz .LBB56_290
	s_branch .LBB56_291
.LBB56_289:
                                        ; implicit-def: $vgpr118_vgpr119
.LBB56_290:
	ds_read_b64 v[118:119], v1
.LBB56_291:
	s_and_saveexec_b64 s[8:9], s[2:3]
	s_cbranch_execz .LBB56_295
; %bb.292:
	s_movk_i32 s23, 0xd8
	v_subrev_u32_e32 v120, 27, v0
	s_movk_i32 s24, 0x2a8
	s_mov_b64 s[2:3], 0
.LBB56_293:                             ; =>This Inner Loop Header: Depth=1
	scratch_load_dwordx2 v[122:123], off, s23
	v_mov_b32_e32 v121, s24
	ds_read_b64 v[124:125], v121
	v_add_u32_e32 v120, -1, v120
	s_add_i32 s24, s24, 8
	s_add_i32 s23, s23, 8
	v_cmp_eq_u32_e32 vcc, 0, v120
	s_or_b64 s[2:3], vcc, s[2:3]
	s_waitcnt vmcnt(0) lgkmcnt(0)
	v_fmac_f64_e32 v[118:119], v[122:123], v[124:125]
	s_andn2_b64 exec, exec, s[2:3]
	s_cbranch_execnz .LBB56_293
; %bb.294:
	s_or_b64 exec, exec, s[2:3]
.LBB56_295:
	s_or_b64 exec, exec, s[8:9]
	v_mov_b32_e32 v120, 0
	ds_read_b64 v[120:121], v120 offset:208
	s_waitcnt lgkmcnt(0)
	v_mul_f64 v[118:119], v[118:119], v[120:121]
	scratch_store_dwordx2 off, v[118:119], off offset:208
.LBB56_296:
	s_or_b64 exec, exec, s[4:5]
	scratch_load_dwordx2 v[118:119], off, off offset:200
	v_cmp_lt_u32_e64 s[2:3], 25, v0
	s_waitcnt vmcnt(0)
	ds_write_b64 v1, v[118:119]
	s_waitcnt lgkmcnt(0)
	; wave barrier
	s_and_saveexec_b64 s[4:5], s[2:3]
	s_cbranch_execz .LBB56_306
; %bb.297:
	s_andn2_b64 vcc, exec, s[6:7]
	s_cbranch_vccnz .LBB56_299
; %bb.298:
	scratch_load_dwordx2 v[118:119], v11, off
	ds_read_b64 v[120:121], v1
	s_waitcnt vmcnt(0) lgkmcnt(0)
	v_mul_f64 v[118:119], v[118:119], v[120:121]
	s_cbranch_execz .LBB56_300
	s_branch .LBB56_301
.LBB56_299:
                                        ; implicit-def: $vgpr118_vgpr119
.LBB56_300:
	ds_read_b64 v[118:119], v1
.LBB56_301:
	s_and_saveexec_b64 s[8:9], s[0:1]
	s_cbranch_execz .LBB56_305
; %bb.302:
	v_subrev_u32_e32 v120, 26, v0
	s_movk_i32 s23, 0x2a0
	s_mov_b64 s[0:1], 0
.LBB56_303:                             ; =>This Inner Loop Header: Depth=1
	scratch_load_dwordx2 v[122:123], off, s22
	v_mov_b32_e32 v121, s23
	ds_read_b64 v[124:125], v121
	v_add_u32_e32 v120, -1, v120
	s_add_i32 s23, s23, 8
	s_add_i32 s22, s22, 8
	v_cmp_eq_u32_e32 vcc, 0, v120
	s_or_b64 s[0:1], vcc, s[0:1]
	s_waitcnt vmcnt(0) lgkmcnt(0)
	v_fmac_f64_e32 v[118:119], v[122:123], v[124:125]
	s_andn2_b64 exec, exec, s[0:1]
	s_cbranch_execnz .LBB56_303
; %bb.304:
	s_or_b64 exec, exec, s[0:1]
.LBB56_305:
	s_or_b64 exec, exec, s[8:9]
	v_mov_b32_e32 v120, 0
	ds_read_b64 v[120:121], v120 offset:200
	s_waitcnt lgkmcnt(0)
	v_mul_f64 v[118:119], v[118:119], v[120:121]
	scratch_store_dwordx2 off, v[118:119], off offset:200
.LBB56_306:
	s_or_b64 exec, exec, s[4:5]
	scratch_load_dwordx2 v[118:119], off, off offset:192
	v_cmp_lt_u32_e64 s[0:1], 24, v0
	s_waitcnt vmcnt(0)
	ds_write_b64 v1, v[118:119]
	s_waitcnt lgkmcnt(0)
	; wave barrier
	s_and_saveexec_b64 s[4:5], s[0:1]
	s_cbranch_execz .LBB56_316
; %bb.307:
	s_andn2_b64 vcc, exec, s[6:7]
	s_cbranch_vccnz .LBB56_309
; %bb.308:
	scratch_load_dwordx2 v[118:119], v11, off
	ds_read_b64 v[120:121], v1
	s_waitcnt vmcnt(0) lgkmcnt(0)
	v_mul_f64 v[118:119], v[118:119], v[120:121]
	s_cbranch_execz .LBB56_310
	s_branch .LBB56_311
.LBB56_309:
                                        ; implicit-def: $vgpr118_vgpr119
.LBB56_310:
	ds_read_b64 v[118:119], v1
.LBB56_311:
	s_and_saveexec_b64 s[8:9], s[2:3]
	s_cbranch_execz .LBB56_315
; %bb.312:
	s_movk_i32 s22, 0xc8
	v_subrev_u32_e32 v120, 25, v0
	s_movk_i32 s23, 0x298
	s_mov_b64 s[2:3], 0
.LBB56_313:                             ; =>This Inner Loop Header: Depth=1
	scratch_load_dwordx2 v[122:123], off, s22
	v_mov_b32_e32 v121, s23
	ds_read_b64 v[124:125], v121
	v_add_u32_e32 v120, -1, v120
	s_add_i32 s23, s23, 8
	s_add_i32 s22, s22, 8
	v_cmp_eq_u32_e32 vcc, 0, v120
	s_or_b64 s[2:3], vcc, s[2:3]
	s_waitcnt vmcnt(0) lgkmcnt(0)
	v_fmac_f64_e32 v[118:119], v[122:123], v[124:125]
	s_andn2_b64 exec, exec, s[2:3]
	s_cbranch_execnz .LBB56_313
; %bb.314:
	s_or_b64 exec, exec, s[2:3]
.LBB56_315:
	s_or_b64 exec, exec, s[8:9]
	v_mov_b32_e32 v120, 0
	ds_read_b64 v[120:121], v120 offset:192
	s_waitcnt lgkmcnt(0)
	v_mul_f64 v[118:119], v[118:119], v[120:121]
	scratch_store_dwordx2 off, v[118:119], off offset:192
.LBB56_316:
	s_or_b64 exec, exec, s[4:5]
	scratch_load_dwordx2 v[118:119], off, off offset:184
	v_cmp_lt_u32_e64 s[2:3], 23, v0
	s_waitcnt vmcnt(0)
	ds_write_b64 v1, v[118:119]
	s_waitcnt lgkmcnt(0)
	; wave barrier
	s_and_saveexec_b64 s[4:5], s[2:3]
	s_cbranch_execz .LBB56_326
; %bb.317:
	s_andn2_b64 vcc, exec, s[6:7]
	s_cbranch_vccnz .LBB56_319
; %bb.318:
	scratch_load_dwordx2 v[118:119], v11, off
	ds_read_b64 v[120:121], v1
	s_waitcnt vmcnt(0) lgkmcnt(0)
	v_mul_f64 v[118:119], v[118:119], v[120:121]
	s_cbranch_execz .LBB56_320
	s_branch .LBB56_321
.LBB56_319:
                                        ; implicit-def: $vgpr118_vgpr119
.LBB56_320:
	ds_read_b64 v[118:119], v1
.LBB56_321:
	s_and_saveexec_b64 s[8:9], s[0:1]
	s_cbranch_execz .LBB56_325
; %bb.322:
	v_subrev_u32_e32 v120, 24, v0
	s_movk_i32 s22, 0x290
	s_mov_b64 s[0:1], 0
.LBB56_323:                             ; =>This Inner Loop Header: Depth=1
	scratch_load_dwordx2 v[122:123], off, s21
	v_mov_b32_e32 v121, s22
	ds_read_b64 v[124:125], v121
	v_add_u32_e32 v120, -1, v120
	s_add_i32 s22, s22, 8
	s_add_i32 s21, s21, 8
	v_cmp_eq_u32_e32 vcc, 0, v120
	s_or_b64 s[0:1], vcc, s[0:1]
	s_waitcnt vmcnt(0) lgkmcnt(0)
	v_fmac_f64_e32 v[118:119], v[122:123], v[124:125]
	s_andn2_b64 exec, exec, s[0:1]
	s_cbranch_execnz .LBB56_323
; %bb.324:
	s_or_b64 exec, exec, s[0:1]
.LBB56_325:
	s_or_b64 exec, exec, s[8:9]
	v_mov_b32_e32 v120, 0
	ds_read_b64 v[120:121], v120 offset:184
	s_waitcnt lgkmcnt(0)
	v_mul_f64 v[118:119], v[118:119], v[120:121]
	scratch_store_dwordx2 off, v[118:119], off offset:184
.LBB56_326:
	s_or_b64 exec, exec, s[4:5]
	scratch_load_dwordx2 v[118:119], off, off offset:176
	v_cmp_lt_u32_e64 s[0:1], 22, v0
	s_waitcnt vmcnt(0)
	ds_write_b64 v1, v[118:119]
	s_waitcnt lgkmcnt(0)
	; wave barrier
	s_and_saveexec_b64 s[4:5], s[0:1]
	s_cbranch_execz .LBB56_336
; %bb.327:
	s_andn2_b64 vcc, exec, s[6:7]
	s_cbranch_vccnz .LBB56_329
; %bb.328:
	scratch_load_dwordx2 v[118:119], v11, off
	ds_read_b64 v[120:121], v1
	s_waitcnt vmcnt(0) lgkmcnt(0)
	v_mul_f64 v[118:119], v[118:119], v[120:121]
	s_cbranch_execz .LBB56_330
	s_branch .LBB56_331
.LBB56_329:
                                        ; implicit-def: $vgpr118_vgpr119
.LBB56_330:
	ds_read_b64 v[118:119], v1
.LBB56_331:
	s_and_saveexec_b64 s[8:9], s[2:3]
	s_cbranch_execz .LBB56_335
; %bb.332:
	s_movk_i32 s21, 0xb8
	v_subrev_u32_e32 v120, 23, v0
	s_movk_i32 s22, 0x288
	s_mov_b64 s[2:3], 0
.LBB56_333:                             ; =>This Inner Loop Header: Depth=1
	scratch_load_dwordx2 v[122:123], off, s21
	v_mov_b32_e32 v121, s22
	ds_read_b64 v[124:125], v121
	v_add_u32_e32 v120, -1, v120
	s_add_i32 s22, s22, 8
	s_add_i32 s21, s21, 8
	v_cmp_eq_u32_e32 vcc, 0, v120
	s_or_b64 s[2:3], vcc, s[2:3]
	s_waitcnt vmcnt(0) lgkmcnt(0)
	v_fmac_f64_e32 v[118:119], v[122:123], v[124:125]
	s_andn2_b64 exec, exec, s[2:3]
	s_cbranch_execnz .LBB56_333
; %bb.334:
	s_or_b64 exec, exec, s[2:3]
.LBB56_335:
	s_or_b64 exec, exec, s[8:9]
	v_mov_b32_e32 v120, 0
	ds_read_b64 v[120:121], v120 offset:176
	s_waitcnt lgkmcnt(0)
	v_mul_f64 v[118:119], v[118:119], v[120:121]
	scratch_store_dwordx2 off, v[118:119], off offset:176
.LBB56_336:
	s_or_b64 exec, exec, s[4:5]
	scratch_load_dwordx2 v[118:119], off, off offset:168
	v_cmp_lt_u32_e64 s[2:3], 21, v0
	s_waitcnt vmcnt(0)
	ds_write_b64 v1, v[118:119]
	s_waitcnt lgkmcnt(0)
	; wave barrier
	s_and_saveexec_b64 s[4:5], s[2:3]
	s_cbranch_execz .LBB56_346
; %bb.337:
	s_andn2_b64 vcc, exec, s[6:7]
	s_cbranch_vccnz .LBB56_339
; %bb.338:
	scratch_load_dwordx2 v[118:119], v11, off
	ds_read_b64 v[120:121], v1
	s_waitcnt vmcnt(0) lgkmcnt(0)
	v_mul_f64 v[118:119], v[118:119], v[120:121]
	s_cbranch_execz .LBB56_340
	s_branch .LBB56_341
.LBB56_339:
                                        ; implicit-def: $vgpr118_vgpr119
.LBB56_340:
	ds_read_b64 v[118:119], v1
.LBB56_341:
	s_and_saveexec_b64 s[8:9], s[0:1]
	s_cbranch_execz .LBB56_345
; %bb.342:
	v_subrev_u32_e32 v120, 22, v0
	s_movk_i32 s21, 0x280
	s_mov_b64 s[0:1], 0
.LBB56_343:                             ; =>This Inner Loop Header: Depth=1
	scratch_load_dwordx2 v[122:123], off, s20
	v_mov_b32_e32 v121, s21
	ds_read_b64 v[124:125], v121
	v_add_u32_e32 v120, -1, v120
	s_add_i32 s21, s21, 8
	s_add_i32 s20, s20, 8
	v_cmp_eq_u32_e32 vcc, 0, v120
	s_or_b64 s[0:1], vcc, s[0:1]
	s_waitcnt vmcnt(0) lgkmcnt(0)
	v_fmac_f64_e32 v[118:119], v[122:123], v[124:125]
	s_andn2_b64 exec, exec, s[0:1]
	s_cbranch_execnz .LBB56_343
; %bb.344:
	s_or_b64 exec, exec, s[0:1]
.LBB56_345:
	s_or_b64 exec, exec, s[8:9]
	v_mov_b32_e32 v120, 0
	ds_read_b64 v[120:121], v120 offset:168
	s_waitcnt lgkmcnt(0)
	v_mul_f64 v[118:119], v[118:119], v[120:121]
	scratch_store_dwordx2 off, v[118:119], off offset:168
.LBB56_346:
	s_or_b64 exec, exec, s[4:5]
	scratch_load_dwordx2 v[118:119], off, off offset:160
	v_cmp_lt_u32_e64 s[0:1], 20, v0
	s_waitcnt vmcnt(0)
	ds_write_b64 v1, v[118:119]
	s_waitcnt lgkmcnt(0)
	; wave barrier
	s_and_saveexec_b64 s[4:5], s[0:1]
	s_cbranch_execz .LBB56_356
; %bb.347:
	s_andn2_b64 vcc, exec, s[6:7]
	s_cbranch_vccnz .LBB56_349
; %bb.348:
	scratch_load_dwordx2 v[118:119], v11, off
	ds_read_b64 v[120:121], v1
	s_waitcnt vmcnt(0) lgkmcnt(0)
	v_mul_f64 v[118:119], v[118:119], v[120:121]
	s_cbranch_execz .LBB56_350
	s_branch .LBB56_351
.LBB56_349:
                                        ; implicit-def: $vgpr118_vgpr119
.LBB56_350:
	ds_read_b64 v[118:119], v1
.LBB56_351:
	s_and_saveexec_b64 s[8:9], s[2:3]
	s_cbranch_execz .LBB56_355
; %bb.352:
	s_movk_i32 s20, 0xa8
	v_subrev_u32_e32 v120, 21, v0
	s_movk_i32 s21, 0x278
	s_mov_b64 s[2:3], 0
.LBB56_353:                             ; =>This Inner Loop Header: Depth=1
	scratch_load_dwordx2 v[122:123], off, s20
	v_mov_b32_e32 v121, s21
	ds_read_b64 v[124:125], v121
	v_add_u32_e32 v120, -1, v120
	s_add_i32 s21, s21, 8
	s_add_i32 s20, s20, 8
	v_cmp_eq_u32_e32 vcc, 0, v120
	s_or_b64 s[2:3], vcc, s[2:3]
	s_waitcnt vmcnt(0) lgkmcnt(0)
	v_fmac_f64_e32 v[118:119], v[122:123], v[124:125]
	s_andn2_b64 exec, exec, s[2:3]
	s_cbranch_execnz .LBB56_353
; %bb.354:
	s_or_b64 exec, exec, s[2:3]
.LBB56_355:
	s_or_b64 exec, exec, s[8:9]
	v_mov_b32_e32 v120, 0
	ds_read_b64 v[120:121], v120 offset:160
	s_waitcnt lgkmcnt(0)
	v_mul_f64 v[118:119], v[118:119], v[120:121]
	scratch_store_dwordx2 off, v[118:119], off offset:160
.LBB56_356:
	s_or_b64 exec, exec, s[4:5]
	scratch_load_dwordx2 v[118:119], off, off offset:152
	v_cmp_lt_u32_e64 s[2:3], 19, v0
	s_waitcnt vmcnt(0)
	ds_write_b64 v1, v[118:119]
	s_waitcnt lgkmcnt(0)
	; wave barrier
	s_and_saveexec_b64 s[4:5], s[2:3]
	s_cbranch_execz .LBB56_366
; %bb.357:
	s_andn2_b64 vcc, exec, s[6:7]
	s_cbranch_vccnz .LBB56_359
; %bb.358:
	scratch_load_dwordx2 v[118:119], v11, off
	ds_read_b64 v[120:121], v1
	s_waitcnt vmcnt(0) lgkmcnt(0)
	v_mul_f64 v[118:119], v[118:119], v[120:121]
	s_cbranch_execz .LBB56_360
	s_branch .LBB56_361
.LBB56_359:
                                        ; implicit-def: $vgpr118_vgpr119
.LBB56_360:
	ds_read_b64 v[118:119], v1
.LBB56_361:
	s_and_saveexec_b64 s[8:9], s[0:1]
	s_cbranch_execz .LBB56_365
; %bb.362:
	v_subrev_u32_e32 v120, 20, v0
	s_movk_i32 s20, 0x270
	s_mov_b64 s[0:1], 0
.LBB56_363:                             ; =>This Inner Loop Header: Depth=1
	scratch_load_dwordx2 v[122:123], off, s19
	v_mov_b32_e32 v121, s20
	ds_read_b64 v[124:125], v121
	v_add_u32_e32 v120, -1, v120
	s_add_i32 s20, s20, 8
	s_add_i32 s19, s19, 8
	v_cmp_eq_u32_e32 vcc, 0, v120
	s_or_b64 s[0:1], vcc, s[0:1]
	s_waitcnt vmcnt(0) lgkmcnt(0)
	v_fmac_f64_e32 v[118:119], v[122:123], v[124:125]
	s_andn2_b64 exec, exec, s[0:1]
	s_cbranch_execnz .LBB56_363
; %bb.364:
	s_or_b64 exec, exec, s[0:1]
.LBB56_365:
	s_or_b64 exec, exec, s[8:9]
	v_mov_b32_e32 v120, 0
	ds_read_b64 v[120:121], v120 offset:152
	s_waitcnt lgkmcnt(0)
	v_mul_f64 v[118:119], v[118:119], v[120:121]
	scratch_store_dwordx2 off, v[118:119], off offset:152
.LBB56_366:
	s_or_b64 exec, exec, s[4:5]
	scratch_load_dwordx2 v[118:119], off, off offset:144
	v_cmp_lt_u32_e64 s[0:1], 18, v0
	s_waitcnt vmcnt(0)
	ds_write_b64 v1, v[118:119]
	s_waitcnt lgkmcnt(0)
	; wave barrier
	s_and_saveexec_b64 s[4:5], s[0:1]
	s_cbranch_execz .LBB56_376
; %bb.367:
	s_andn2_b64 vcc, exec, s[6:7]
	s_cbranch_vccnz .LBB56_369
; %bb.368:
	scratch_load_dwordx2 v[118:119], v11, off
	ds_read_b64 v[120:121], v1
	s_waitcnt vmcnt(0) lgkmcnt(0)
	v_mul_f64 v[118:119], v[118:119], v[120:121]
	s_cbranch_execz .LBB56_370
	s_branch .LBB56_371
.LBB56_369:
                                        ; implicit-def: $vgpr118_vgpr119
.LBB56_370:
	ds_read_b64 v[118:119], v1
.LBB56_371:
	s_and_saveexec_b64 s[8:9], s[2:3]
	s_cbranch_execz .LBB56_375
; %bb.372:
	s_movk_i32 s19, 0x98
	v_subrev_u32_e32 v120, 19, v0
	s_movk_i32 s20, 0x268
	s_mov_b64 s[2:3], 0
.LBB56_373:                             ; =>This Inner Loop Header: Depth=1
	scratch_load_dwordx2 v[122:123], off, s19
	v_mov_b32_e32 v121, s20
	ds_read_b64 v[124:125], v121
	v_add_u32_e32 v120, -1, v120
	s_add_i32 s20, s20, 8
	s_add_i32 s19, s19, 8
	v_cmp_eq_u32_e32 vcc, 0, v120
	s_or_b64 s[2:3], vcc, s[2:3]
	s_waitcnt vmcnt(0) lgkmcnt(0)
	v_fmac_f64_e32 v[118:119], v[122:123], v[124:125]
	s_andn2_b64 exec, exec, s[2:3]
	s_cbranch_execnz .LBB56_373
; %bb.374:
	s_or_b64 exec, exec, s[2:3]
.LBB56_375:
	s_or_b64 exec, exec, s[8:9]
	v_mov_b32_e32 v120, 0
	ds_read_b64 v[120:121], v120 offset:144
	s_waitcnt lgkmcnt(0)
	v_mul_f64 v[118:119], v[118:119], v[120:121]
	scratch_store_dwordx2 off, v[118:119], off offset:144
.LBB56_376:
	s_or_b64 exec, exec, s[4:5]
	scratch_load_dwordx2 v[118:119], off, off offset:136
	v_cmp_lt_u32_e64 s[2:3], 17, v0
	s_waitcnt vmcnt(0)
	ds_write_b64 v1, v[118:119]
	s_waitcnt lgkmcnt(0)
	; wave barrier
	s_and_saveexec_b64 s[4:5], s[2:3]
	s_cbranch_execz .LBB56_386
; %bb.377:
	s_andn2_b64 vcc, exec, s[6:7]
	s_cbranch_vccnz .LBB56_379
; %bb.378:
	scratch_load_dwordx2 v[118:119], v11, off
	ds_read_b64 v[120:121], v1
	s_waitcnt vmcnt(0) lgkmcnt(0)
	v_mul_f64 v[118:119], v[118:119], v[120:121]
	s_cbranch_execz .LBB56_380
	s_branch .LBB56_381
.LBB56_379:
                                        ; implicit-def: $vgpr118_vgpr119
.LBB56_380:
	ds_read_b64 v[118:119], v1
.LBB56_381:
	s_and_saveexec_b64 s[8:9], s[0:1]
	s_cbranch_execz .LBB56_385
; %bb.382:
	v_subrev_u32_e32 v120, 18, v0
	s_movk_i32 s19, 0x260
	s_mov_b64 s[0:1], 0
.LBB56_383:                             ; =>This Inner Loop Header: Depth=1
	scratch_load_dwordx2 v[122:123], off, s18
	v_mov_b32_e32 v121, s19
	ds_read_b64 v[124:125], v121
	v_add_u32_e32 v120, -1, v120
	s_add_i32 s19, s19, 8
	s_add_i32 s18, s18, 8
	v_cmp_eq_u32_e32 vcc, 0, v120
	s_or_b64 s[0:1], vcc, s[0:1]
	s_waitcnt vmcnt(0) lgkmcnt(0)
	v_fmac_f64_e32 v[118:119], v[122:123], v[124:125]
	s_andn2_b64 exec, exec, s[0:1]
	s_cbranch_execnz .LBB56_383
; %bb.384:
	s_or_b64 exec, exec, s[0:1]
.LBB56_385:
	s_or_b64 exec, exec, s[8:9]
	v_mov_b32_e32 v120, 0
	ds_read_b64 v[120:121], v120 offset:136
	s_waitcnt lgkmcnt(0)
	v_mul_f64 v[118:119], v[118:119], v[120:121]
	scratch_store_dwordx2 off, v[118:119], off offset:136
.LBB56_386:
	s_or_b64 exec, exec, s[4:5]
	scratch_load_dwordx2 v[118:119], off, off offset:128
	v_cmp_lt_u32_e64 s[0:1], 16, v0
	s_waitcnt vmcnt(0)
	ds_write_b64 v1, v[118:119]
	s_waitcnt lgkmcnt(0)
	; wave barrier
	s_and_saveexec_b64 s[4:5], s[0:1]
	s_cbranch_execz .LBB56_396
; %bb.387:
	s_andn2_b64 vcc, exec, s[6:7]
	s_cbranch_vccnz .LBB56_389
; %bb.388:
	scratch_load_dwordx2 v[118:119], v11, off
	ds_read_b64 v[120:121], v1
	s_waitcnt vmcnt(0) lgkmcnt(0)
	v_mul_f64 v[118:119], v[118:119], v[120:121]
	s_cbranch_execz .LBB56_390
	s_branch .LBB56_391
.LBB56_389:
                                        ; implicit-def: $vgpr118_vgpr119
.LBB56_390:
	ds_read_b64 v[118:119], v1
.LBB56_391:
	s_and_saveexec_b64 s[8:9], s[2:3]
	s_cbranch_execz .LBB56_395
; %bb.392:
	s_movk_i32 s18, 0x88
	v_subrev_u32_e32 v120, 17, v0
	s_movk_i32 s19, 0x258
	s_mov_b64 s[2:3], 0
.LBB56_393:                             ; =>This Inner Loop Header: Depth=1
	scratch_load_dwordx2 v[122:123], off, s18
	v_mov_b32_e32 v121, s19
	ds_read_b64 v[124:125], v121
	v_add_u32_e32 v120, -1, v120
	s_add_i32 s19, s19, 8
	s_add_i32 s18, s18, 8
	v_cmp_eq_u32_e32 vcc, 0, v120
	s_or_b64 s[2:3], vcc, s[2:3]
	s_waitcnt vmcnt(0) lgkmcnt(0)
	v_fmac_f64_e32 v[118:119], v[122:123], v[124:125]
	s_andn2_b64 exec, exec, s[2:3]
	s_cbranch_execnz .LBB56_393
; %bb.394:
	s_or_b64 exec, exec, s[2:3]
.LBB56_395:
	s_or_b64 exec, exec, s[8:9]
	v_mov_b32_e32 v120, 0
	ds_read_b64 v[120:121], v120 offset:128
	s_waitcnt lgkmcnt(0)
	v_mul_f64 v[118:119], v[118:119], v[120:121]
	scratch_store_dwordx2 off, v[118:119], off offset:128
.LBB56_396:
	s_or_b64 exec, exec, s[4:5]
	scratch_load_dwordx2 v[118:119], off, off offset:120
	v_cmp_lt_u32_e64 s[2:3], 15, v0
	s_waitcnt vmcnt(0)
	ds_write_b64 v1, v[118:119]
	s_waitcnt lgkmcnt(0)
	; wave barrier
	s_and_saveexec_b64 s[4:5], s[2:3]
	s_cbranch_execz .LBB56_406
; %bb.397:
	s_andn2_b64 vcc, exec, s[6:7]
	s_cbranch_vccnz .LBB56_399
; %bb.398:
	scratch_load_dwordx2 v[118:119], v11, off
	ds_read_b64 v[120:121], v1
	s_waitcnt vmcnt(0) lgkmcnt(0)
	v_mul_f64 v[118:119], v[118:119], v[120:121]
	s_cbranch_execz .LBB56_400
	s_branch .LBB56_401
.LBB56_399:
                                        ; implicit-def: $vgpr118_vgpr119
.LBB56_400:
	ds_read_b64 v[118:119], v1
.LBB56_401:
	s_and_saveexec_b64 s[8:9], s[0:1]
	s_cbranch_execz .LBB56_405
; %bb.402:
	v_add_u32_e32 v120, -16, v0
	s_movk_i32 s18, 0x250
	s_mov_b64 s[0:1], 0
.LBB56_403:                             ; =>This Inner Loop Header: Depth=1
	scratch_load_dwordx2 v[122:123], off, s17
	v_mov_b32_e32 v121, s18
	ds_read_b64 v[124:125], v121
	v_add_u32_e32 v120, -1, v120
	s_add_i32 s18, s18, 8
	s_add_i32 s17, s17, 8
	v_cmp_eq_u32_e32 vcc, 0, v120
	s_or_b64 s[0:1], vcc, s[0:1]
	s_waitcnt vmcnt(0) lgkmcnt(0)
	v_fmac_f64_e32 v[118:119], v[122:123], v[124:125]
	s_andn2_b64 exec, exec, s[0:1]
	s_cbranch_execnz .LBB56_403
; %bb.404:
	s_or_b64 exec, exec, s[0:1]
.LBB56_405:
	s_or_b64 exec, exec, s[8:9]
	v_mov_b32_e32 v120, 0
	ds_read_b64 v[120:121], v120 offset:120
	s_waitcnt lgkmcnt(0)
	v_mul_f64 v[118:119], v[118:119], v[120:121]
	scratch_store_dwordx2 off, v[118:119], off offset:120
.LBB56_406:
	s_or_b64 exec, exec, s[4:5]
	scratch_load_dwordx2 v[118:119], off, off offset:112
	v_cmp_lt_u32_e64 s[0:1], 14, v0
	s_waitcnt vmcnt(0)
	ds_write_b64 v1, v[118:119]
	s_waitcnt lgkmcnt(0)
	; wave barrier
	s_and_saveexec_b64 s[4:5], s[0:1]
	s_cbranch_execz .LBB56_416
; %bb.407:
	s_andn2_b64 vcc, exec, s[6:7]
	s_cbranch_vccnz .LBB56_409
; %bb.408:
	scratch_load_dwordx2 v[118:119], v11, off
	ds_read_b64 v[120:121], v1
	s_waitcnt vmcnt(0) lgkmcnt(0)
	v_mul_f64 v[118:119], v[118:119], v[120:121]
	s_cbranch_execz .LBB56_410
	s_branch .LBB56_411
.LBB56_409:
                                        ; implicit-def: $vgpr118_vgpr119
.LBB56_410:
	ds_read_b64 v[118:119], v1
.LBB56_411:
	s_and_saveexec_b64 s[8:9], s[2:3]
	s_cbranch_execz .LBB56_415
; %bb.412:
	s_movk_i32 s17, 0x78
	v_add_u32_e32 v120, -15, v0
	s_movk_i32 s18, 0x248
	s_mov_b64 s[2:3], 0
.LBB56_413:                             ; =>This Inner Loop Header: Depth=1
	scratch_load_dwordx2 v[122:123], off, s17
	v_mov_b32_e32 v121, s18
	ds_read_b64 v[124:125], v121
	v_add_u32_e32 v120, -1, v120
	s_add_i32 s18, s18, 8
	s_add_i32 s17, s17, 8
	v_cmp_eq_u32_e32 vcc, 0, v120
	s_or_b64 s[2:3], vcc, s[2:3]
	s_waitcnt vmcnt(0) lgkmcnt(0)
	v_fmac_f64_e32 v[118:119], v[122:123], v[124:125]
	s_andn2_b64 exec, exec, s[2:3]
	s_cbranch_execnz .LBB56_413
; %bb.414:
	s_or_b64 exec, exec, s[2:3]
.LBB56_415:
	s_or_b64 exec, exec, s[8:9]
	v_mov_b32_e32 v120, 0
	ds_read_b64 v[120:121], v120 offset:112
	s_waitcnt lgkmcnt(0)
	v_mul_f64 v[118:119], v[118:119], v[120:121]
	scratch_store_dwordx2 off, v[118:119], off offset:112
.LBB56_416:
	s_or_b64 exec, exec, s[4:5]
	scratch_load_dwordx2 v[118:119], off, off offset:104
	v_cmp_lt_u32_e64 s[2:3], 13, v0
	s_waitcnt vmcnt(0)
	ds_write_b64 v1, v[118:119]
	s_waitcnt lgkmcnt(0)
	; wave barrier
	s_and_saveexec_b64 s[4:5], s[2:3]
	s_cbranch_execz .LBB56_426
; %bb.417:
	s_andn2_b64 vcc, exec, s[6:7]
	s_cbranch_vccnz .LBB56_419
; %bb.418:
	scratch_load_dwordx2 v[118:119], v11, off
	ds_read_b64 v[120:121], v1
	s_waitcnt vmcnt(0) lgkmcnt(0)
	v_mul_f64 v[118:119], v[118:119], v[120:121]
	s_cbranch_execz .LBB56_420
	s_branch .LBB56_421
.LBB56_419:
                                        ; implicit-def: $vgpr118_vgpr119
.LBB56_420:
	ds_read_b64 v[118:119], v1
.LBB56_421:
	s_and_saveexec_b64 s[8:9], s[0:1]
	s_cbranch_execz .LBB56_425
; %bb.422:
	v_add_u32_e32 v120, -14, v0
	s_movk_i32 s17, 0x240
	s_mov_b64 s[0:1], 0
.LBB56_423:                             ; =>This Inner Loop Header: Depth=1
	scratch_load_dwordx2 v[122:123], off, s16
	v_mov_b32_e32 v121, s17
	ds_read_b64 v[124:125], v121
	v_add_u32_e32 v120, -1, v120
	s_add_i32 s17, s17, 8
	s_add_i32 s16, s16, 8
	v_cmp_eq_u32_e32 vcc, 0, v120
	s_or_b64 s[0:1], vcc, s[0:1]
	s_waitcnt vmcnt(0) lgkmcnt(0)
	v_fmac_f64_e32 v[118:119], v[122:123], v[124:125]
	s_andn2_b64 exec, exec, s[0:1]
	s_cbranch_execnz .LBB56_423
; %bb.424:
	s_or_b64 exec, exec, s[0:1]
.LBB56_425:
	s_or_b64 exec, exec, s[8:9]
	v_mov_b32_e32 v120, 0
	ds_read_b64 v[120:121], v120 offset:104
	s_waitcnt lgkmcnt(0)
	v_mul_f64 v[118:119], v[118:119], v[120:121]
	scratch_store_dwordx2 off, v[118:119], off offset:104
.LBB56_426:
	s_or_b64 exec, exec, s[4:5]
	scratch_load_dwordx2 v[118:119], off, off offset:96
	v_cmp_lt_u32_e64 s[0:1], 12, v0
	s_waitcnt vmcnt(0)
	ds_write_b64 v1, v[118:119]
	s_waitcnt lgkmcnt(0)
	; wave barrier
	s_and_saveexec_b64 s[4:5], s[0:1]
	s_cbranch_execz .LBB56_436
; %bb.427:
	s_andn2_b64 vcc, exec, s[6:7]
	s_cbranch_vccnz .LBB56_429
; %bb.428:
	scratch_load_dwordx2 v[118:119], v11, off
	ds_read_b64 v[120:121], v1
	s_waitcnt vmcnt(0) lgkmcnt(0)
	v_mul_f64 v[118:119], v[118:119], v[120:121]
	s_cbranch_execz .LBB56_430
	s_branch .LBB56_431
.LBB56_429:
                                        ; implicit-def: $vgpr118_vgpr119
.LBB56_430:
	ds_read_b64 v[118:119], v1
.LBB56_431:
	s_and_saveexec_b64 s[8:9], s[2:3]
	s_cbranch_execz .LBB56_435
; %bb.432:
	s_movk_i32 s16, 0x68
	v_add_u32_e32 v120, -13, v0
	s_movk_i32 s17, 0x238
	s_mov_b64 s[2:3], 0
.LBB56_433:                             ; =>This Inner Loop Header: Depth=1
	scratch_load_dwordx2 v[122:123], off, s16
	v_mov_b32_e32 v121, s17
	ds_read_b64 v[124:125], v121
	v_add_u32_e32 v120, -1, v120
	s_add_i32 s17, s17, 8
	s_add_i32 s16, s16, 8
	v_cmp_eq_u32_e32 vcc, 0, v120
	s_or_b64 s[2:3], vcc, s[2:3]
	s_waitcnt vmcnt(0) lgkmcnt(0)
	v_fmac_f64_e32 v[118:119], v[122:123], v[124:125]
	s_andn2_b64 exec, exec, s[2:3]
	s_cbranch_execnz .LBB56_433
; %bb.434:
	s_or_b64 exec, exec, s[2:3]
.LBB56_435:
	s_or_b64 exec, exec, s[8:9]
	v_mov_b32_e32 v120, 0
	ds_read_b64 v[120:121], v120 offset:96
	s_waitcnt lgkmcnt(0)
	v_mul_f64 v[118:119], v[118:119], v[120:121]
	scratch_store_dwordx2 off, v[118:119], off offset:96
.LBB56_436:
	s_or_b64 exec, exec, s[4:5]
	scratch_load_dwordx2 v[118:119], off, off offset:88
	v_cmp_lt_u32_e64 s[2:3], 11, v0
	s_waitcnt vmcnt(0)
	ds_write_b64 v1, v[118:119]
	s_waitcnt lgkmcnt(0)
	; wave barrier
	s_and_saveexec_b64 s[4:5], s[2:3]
	s_cbranch_execz .LBB56_446
; %bb.437:
	s_andn2_b64 vcc, exec, s[6:7]
	s_cbranch_vccnz .LBB56_439
; %bb.438:
	scratch_load_dwordx2 v[118:119], v11, off
	ds_read_b64 v[120:121], v1
	s_waitcnt vmcnt(0) lgkmcnt(0)
	v_mul_f64 v[118:119], v[118:119], v[120:121]
	s_cbranch_execz .LBB56_440
	s_branch .LBB56_441
.LBB56_439:
                                        ; implicit-def: $vgpr118_vgpr119
.LBB56_440:
	ds_read_b64 v[118:119], v1
.LBB56_441:
	s_and_saveexec_b64 s[8:9], s[0:1]
	s_cbranch_execz .LBB56_445
; %bb.442:
	v_add_u32_e32 v120, -12, v0
	s_movk_i32 s16, 0x230
	s_mov_b64 s[0:1], 0
.LBB56_443:                             ; =>This Inner Loop Header: Depth=1
	scratch_load_dwordx2 v[122:123], off, s15
	v_mov_b32_e32 v121, s16
	ds_read_b64 v[124:125], v121
	v_add_u32_e32 v120, -1, v120
	s_add_i32 s16, s16, 8
	s_add_i32 s15, s15, 8
	v_cmp_eq_u32_e32 vcc, 0, v120
	s_or_b64 s[0:1], vcc, s[0:1]
	s_waitcnt vmcnt(0) lgkmcnt(0)
	v_fmac_f64_e32 v[118:119], v[122:123], v[124:125]
	s_andn2_b64 exec, exec, s[0:1]
	s_cbranch_execnz .LBB56_443
; %bb.444:
	s_or_b64 exec, exec, s[0:1]
.LBB56_445:
	s_or_b64 exec, exec, s[8:9]
	v_mov_b32_e32 v120, 0
	ds_read_b64 v[120:121], v120 offset:88
	s_waitcnt lgkmcnt(0)
	v_mul_f64 v[118:119], v[118:119], v[120:121]
	scratch_store_dwordx2 off, v[118:119], off offset:88
.LBB56_446:
	s_or_b64 exec, exec, s[4:5]
	scratch_load_dwordx2 v[118:119], off, off offset:80
	v_cmp_lt_u32_e64 s[0:1], 10, v0
	s_waitcnt vmcnt(0)
	ds_write_b64 v1, v[118:119]
	s_waitcnt lgkmcnt(0)
	; wave barrier
	s_and_saveexec_b64 s[4:5], s[0:1]
	s_cbranch_execz .LBB56_456
; %bb.447:
	s_andn2_b64 vcc, exec, s[6:7]
	s_cbranch_vccnz .LBB56_449
; %bb.448:
	scratch_load_dwordx2 v[118:119], v11, off
	ds_read_b64 v[120:121], v1
	s_waitcnt vmcnt(0) lgkmcnt(0)
	v_mul_f64 v[118:119], v[118:119], v[120:121]
	s_cbranch_execz .LBB56_450
	s_branch .LBB56_451
.LBB56_449:
                                        ; implicit-def: $vgpr118_vgpr119
.LBB56_450:
	ds_read_b64 v[118:119], v1
.LBB56_451:
	s_and_saveexec_b64 s[8:9], s[2:3]
	s_cbranch_execz .LBB56_455
; %bb.452:
	s_movk_i32 s15, 0x58
	v_add_u32_e32 v120, -11, v0
	s_movk_i32 s16, 0x228
	s_mov_b64 s[2:3], 0
.LBB56_453:                             ; =>This Inner Loop Header: Depth=1
	scratch_load_dwordx2 v[122:123], off, s15
	v_mov_b32_e32 v121, s16
	ds_read_b64 v[124:125], v121
	v_add_u32_e32 v120, -1, v120
	s_add_i32 s16, s16, 8
	s_add_i32 s15, s15, 8
	v_cmp_eq_u32_e32 vcc, 0, v120
	s_or_b64 s[2:3], vcc, s[2:3]
	s_waitcnt vmcnt(0) lgkmcnt(0)
	v_fmac_f64_e32 v[118:119], v[122:123], v[124:125]
	s_andn2_b64 exec, exec, s[2:3]
	s_cbranch_execnz .LBB56_453
; %bb.454:
	s_or_b64 exec, exec, s[2:3]
.LBB56_455:
	s_or_b64 exec, exec, s[8:9]
	v_mov_b32_e32 v120, 0
	ds_read_b64 v[120:121], v120 offset:80
	s_waitcnt lgkmcnt(0)
	v_mul_f64 v[118:119], v[118:119], v[120:121]
	scratch_store_dwordx2 off, v[118:119], off offset:80
.LBB56_456:
	s_or_b64 exec, exec, s[4:5]
	scratch_load_dwordx2 v[118:119], off, off offset:72
	v_cmp_lt_u32_e64 s[2:3], 9, v0
	s_waitcnt vmcnt(0)
	ds_write_b64 v1, v[118:119]
	s_waitcnt lgkmcnt(0)
	; wave barrier
	s_and_saveexec_b64 s[4:5], s[2:3]
	s_cbranch_execz .LBB56_466
; %bb.457:
	s_andn2_b64 vcc, exec, s[6:7]
	s_cbranch_vccnz .LBB56_459
; %bb.458:
	scratch_load_dwordx2 v[118:119], v11, off
	ds_read_b64 v[120:121], v1
	s_waitcnt vmcnt(0) lgkmcnt(0)
	v_mul_f64 v[118:119], v[118:119], v[120:121]
	s_cbranch_execz .LBB56_460
	s_branch .LBB56_461
.LBB56_459:
                                        ; implicit-def: $vgpr118_vgpr119
.LBB56_460:
	ds_read_b64 v[118:119], v1
.LBB56_461:
	s_and_saveexec_b64 s[8:9], s[0:1]
	s_cbranch_execz .LBB56_465
; %bb.462:
	v_add_u32_e32 v120, -10, v0
	s_movk_i32 s15, 0x220
	s_mov_b64 s[0:1], 0
.LBB56_463:                             ; =>This Inner Loop Header: Depth=1
	scratch_load_dwordx2 v[122:123], off, s14
	v_mov_b32_e32 v121, s15
	ds_read_b64 v[124:125], v121
	v_add_u32_e32 v120, -1, v120
	s_add_i32 s15, s15, 8
	s_add_i32 s14, s14, 8
	v_cmp_eq_u32_e32 vcc, 0, v120
	s_or_b64 s[0:1], vcc, s[0:1]
	s_waitcnt vmcnt(0) lgkmcnt(0)
	v_fmac_f64_e32 v[118:119], v[122:123], v[124:125]
	s_andn2_b64 exec, exec, s[0:1]
	s_cbranch_execnz .LBB56_463
; %bb.464:
	s_or_b64 exec, exec, s[0:1]
.LBB56_465:
	s_or_b64 exec, exec, s[8:9]
	v_mov_b32_e32 v120, 0
	ds_read_b64 v[120:121], v120 offset:72
	s_waitcnt lgkmcnt(0)
	v_mul_f64 v[118:119], v[118:119], v[120:121]
	scratch_store_dwordx2 off, v[118:119], off offset:72
.LBB56_466:
	s_or_b64 exec, exec, s[4:5]
	scratch_load_dwordx2 v[118:119], off, off offset:64
	v_cmp_lt_u32_e64 s[0:1], 8, v0
	s_waitcnt vmcnt(0)
	ds_write_b64 v1, v[118:119]
	s_waitcnt lgkmcnt(0)
	; wave barrier
	s_and_saveexec_b64 s[4:5], s[0:1]
	s_cbranch_execz .LBB56_476
; %bb.467:
	s_andn2_b64 vcc, exec, s[6:7]
	s_cbranch_vccnz .LBB56_469
; %bb.468:
	scratch_load_dwordx2 v[118:119], v11, off
	ds_read_b64 v[120:121], v1
	s_waitcnt vmcnt(0) lgkmcnt(0)
	v_mul_f64 v[118:119], v[118:119], v[120:121]
	s_cbranch_execz .LBB56_470
	s_branch .LBB56_471
.LBB56_469:
                                        ; implicit-def: $vgpr118_vgpr119
.LBB56_470:
	ds_read_b64 v[118:119], v1
.LBB56_471:
	s_and_saveexec_b64 s[8:9], s[2:3]
	s_cbranch_execz .LBB56_475
; %bb.472:
	s_movk_i32 s14, 0x48
	v_add_u32_e32 v120, -9, v0
	s_movk_i32 s15, 0x218
	s_mov_b64 s[2:3], 0
.LBB56_473:                             ; =>This Inner Loop Header: Depth=1
	scratch_load_dwordx2 v[122:123], off, s14
	v_mov_b32_e32 v121, s15
	ds_read_b64 v[124:125], v121
	v_add_u32_e32 v120, -1, v120
	s_add_i32 s15, s15, 8
	s_add_i32 s14, s14, 8
	v_cmp_eq_u32_e32 vcc, 0, v120
	s_or_b64 s[2:3], vcc, s[2:3]
	s_waitcnt vmcnt(0) lgkmcnt(0)
	v_fmac_f64_e32 v[118:119], v[122:123], v[124:125]
	s_andn2_b64 exec, exec, s[2:3]
	s_cbranch_execnz .LBB56_473
; %bb.474:
	s_or_b64 exec, exec, s[2:3]
.LBB56_475:
	s_or_b64 exec, exec, s[8:9]
	v_mov_b32_e32 v120, 0
	ds_read_b64 v[120:121], v120 offset:64
	s_waitcnt lgkmcnt(0)
	v_mul_f64 v[118:119], v[118:119], v[120:121]
	scratch_store_dwordx2 off, v[118:119], off offset:64
.LBB56_476:
	s_or_b64 exec, exec, s[4:5]
	scratch_load_dwordx2 v[118:119], off, off offset:56
	v_cmp_lt_u32_e64 s[2:3], 7, v0
	s_waitcnt vmcnt(0)
	ds_write_b64 v1, v[118:119]
	s_waitcnt lgkmcnt(0)
	; wave barrier
	s_and_saveexec_b64 s[4:5], s[2:3]
	s_cbranch_execz .LBB56_486
; %bb.477:
	s_andn2_b64 vcc, exec, s[6:7]
	s_cbranch_vccnz .LBB56_479
; %bb.478:
	scratch_load_dwordx2 v[118:119], v11, off
	ds_read_b64 v[120:121], v1
	s_waitcnt vmcnt(0) lgkmcnt(0)
	v_mul_f64 v[118:119], v[118:119], v[120:121]
	s_cbranch_execz .LBB56_480
	s_branch .LBB56_481
.LBB56_479:
                                        ; implicit-def: $vgpr118_vgpr119
.LBB56_480:
	ds_read_b64 v[118:119], v1
.LBB56_481:
	s_and_saveexec_b64 s[8:9], s[0:1]
	s_cbranch_execz .LBB56_485
; %bb.482:
	v_add_u32_e32 v120, -8, v0
	s_movk_i32 s14, 0x210
	s_mov_b64 s[0:1], 0
.LBB56_483:                             ; =>This Inner Loop Header: Depth=1
	scratch_load_dwordx2 v[122:123], off, s13
	v_mov_b32_e32 v121, s14
	ds_read_b64 v[124:125], v121
	v_add_u32_e32 v120, -1, v120
	s_add_i32 s14, s14, 8
	s_add_i32 s13, s13, 8
	v_cmp_eq_u32_e32 vcc, 0, v120
	s_or_b64 s[0:1], vcc, s[0:1]
	s_waitcnt vmcnt(0) lgkmcnt(0)
	v_fmac_f64_e32 v[118:119], v[122:123], v[124:125]
	s_andn2_b64 exec, exec, s[0:1]
	s_cbranch_execnz .LBB56_483
; %bb.484:
	s_or_b64 exec, exec, s[0:1]
.LBB56_485:
	s_or_b64 exec, exec, s[8:9]
	v_mov_b32_e32 v120, 0
	ds_read_b64 v[120:121], v120 offset:56
	s_waitcnt lgkmcnt(0)
	v_mul_f64 v[118:119], v[118:119], v[120:121]
	scratch_store_dwordx2 off, v[118:119], off offset:56
.LBB56_486:
	s_or_b64 exec, exec, s[4:5]
	scratch_load_dwordx2 v[118:119], off, off offset:48
	v_cmp_lt_u32_e64 s[0:1], 6, v0
	s_waitcnt vmcnt(0)
	ds_write_b64 v1, v[118:119]
	s_waitcnt lgkmcnt(0)
	; wave barrier
	s_and_saveexec_b64 s[4:5], s[0:1]
	s_cbranch_execz .LBB56_496
; %bb.487:
	s_andn2_b64 vcc, exec, s[6:7]
	s_cbranch_vccnz .LBB56_489
; %bb.488:
	scratch_load_dwordx2 v[118:119], v11, off
	ds_read_b64 v[120:121], v1
	s_waitcnt vmcnt(0) lgkmcnt(0)
	v_mul_f64 v[118:119], v[118:119], v[120:121]
	s_cbranch_execz .LBB56_490
	s_branch .LBB56_491
.LBB56_489:
                                        ; implicit-def: $vgpr118_vgpr119
.LBB56_490:
	ds_read_b64 v[118:119], v1
.LBB56_491:
	s_and_saveexec_b64 s[8:9], s[2:3]
	s_cbranch_execz .LBB56_495
; %bb.492:
	s_mov_b32 s13, 56
	v_add_u32_e32 v120, -7, v0
	s_movk_i32 s14, 0x208
	s_mov_b64 s[2:3], 0
.LBB56_493:                             ; =>This Inner Loop Header: Depth=1
	scratch_load_dwordx2 v[122:123], off, s13
	v_mov_b32_e32 v121, s14
	ds_read_b64 v[124:125], v121
	v_add_u32_e32 v120, -1, v120
	s_add_i32 s14, s14, 8
	s_add_i32 s13, s13, 8
	v_cmp_eq_u32_e32 vcc, 0, v120
	s_or_b64 s[2:3], vcc, s[2:3]
	s_waitcnt vmcnt(0) lgkmcnt(0)
	v_fmac_f64_e32 v[118:119], v[122:123], v[124:125]
	s_andn2_b64 exec, exec, s[2:3]
	s_cbranch_execnz .LBB56_493
; %bb.494:
	s_or_b64 exec, exec, s[2:3]
.LBB56_495:
	s_or_b64 exec, exec, s[8:9]
	v_mov_b32_e32 v120, 0
	ds_read_b64 v[120:121], v120 offset:48
	s_waitcnt lgkmcnt(0)
	v_mul_f64 v[118:119], v[118:119], v[120:121]
	scratch_store_dwordx2 off, v[118:119], off offset:48
.LBB56_496:
	s_or_b64 exec, exec, s[4:5]
	scratch_load_dwordx2 v[118:119], off, off offset:40
	v_cmp_lt_u32_e64 s[2:3], 5, v0
	s_waitcnt vmcnt(0)
	ds_write_b64 v1, v[118:119]
	s_waitcnt lgkmcnt(0)
	; wave barrier
	s_and_saveexec_b64 s[4:5], s[2:3]
	s_cbranch_execz .LBB56_506
; %bb.497:
	s_andn2_b64 vcc, exec, s[6:7]
	s_cbranch_vccnz .LBB56_499
; %bb.498:
	scratch_load_dwordx2 v[118:119], v11, off
	ds_read_b64 v[120:121], v1
	s_waitcnt vmcnt(0) lgkmcnt(0)
	v_mul_f64 v[118:119], v[118:119], v[120:121]
	s_cbranch_execz .LBB56_500
	s_branch .LBB56_501
.LBB56_499:
                                        ; implicit-def: $vgpr118_vgpr119
.LBB56_500:
	ds_read_b64 v[118:119], v1
.LBB56_501:
	s_and_saveexec_b64 s[8:9], s[0:1]
	s_cbranch_execz .LBB56_505
; %bb.502:
	v_add_u32_e32 v120, -6, v0
	s_movk_i32 s13, 0x200
	s_mov_b64 s[0:1], 0
.LBB56_503:                             ; =>This Inner Loop Header: Depth=1
	scratch_load_dwordx2 v[122:123], off, s12
	v_mov_b32_e32 v121, s13
	ds_read_b64 v[124:125], v121
	v_add_u32_e32 v120, -1, v120
	s_add_i32 s13, s13, 8
	s_add_i32 s12, s12, 8
	v_cmp_eq_u32_e32 vcc, 0, v120
	s_or_b64 s[0:1], vcc, s[0:1]
	s_waitcnt vmcnt(0) lgkmcnt(0)
	v_fmac_f64_e32 v[118:119], v[122:123], v[124:125]
	s_andn2_b64 exec, exec, s[0:1]
	s_cbranch_execnz .LBB56_503
; %bb.504:
	s_or_b64 exec, exec, s[0:1]
.LBB56_505:
	s_or_b64 exec, exec, s[8:9]
	v_mov_b32_e32 v120, 0
	ds_read_b64 v[120:121], v120 offset:40
	s_waitcnt lgkmcnt(0)
	v_mul_f64 v[118:119], v[118:119], v[120:121]
	scratch_store_dwordx2 off, v[118:119], off offset:40
.LBB56_506:
	s_or_b64 exec, exec, s[4:5]
	scratch_load_dwordx2 v[118:119], off, off offset:32
	v_cmp_lt_u32_e64 s[0:1], 4, v0
	s_waitcnt vmcnt(0)
	ds_write_b64 v1, v[118:119]
	s_waitcnt lgkmcnt(0)
	; wave barrier
	s_and_saveexec_b64 s[4:5], s[0:1]
	s_cbranch_execz .LBB56_516
; %bb.507:
	s_andn2_b64 vcc, exec, s[6:7]
	s_cbranch_vccnz .LBB56_509
; %bb.508:
	scratch_load_dwordx2 v[118:119], v11, off
	ds_read_b64 v[120:121], v1
	s_waitcnt vmcnt(0) lgkmcnt(0)
	v_mul_f64 v[118:119], v[118:119], v[120:121]
	s_cbranch_execz .LBB56_510
	s_branch .LBB56_511
.LBB56_509:
                                        ; implicit-def: $vgpr118_vgpr119
.LBB56_510:
	ds_read_b64 v[118:119], v1
.LBB56_511:
	s_and_saveexec_b64 s[8:9], s[2:3]
	s_cbranch_execz .LBB56_515
; %bb.512:
	s_mov_b32 s12, 40
	v_add_u32_e32 v120, -5, v0
	s_movk_i32 s13, 0x1f8
	s_mov_b64 s[2:3], 0
.LBB56_513:                             ; =>This Inner Loop Header: Depth=1
	scratch_load_dwordx2 v[122:123], off, s12
	v_mov_b32_e32 v121, s13
	ds_read_b64 v[124:125], v121
	v_add_u32_e32 v120, -1, v120
	s_add_i32 s13, s13, 8
	s_add_i32 s12, s12, 8
	v_cmp_eq_u32_e32 vcc, 0, v120
	s_or_b64 s[2:3], vcc, s[2:3]
	s_waitcnt vmcnt(0) lgkmcnt(0)
	v_fmac_f64_e32 v[118:119], v[122:123], v[124:125]
	s_andn2_b64 exec, exec, s[2:3]
	s_cbranch_execnz .LBB56_513
; %bb.514:
	s_or_b64 exec, exec, s[2:3]
.LBB56_515:
	s_or_b64 exec, exec, s[8:9]
	v_mov_b32_e32 v120, 0
	ds_read_b64 v[120:121], v120 offset:32
	s_waitcnt lgkmcnt(0)
	v_mul_f64 v[118:119], v[118:119], v[120:121]
	scratch_store_dwordx2 off, v[118:119], off offset:32
.LBB56_516:
	s_or_b64 exec, exec, s[4:5]
	scratch_load_dwordx2 v[118:119], off, off offset:24
	v_cmp_lt_u32_e64 s[2:3], 3, v0
	s_waitcnt vmcnt(0)
	ds_write_b64 v1, v[118:119]
	s_waitcnt lgkmcnt(0)
	; wave barrier
	s_and_saveexec_b64 s[4:5], s[2:3]
	s_cbranch_execz .LBB56_526
; %bb.517:
	s_andn2_b64 vcc, exec, s[6:7]
	s_cbranch_vccnz .LBB56_519
; %bb.518:
	scratch_load_dwordx2 v[118:119], v11, off
	ds_read_b64 v[120:121], v1
	s_waitcnt vmcnt(0) lgkmcnt(0)
	v_mul_f64 v[118:119], v[118:119], v[120:121]
	s_cbranch_execz .LBB56_520
	s_branch .LBB56_521
.LBB56_519:
                                        ; implicit-def: $vgpr118_vgpr119
.LBB56_520:
	ds_read_b64 v[118:119], v1
.LBB56_521:
	s_and_saveexec_b64 s[8:9], s[0:1]
	s_cbranch_execz .LBB56_525
; %bb.522:
	v_add_u32_e32 v120, -4, v0
	s_movk_i32 s12, 0x1f0
	s_mov_b64 s[0:1], 0
.LBB56_523:                             ; =>This Inner Loop Header: Depth=1
	scratch_load_dwordx2 v[122:123], off, s11
	v_mov_b32_e32 v121, s12
	ds_read_b64 v[124:125], v121
	v_add_u32_e32 v120, -1, v120
	s_add_i32 s12, s12, 8
	s_add_i32 s11, s11, 8
	v_cmp_eq_u32_e32 vcc, 0, v120
	s_or_b64 s[0:1], vcc, s[0:1]
	s_waitcnt vmcnt(0) lgkmcnt(0)
	v_fmac_f64_e32 v[118:119], v[122:123], v[124:125]
	s_andn2_b64 exec, exec, s[0:1]
	s_cbranch_execnz .LBB56_523
; %bb.524:
	s_or_b64 exec, exec, s[0:1]
.LBB56_525:
	s_or_b64 exec, exec, s[8:9]
	v_mov_b32_e32 v120, 0
	ds_read_b64 v[120:121], v120 offset:24
	s_waitcnt lgkmcnt(0)
	v_mul_f64 v[118:119], v[118:119], v[120:121]
	scratch_store_dwordx2 off, v[118:119], off offset:24
.LBB56_526:
	s_or_b64 exec, exec, s[4:5]
	scratch_load_dwordx2 v[118:119], off, off offset:16
	v_cmp_lt_u32_e64 s[0:1], 2, v0
	s_waitcnt vmcnt(0)
	ds_write_b64 v1, v[118:119]
	s_waitcnt lgkmcnt(0)
	; wave barrier
	s_and_saveexec_b64 s[4:5], s[0:1]
	s_cbranch_execz .LBB56_536
; %bb.527:
	s_andn2_b64 vcc, exec, s[6:7]
	s_cbranch_vccnz .LBB56_529
; %bb.528:
	scratch_load_dwordx2 v[118:119], v11, off
	ds_read_b64 v[120:121], v1
	s_waitcnt vmcnt(0) lgkmcnt(0)
	v_mul_f64 v[118:119], v[118:119], v[120:121]
	s_cbranch_execz .LBB56_530
	s_branch .LBB56_531
.LBB56_529:
                                        ; implicit-def: $vgpr118_vgpr119
.LBB56_530:
	ds_read_b64 v[118:119], v1
.LBB56_531:
	s_and_saveexec_b64 s[8:9], s[2:3]
	s_cbranch_execz .LBB56_535
; %bb.532:
	s_mov_b32 s11, 24
	v_add_u32_e32 v120, -3, v0
	s_movk_i32 s12, 0x1e8
	s_mov_b64 s[2:3], 0
.LBB56_533:                             ; =>This Inner Loop Header: Depth=1
	scratch_load_dwordx2 v[122:123], off, s11
	v_mov_b32_e32 v121, s12
	ds_read_b64 v[124:125], v121
	v_add_u32_e32 v120, -1, v120
	s_add_i32 s12, s12, 8
	s_add_i32 s11, s11, 8
	v_cmp_eq_u32_e32 vcc, 0, v120
	s_or_b64 s[2:3], vcc, s[2:3]
	s_waitcnt vmcnt(0) lgkmcnt(0)
	v_fmac_f64_e32 v[118:119], v[122:123], v[124:125]
	s_andn2_b64 exec, exec, s[2:3]
	s_cbranch_execnz .LBB56_533
; %bb.534:
	s_or_b64 exec, exec, s[2:3]
.LBB56_535:
	s_or_b64 exec, exec, s[8:9]
	v_mov_b32_e32 v120, 0
	ds_read_b64 v[120:121], v120 offset:16
	s_waitcnt lgkmcnt(0)
	v_mul_f64 v[118:119], v[118:119], v[120:121]
	scratch_store_dwordx2 off, v[118:119], off offset:16
.LBB56_536:
	s_or_b64 exec, exec, s[4:5]
	scratch_load_dwordx2 v[118:119], off, off offset:8
	v_cmp_lt_u32_e64 s[2:3], 1, v0
	s_waitcnt vmcnt(0)
	ds_write_b64 v1, v[118:119]
	s_waitcnt lgkmcnt(0)
	; wave barrier
	s_and_saveexec_b64 s[4:5], s[2:3]
	s_cbranch_execz .LBB56_546
; %bb.537:
	s_andn2_b64 vcc, exec, s[6:7]
	s_cbranch_vccnz .LBB56_539
; %bb.538:
	scratch_load_dwordx2 v[118:119], v11, off
	ds_read_b64 v[120:121], v1
	s_waitcnt vmcnt(0) lgkmcnt(0)
	v_mul_f64 v[118:119], v[118:119], v[120:121]
	s_cbranch_execz .LBB56_540
	s_branch .LBB56_541
.LBB56_539:
                                        ; implicit-def: $vgpr118_vgpr119
.LBB56_540:
	ds_read_b64 v[118:119], v1
.LBB56_541:
	s_and_saveexec_b64 s[8:9], s[0:1]
	s_cbranch_execz .LBB56_545
; %bb.542:
	v_add_u32_e32 v120, -2, v0
	s_movk_i32 s11, 0x1e0
	s_mov_b64 s[0:1], 0
.LBB56_543:                             ; =>This Inner Loop Header: Depth=1
	scratch_load_dwordx2 v[122:123], off, s10
	v_mov_b32_e32 v121, s11
	ds_read_b64 v[124:125], v121
	v_add_u32_e32 v120, -1, v120
	s_add_i32 s11, s11, 8
	s_add_i32 s10, s10, 8
	v_cmp_eq_u32_e32 vcc, 0, v120
	s_or_b64 s[0:1], vcc, s[0:1]
	s_waitcnt vmcnt(0) lgkmcnt(0)
	v_fmac_f64_e32 v[118:119], v[122:123], v[124:125]
	s_andn2_b64 exec, exec, s[0:1]
	s_cbranch_execnz .LBB56_543
; %bb.544:
	s_or_b64 exec, exec, s[0:1]
.LBB56_545:
	s_or_b64 exec, exec, s[8:9]
	v_mov_b32_e32 v120, 0
	ds_read_b64 v[120:121], v120 offset:8
	s_waitcnt lgkmcnt(0)
	v_mul_f64 v[118:119], v[118:119], v[120:121]
	scratch_store_dwordx2 off, v[118:119], off offset:8
.LBB56_546:
	s_or_b64 exec, exec, s[4:5]
	scratch_load_dwordx2 v[118:119], off, off
	v_cmp_ne_u32_e32 vcc, 0, v0
	s_waitcnt vmcnt(0)
	ds_write_b64 v1, v[118:119]
	s_waitcnt lgkmcnt(0)
	; wave barrier
	s_and_saveexec_b64 s[0:1], vcc
	s_cbranch_execz .LBB56_556
; %bb.547:
	s_andn2_b64 vcc, exec, s[6:7]
	s_cbranch_vccnz .LBB56_549
; %bb.548:
	scratch_load_dwordx2 v[118:119], v11, off
	ds_read_b64 v[120:121], v1
	s_waitcnt vmcnt(0) lgkmcnt(0)
	v_mul_f64 v[118:119], v[118:119], v[120:121]
	s_cbranch_execz .LBB56_550
	s_branch .LBB56_551
.LBB56_549:
                                        ; implicit-def: $vgpr118_vgpr119
.LBB56_550:
	ds_read_b64 v[118:119], v1
.LBB56_551:
	s_and_saveexec_b64 s[4:5], s[2:3]
	s_cbranch_execz .LBB56_555
; %bb.552:
	s_or_b32 s8, 0, 8
	v_add_u32_e32 v120, -1, v0
	s_movk_i32 s9, 0x1d8
	s_mov_b64 s[2:3], 0
.LBB56_553:                             ; =>This Inner Loop Header: Depth=1
	scratch_load_dwordx2 v[122:123], off, s8
	v_mov_b32_e32 v121, s9
	ds_read_b64 v[124:125], v121
	v_add_u32_e32 v120, -1, v120
	s_add_i32 s9, s9, 8
	s_add_i32 s8, s8, 8
	v_cmp_eq_u32_e32 vcc, 0, v120
	s_or_b64 s[2:3], vcc, s[2:3]
	s_waitcnt vmcnt(0) lgkmcnt(0)
	v_fmac_f64_e32 v[118:119], v[122:123], v[124:125]
	s_andn2_b64 exec, exec, s[2:3]
	s_cbranch_execnz .LBB56_553
; %bb.554:
	s_or_b64 exec, exec, s[2:3]
.LBB56_555:
	s_or_b64 exec, exec, s[4:5]
	v_mov_b32_e32 v120, 0
	ds_read_b64 v[120:121], v120
	s_waitcnt lgkmcnt(0)
	v_mul_f64 v[118:119], v[118:119], v[120:121]
	scratch_store_dwordx2 off, v[118:119], off
.LBB56_556:
	s_or_b64 exec, exec, s[0:1]
	s_mov_b64 s[0:1], 0
.LBB56_557:
	s_and_b64 vcc, exec, s[0:1]
	s_cbranch_vccz .LBB56_1109
; %bb.558:
	scratch_load_dwordx2 v[118:119], off, off offset:8
	v_cmp_eq_u32_e64 s[2:3], 0, v0
	s_waitcnt vmcnt(0)
	ds_write_b64 v1, v[118:119]
	s_waitcnt lgkmcnt(0)
	; wave barrier
	s_and_saveexec_b64 s[0:1], s[2:3]
	s_cbranch_execz .LBB56_564
; %bb.559:
	s_and_b64 vcc, exec, s[6:7]
	s_cbranch_vccz .LBB56_561
; %bb.560:
	scratch_load_dwordx2 v[118:119], v11, off
	ds_read_b64 v[120:121], v1
	s_waitcnt vmcnt(0) lgkmcnt(0)
	v_mul_f64 v[118:119], v[118:119], v[120:121]
	s_cbranch_execz .LBB56_562
	s_branch .LBB56_563
.LBB56_561:
                                        ; implicit-def: $vgpr118_vgpr119
.LBB56_562:
	ds_read_b64 v[118:119], v1
.LBB56_563:
	v_mov_b32_e32 v120, 0
	ds_read_b64 v[120:121], v120 offset:8
	s_waitcnt lgkmcnt(0)
	v_mul_f64 v[118:119], v[118:119], v[120:121]
	scratch_store_dwordx2 off, v[118:119], off offset:8
.LBB56_564:
	s_or_b64 exec, exec, s[0:1]
	scratch_load_dwordx2 v[118:119], off, off offset:16
	v_cndmask_b32_e64 v120, 0, 1, s[6:7]
	v_cmp_gt_u32_e32 vcc, 2, v0
	v_cmp_ne_u32_e64 s[0:1], 1, v120
	s_waitcnt vmcnt(0)
	ds_write_b64 v1, v[118:119]
	s_waitcnt lgkmcnt(0)
	; wave barrier
	s_and_saveexec_b64 s[4:5], vcc
	s_cbranch_execz .LBB56_570
; %bb.565:
	s_and_b64 vcc, exec, s[0:1]
	s_cbranch_vccnz .LBB56_567
; %bb.566:
	scratch_load_dwordx2 v[118:119], v11, off
	ds_read_b64 v[120:121], v1
	s_waitcnt vmcnt(0) lgkmcnt(0)
	v_mul_f64 v[118:119], v[118:119], v[120:121]
	s_cbranch_execz .LBB56_568
	s_branch .LBB56_569
.LBB56_567:
                                        ; implicit-def: $vgpr118_vgpr119
.LBB56_568:
	ds_read_b64 v[118:119], v1
.LBB56_569:
	scratch_load_dwordx2 v[124:125], off, off offset:8
	v_mov_b32_e32 v120, 0
	ds_read2_b64 v[120:123], v120 offset0:2 offset1:59
	s_waitcnt vmcnt(0) lgkmcnt(0)
	v_fma_f64 v[122:123], v[124:125], v[122:123], v[118:119]
	v_cndmask_b32_e64 v119, v119, v123, s[2:3]
	v_cndmask_b32_e64 v118, v118, v122, s[2:3]
	v_mul_f64 v[118:119], v[118:119], v[120:121]
	scratch_store_dwordx2 off, v[118:119], off offset:16
.LBB56_570:
	s_or_b64 exec, exec, s[4:5]
	scratch_load_dwordx2 v[118:119], off, off offset:24
	v_cmp_gt_u32_e32 vcc, 3, v0
	s_waitcnt vmcnt(0)
	ds_write_b64 v1, v[118:119]
	s_waitcnt lgkmcnt(0)
	; wave barrier
	s_and_saveexec_b64 s[4:5], vcc
	s_cbranch_execz .LBB56_578
; %bb.571:
	s_and_b64 vcc, exec, s[0:1]
	s_cbranch_vccnz .LBB56_573
; %bb.572:
	scratch_load_dwordx2 v[118:119], v11, off
	ds_read_b64 v[120:121], v1
	s_waitcnt vmcnt(0) lgkmcnt(0)
	v_mul_f64 v[118:119], v[118:119], v[120:121]
	s_cbranch_execz .LBB56_574
	s_branch .LBB56_575
.LBB56_573:
                                        ; implicit-def: $vgpr118_vgpr119
.LBB56_574:
	ds_read_b64 v[118:119], v1
.LBB56_575:
	v_cmp_ne_u32_e32 vcc, 2, v0
	s_and_saveexec_b64 s[6:7], vcc
	s_cbranch_execz .LBB56_577
; %bb.576:
	scratch_load_dwordx2 v[120:121], v11, off offset:8
	ds_read_b64 v[122:123], v1 offset:8
	s_waitcnt vmcnt(0) lgkmcnt(0)
	v_fmac_f64_e32 v[118:119], v[120:121], v[122:123]
	scratch_load_dwordx2 v[120:121], off, off offset:16
	v_mov_b32_e32 v122, 0
	ds_read_b64 v[122:123], v122 offset:480
	s_waitcnt vmcnt(0) lgkmcnt(0)
	v_fma_f64 v[120:121], v[120:121], v[122:123], v[118:119]
	v_cndmask_b32_e64 v119, v119, v121, s[2:3]
	v_cndmask_b32_e64 v118, v118, v120, s[2:3]
.LBB56_577:
	s_or_b64 exec, exec, s[6:7]
	v_mov_b32_e32 v120, 0
	ds_read_b64 v[120:121], v120 offset:24
	s_waitcnt lgkmcnt(0)
	v_mul_f64 v[118:119], v[118:119], v[120:121]
	scratch_store_dwordx2 off, v[118:119], off offset:24
.LBB56_578:
	s_or_b64 exec, exec, s[4:5]
	scratch_load_dwordx2 v[118:119], off, off offset:32
	v_cmp_gt_u32_e32 vcc, 4, v0
	s_waitcnt vmcnt(0)
	ds_write_b64 v1, v[118:119]
	s_waitcnt lgkmcnt(0)
	; wave barrier
	s_and_saveexec_b64 s[2:3], vcc
	s_cbranch_execz .LBB56_588
; %bb.579:
	s_and_b64 vcc, exec, s[0:1]
	s_cbranch_vccnz .LBB56_581
; %bb.580:
	scratch_load_dwordx2 v[118:119], v11, off
	ds_read_b64 v[120:121], v1
	s_waitcnt vmcnt(0) lgkmcnt(0)
	v_mul_f64 v[118:119], v[118:119], v[120:121]
	s_cbranch_execz .LBB56_582
	s_branch .LBB56_583
.LBB56_581:
                                        ; implicit-def: $vgpr118_vgpr119
.LBB56_582:
	ds_read_b64 v[118:119], v1
.LBB56_583:
	v_cmp_ne_u32_e32 vcc, 3, v0
	s_and_saveexec_b64 s[4:5], vcc
	s_cbranch_execz .LBB56_587
; %bb.584:
	s_mov_b32 s6, 0
	v_add_u32_e32 v120, 0x1d8, v10
	v_add3_u32 v121, v10, s6, 8
	s_mov_b64 s[6:7], 0
	v_mov_b32_e32 v122, v0
.LBB56_585:                             ; =>This Inner Loop Header: Depth=1
	scratch_load_dwordx2 v[124:125], v121, off
	ds_read_b64 v[126:127], v120
	v_add_u32_e32 v122, 1, v122
	v_cmp_lt_u32_e32 vcc, 2, v122
	v_add_u32_e32 v120, 8, v120
	v_add_u32_e32 v121, 8, v121
	s_or_b64 s[6:7], vcc, s[6:7]
	s_waitcnt vmcnt(0) lgkmcnt(0)
	v_fmac_f64_e32 v[118:119], v[124:125], v[126:127]
	s_andn2_b64 exec, exec, s[6:7]
	s_cbranch_execnz .LBB56_585
; %bb.586:
	s_or_b64 exec, exec, s[6:7]
.LBB56_587:
	s_or_b64 exec, exec, s[4:5]
	v_mov_b32_e32 v120, 0
	ds_read_b64 v[120:121], v120 offset:32
	s_waitcnt lgkmcnt(0)
	v_mul_f64 v[118:119], v[118:119], v[120:121]
	scratch_store_dwordx2 off, v[118:119], off offset:32
.LBB56_588:
	s_or_b64 exec, exec, s[2:3]
	scratch_load_dwordx2 v[118:119], off, off offset:40
	v_cmp_gt_u32_e32 vcc, 5, v0
	s_waitcnt vmcnt(0)
	ds_write_b64 v1, v[118:119]
	s_waitcnt lgkmcnt(0)
	; wave barrier
	s_and_saveexec_b64 s[2:3], vcc
	s_cbranch_execz .LBB56_598
; %bb.589:
	s_and_b64 vcc, exec, s[0:1]
	s_cbranch_vccnz .LBB56_591
; %bb.590:
	scratch_load_dwordx2 v[118:119], v11, off
	ds_read_b64 v[120:121], v1
	s_waitcnt vmcnt(0) lgkmcnt(0)
	v_mul_f64 v[118:119], v[118:119], v[120:121]
	s_cbranch_execz .LBB56_592
	s_branch .LBB56_593
.LBB56_591:
                                        ; implicit-def: $vgpr118_vgpr119
.LBB56_592:
	ds_read_b64 v[118:119], v1
.LBB56_593:
	v_cmp_ne_u32_e32 vcc, 4, v0
	s_and_saveexec_b64 s[4:5], vcc
	s_cbranch_execz .LBB56_597
; %bb.594:
	s_mov_b32 s6, 0
	v_add_u32_e32 v120, 0x1d8, v10
	v_add3_u32 v121, v10, s6, 8
	s_mov_b64 s[6:7], 0
	v_mov_b32_e32 v122, v0
.LBB56_595:                             ; =>This Inner Loop Header: Depth=1
	scratch_load_dwordx2 v[124:125], v121, off
	ds_read_b64 v[126:127], v120
	v_add_u32_e32 v122, 1, v122
	v_cmp_lt_u32_e32 vcc, 3, v122
	v_add_u32_e32 v120, 8, v120
	v_add_u32_e32 v121, 8, v121
	s_or_b64 s[6:7], vcc, s[6:7]
	s_waitcnt vmcnt(0) lgkmcnt(0)
	v_fmac_f64_e32 v[118:119], v[124:125], v[126:127]
	s_andn2_b64 exec, exec, s[6:7]
	s_cbranch_execnz .LBB56_595
; %bb.596:
	s_or_b64 exec, exec, s[6:7]
.LBB56_597:
	s_or_b64 exec, exec, s[4:5]
	v_mov_b32_e32 v120, 0
	ds_read_b64 v[120:121], v120 offset:40
	s_waitcnt lgkmcnt(0)
	v_mul_f64 v[118:119], v[118:119], v[120:121]
	scratch_store_dwordx2 off, v[118:119], off offset:40
.LBB56_598:
	;; [unrolled: 55-line block ×42, first 2 shown]
	s_or_b64 exec, exec, s[2:3]
	scratch_load_dwordx2 v[118:119], off, off offset:368
	v_cmp_gt_u32_e32 vcc, 46, v0
	s_waitcnt vmcnt(0)
	ds_write_b64 v1, v[118:119]
	s_waitcnt lgkmcnt(0)
	; wave barrier
	s_and_saveexec_b64 s[2:3], vcc
	s_cbranch_execz .LBB56_1008
; %bb.999:
	s_and_b64 vcc, exec, s[0:1]
	s_cbranch_vccnz .LBB56_1001
; %bb.1000:
	scratch_load_dwordx2 v[118:119], v11, off
	ds_read_b64 v[120:121], v1
	s_waitcnt vmcnt(0) lgkmcnt(0)
	v_mul_f64 v[118:119], v[118:119], v[120:121]
	s_cbranch_execz .LBB56_1002
	s_branch .LBB56_1003
.LBB56_1001:
                                        ; implicit-def: $vgpr118_vgpr119
.LBB56_1002:
	ds_read_b64 v[118:119], v1
.LBB56_1003:
	v_cmp_ne_u32_e32 vcc, 45, v0
	s_and_saveexec_b64 s[4:5], vcc
	s_cbranch_execz .LBB56_1007
; %bb.1004:
	s_mov_b32 s6, 0
	v_add_u32_e32 v120, 0x1d8, v10
	v_add3_u32 v121, v10, s6, 8
	s_mov_b64 s[6:7], 0
	v_mov_b32_e32 v122, v0
.LBB56_1005:                            ; =>This Inner Loop Header: Depth=1
	scratch_load_dwordx2 v[124:125], v121, off
	ds_read_b64 v[126:127], v120
	v_add_u32_e32 v122, 1, v122
	v_cmp_lt_u32_e32 vcc, 44, v122
	v_add_u32_e32 v120, 8, v120
	v_add_u32_e32 v121, 8, v121
	s_or_b64 s[6:7], vcc, s[6:7]
	s_waitcnt vmcnt(0) lgkmcnt(0)
	v_fmac_f64_e32 v[118:119], v[124:125], v[126:127]
	s_andn2_b64 exec, exec, s[6:7]
	s_cbranch_execnz .LBB56_1005
; %bb.1006:
	s_or_b64 exec, exec, s[6:7]
.LBB56_1007:
	s_or_b64 exec, exec, s[4:5]
	v_mov_b32_e32 v120, 0
	ds_read_b64 v[120:121], v120 offset:368
	s_waitcnt lgkmcnt(0)
	v_mul_f64 v[118:119], v[118:119], v[120:121]
	scratch_store_dwordx2 off, v[118:119], off offset:368
.LBB56_1008:
	s_or_b64 exec, exec, s[2:3]
	scratch_load_dwordx2 v[118:119], off, off offset:376
	v_cmp_gt_u32_e32 vcc, 47, v0
	s_waitcnt vmcnt(0)
	ds_write_b64 v1, v[118:119]
	s_waitcnt lgkmcnt(0)
	; wave barrier
	s_and_saveexec_b64 s[2:3], vcc
	s_cbranch_execz .LBB56_1018
; %bb.1009:
	s_and_b64 vcc, exec, s[0:1]
	s_cbranch_vccnz .LBB56_1011
; %bb.1010:
	scratch_load_dwordx2 v[118:119], v11, off
	ds_read_b64 v[120:121], v1
	s_waitcnt vmcnt(0) lgkmcnt(0)
	v_mul_f64 v[118:119], v[118:119], v[120:121]
	s_cbranch_execz .LBB56_1012
	s_branch .LBB56_1013
.LBB56_1011:
                                        ; implicit-def: $vgpr118_vgpr119
.LBB56_1012:
	ds_read_b64 v[118:119], v1
.LBB56_1013:
	v_cmp_ne_u32_e32 vcc, 46, v0
	s_and_saveexec_b64 s[4:5], vcc
	s_cbranch_execz .LBB56_1017
; %bb.1014:
	s_mov_b32 s6, 0
	v_add_u32_e32 v120, 0x1d8, v10
	v_add3_u32 v121, v10, s6, 8
	s_mov_b64 s[6:7], 0
	v_mov_b32_e32 v122, v0
.LBB56_1015:                            ; =>This Inner Loop Header: Depth=1
	scratch_load_dwordx2 v[124:125], v121, off
	ds_read_b64 v[126:127], v120
	v_add_u32_e32 v122, 1, v122
	v_cmp_lt_u32_e32 vcc, 45, v122
	v_add_u32_e32 v120, 8, v120
	v_add_u32_e32 v121, 8, v121
	s_or_b64 s[6:7], vcc, s[6:7]
	s_waitcnt vmcnt(0) lgkmcnt(0)
	v_fmac_f64_e32 v[118:119], v[124:125], v[126:127]
	s_andn2_b64 exec, exec, s[6:7]
	s_cbranch_execnz .LBB56_1015
; %bb.1016:
	s_or_b64 exec, exec, s[6:7]
.LBB56_1017:
	s_or_b64 exec, exec, s[4:5]
	v_mov_b32_e32 v120, 0
	ds_read_b64 v[120:121], v120 offset:376
	s_waitcnt lgkmcnt(0)
	v_mul_f64 v[118:119], v[118:119], v[120:121]
	scratch_store_dwordx2 off, v[118:119], off offset:376
.LBB56_1018:
	s_or_b64 exec, exec, s[2:3]
	scratch_load_dwordx2 v[118:119], off, off offset:384
	v_cmp_gt_u32_e32 vcc, 48, v0
	s_waitcnt vmcnt(0)
	ds_write_b64 v1, v[118:119]
	s_waitcnt lgkmcnt(0)
	; wave barrier
	s_and_saveexec_b64 s[2:3], vcc
	s_cbranch_execz .LBB56_1028
; %bb.1019:
	s_and_b64 vcc, exec, s[0:1]
	s_cbranch_vccnz .LBB56_1021
; %bb.1020:
	scratch_load_dwordx2 v[118:119], v11, off
	ds_read_b64 v[120:121], v1
	s_waitcnt vmcnt(0) lgkmcnt(0)
	v_mul_f64 v[118:119], v[118:119], v[120:121]
	s_cbranch_execz .LBB56_1022
	s_branch .LBB56_1023
.LBB56_1021:
                                        ; implicit-def: $vgpr118_vgpr119
.LBB56_1022:
	ds_read_b64 v[118:119], v1
.LBB56_1023:
	v_cmp_ne_u32_e32 vcc, 47, v0
	s_and_saveexec_b64 s[4:5], vcc
	s_cbranch_execz .LBB56_1027
; %bb.1024:
	s_mov_b32 s6, 0
	v_add_u32_e32 v120, 0x1d8, v10
	v_add3_u32 v121, v10, s6, 8
	s_mov_b64 s[6:7], 0
	v_mov_b32_e32 v122, v0
.LBB56_1025:                            ; =>This Inner Loop Header: Depth=1
	scratch_load_dwordx2 v[124:125], v121, off
	ds_read_b64 v[126:127], v120
	v_add_u32_e32 v122, 1, v122
	v_cmp_lt_u32_e32 vcc, 46, v122
	v_add_u32_e32 v120, 8, v120
	v_add_u32_e32 v121, 8, v121
	s_or_b64 s[6:7], vcc, s[6:7]
	s_waitcnt vmcnt(0) lgkmcnt(0)
	v_fmac_f64_e32 v[118:119], v[124:125], v[126:127]
	s_andn2_b64 exec, exec, s[6:7]
	s_cbranch_execnz .LBB56_1025
; %bb.1026:
	s_or_b64 exec, exec, s[6:7]
.LBB56_1027:
	s_or_b64 exec, exec, s[4:5]
	v_mov_b32_e32 v120, 0
	ds_read_b64 v[120:121], v120 offset:384
	s_waitcnt lgkmcnt(0)
	v_mul_f64 v[118:119], v[118:119], v[120:121]
	scratch_store_dwordx2 off, v[118:119], off offset:384
.LBB56_1028:
	s_or_b64 exec, exec, s[2:3]
	scratch_load_dwordx2 v[118:119], off, off offset:392
	v_cmp_gt_u32_e32 vcc, 49, v0
	s_waitcnt vmcnt(0)
	ds_write_b64 v1, v[118:119]
	s_waitcnt lgkmcnt(0)
	; wave barrier
	s_and_saveexec_b64 s[2:3], vcc
	s_cbranch_execz .LBB56_1038
; %bb.1029:
	s_and_b64 vcc, exec, s[0:1]
	s_cbranch_vccnz .LBB56_1031
; %bb.1030:
	scratch_load_dwordx2 v[118:119], v11, off
	ds_read_b64 v[120:121], v1
	s_waitcnt vmcnt(0) lgkmcnt(0)
	v_mul_f64 v[118:119], v[118:119], v[120:121]
	s_cbranch_execz .LBB56_1032
	s_branch .LBB56_1033
.LBB56_1031:
                                        ; implicit-def: $vgpr118_vgpr119
.LBB56_1032:
	ds_read_b64 v[118:119], v1
.LBB56_1033:
	v_cmp_ne_u32_e32 vcc, 48, v0
	s_and_saveexec_b64 s[4:5], vcc
	s_cbranch_execz .LBB56_1037
; %bb.1034:
	s_mov_b32 s6, 0
	v_add_u32_e32 v120, 0x1d8, v10
	v_add3_u32 v121, v10, s6, 8
	s_mov_b64 s[6:7], 0
	v_mov_b32_e32 v122, v0
.LBB56_1035:                            ; =>This Inner Loop Header: Depth=1
	scratch_load_dwordx2 v[124:125], v121, off
	ds_read_b64 v[126:127], v120
	v_add_u32_e32 v122, 1, v122
	v_cmp_lt_u32_e32 vcc, 47, v122
	v_add_u32_e32 v120, 8, v120
	v_add_u32_e32 v121, 8, v121
	s_or_b64 s[6:7], vcc, s[6:7]
	s_waitcnt vmcnt(0) lgkmcnt(0)
	v_fmac_f64_e32 v[118:119], v[124:125], v[126:127]
	s_andn2_b64 exec, exec, s[6:7]
	s_cbranch_execnz .LBB56_1035
; %bb.1036:
	s_or_b64 exec, exec, s[6:7]
.LBB56_1037:
	s_or_b64 exec, exec, s[4:5]
	v_mov_b32_e32 v120, 0
	ds_read_b64 v[120:121], v120 offset:392
	s_waitcnt lgkmcnt(0)
	v_mul_f64 v[118:119], v[118:119], v[120:121]
	scratch_store_dwordx2 off, v[118:119], off offset:392
.LBB56_1038:
	s_or_b64 exec, exec, s[2:3]
	scratch_load_dwordx2 v[118:119], off, off offset:400
	v_cmp_gt_u32_e32 vcc, 50, v0
	s_waitcnt vmcnt(0)
	ds_write_b64 v1, v[118:119]
	s_waitcnt lgkmcnt(0)
	; wave barrier
	s_and_saveexec_b64 s[2:3], vcc
	s_cbranch_execz .LBB56_1048
; %bb.1039:
	s_and_b64 vcc, exec, s[0:1]
	s_cbranch_vccnz .LBB56_1041
; %bb.1040:
	scratch_load_dwordx2 v[118:119], v11, off
	ds_read_b64 v[120:121], v1
	s_waitcnt vmcnt(0) lgkmcnt(0)
	v_mul_f64 v[118:119], v[118:119], v[120:121]
	s_cbranch_execz .LBB56_1042
	s_branch .LBB56_1043
.LBB56_1041:
                                        ; implicit-def: $vgpr118_vgpr119
.LBB56_1042:
	ds_read_b64 v[118:119], v1
.LBB56_1043:
	v_cmp_ne_u32_e32 vcc, 49, v0
	s_and_saveexec_b64 s[4:5], vcc
	s_cbranch_execz .LBB56_1047
; %bb.1044:
	s_mov_b32 s6, 0
	v_add_u32_e32 v120, 0x1d8, v10
	v_add3_u32 v121, v10, s6, 8
	s_mov_b64 s[6:7], 0
	v_mov_b32_e32 v122, v0
.LBB56_1045:                            ; =>This Inner Loop Header: Depth=1
	scratch_load_dwordx2 v[124:125], v121, off
	ds_read_b64 v[126:127], v120
	v_add_u32_e32 v122, 1, v122
	v_cmp_lt_u32_e32 vcc, 48, v122
	v_add_u32_e32 v120, 8, v120
	v_add_u32_e32 v121, 8, v121
	s_or_b64 s[6:7], vcc, s[6:7]
	s_waitcnt vmcnt(0) lgkmcnt(0)
	v_fmac_f64_e32 v[118:119], v[124:125], v[126:127]
	s_andn2_b64 exec, exec, s[6:7]
	s_cbranch_execnz .LBB56_1045
; %bb.1046:
	s_or_b64 exec, exec, s[6:7]
.LBB56_1047:
	s_or_b64 exec, exec, s[4:5]
	v_mov_b32_e32 v120, 0
	ds_read_b64 v[120:121], v120 offset:400
	s_waitcnt lgkmcnt(0)
	v_mul_f64 v[118:119], v[118:119], v[120:121]
	scratch_store_dwordx2 off, v[118:119], off offset:400
.LBB56_1048:
	s_or_b64 exec, exec, s[2:3]
	scratch_load_dwordx2 v[118:119], off, off offset:408
	v_cmp_gt_u32_e32 vcc, 51, v0
	s_waitcnt vmcnt(0)
	ds_write_b64 v1, v[118:119]
	s_waitcnt lgkmcnt(0)
	; wave barrier
	s_and_saveexec_b64 s[2:3], vcc
	s_cbranch_execz .LBB56_1058
; %bb.1049:
	s_and_b64 vcc, exec, s[0:1]
	s_cbranch_vccnz .LBB56_1051
; %bb.1050:
	scratch_load_dwordx2 v[118:119], v11, off
	ds_read_b64 v[120:121], v1
	s_waitcnt vmcnt(0) lgkmcnt(0)
	v_mul_f64 v[118:119], v[118:119], v[120:121]
	s_cbranch_execz .LBB56_1052
	s_branch .LBB56_1053
.LBB56_1051:
                                        ; implicit-def: $vgpr118_vgpr119
.LBB56_1052:
	ds_read_b64 v[118:119], v1
.LBB56_1053:
	v_cmp_ne_u32_e32 vcc, 50, v0
	s_and_saveexec_b64 s[4:5], vcc
	s_cbranch_execz .LBB56_1057
; %bb.1054:
	s_mov_b32 s6, 0
	v_add_u32_e32 v120, 0x1d8, v10
	v_add3_u32 v121, v10, s6, 8
	s_mov_b64 s[6:7], 0
	v_mov_b32_e32 v122, v0
.LBB56_1055:                            ; =>This Inner Loop Header: Depth=1
	scratch_load_dwordx2 v[124:125], v121, off
	ds_read_b64 v[126:127], v120
	v_add_u32_e32 v122, 1, v122
	v_cmp_lt_u32_e32 vcc, 49, v122
	v_add_u32_e32 v120, 8, v120
	v_add_u32_e32 v121, 8, v121
	s_or_b64 s[6:7], vcc, s[6:7]
	s_waitcnt vmcnt(0) lgkmcnt(0)
	v_fmac_f64_e32 v[118:119], v[124:125], v[126:127]
	s_andn2_b64 exec, exec, s[6:7]
	s_cbranch_execnz .LBB56_1055
; %bb.1056:
	s_or_b64 exec, exec, s[6:7]
.LBB56_1057:
	s_or_b64 exec, exec, s[4:5]
	v_mov_b32_e32 v120, 0
	ds_read_b64 v[120:121], v120 offset:408
	s_waitcnt lgkmcnt(0)
	v_mul_f64 v[118:119], v[118:119], v[120:121]
	scratch_store_dwordx2 off, v[118:119], off offset:408
.LBB56_1058:
	s_or_b64 exec, exec, s[2:3]
	scratch_load_dwordx2 v[118:119], off, off offset:416
	v_cmp_gt_u32_e32 vcc, 52, v0
	s_waitcnt vmcnt(0)
	ds_write_b64 v1, v[118:119]
	s_waitcnt lgkmcnt(0)
	; wave barrier
	s_and_saveexec_b64 s[2:3], vcc
	s_cbranch_execz .LBB56_1068
; %bb.1059:
	s_and_b64 vcc, exec, s[0:1]
	s_cbranch_vccnz .LBB56_1061
; %bb.1060:
	scratch_load_dwordx2 v[118:119], v11, off
	ds_read_b64 v[120:121], v1
	s_waitcnt vmcnt(0) lgkmcnt(0)
	v_mul_f64 v[118:119], v[118:119], v[120:121]
	s_cbranch_execz .LBB56_1062
	s_branch .LBB56_1063
.LBB56_1061:
                                        ; implicit-def: $vgpr118_vgpr119
.LBB56_1062:
	ds_read_b64 v[118:119], v1
.LBB56_1063:
	v_cmp_ne_u32_e32 vcc, 51, v0
	s_and_saveexec_b64 s[4:5], vcc
	s_cbranch_execz .LBB56_1067
; %bb.1064:
	s_mov_b32 s6, 0
	v_add_u32_e32 v120, 0x1d8, v10
	v_add3_u32 v121, v10, s6, 8
	s_mov_b64 s[6:7], 0
	v_mov_b32_e32 v122, v0
.LBB56_1065:                            ; =>This Inner Loop Header: Depth=1
	scratch_load_dwordx2 v[124:125], v121, off
	ds_read_b64 v[126:127], v120
	v_add_u32_e32 v122, 1, v122
	v_cmp_lt_u32_e32 vcc, 50, v122
	v_add_u32_e32 v120, 8, v120
	v_add_u32_e32 v121, 8, v121
	s_or_b64 s[6:7], vcc, s[6:7]
	s_waitcnt vmcnt(0) lgkmcnt(0)
	v_fmac_f64_e32 v[118:119], v[124:125], v[126:127]
	s_andn2_b64 exec, exec, s[6:7]
	s_cbranch_execnz .LBB56_1065
; %bb.1066:
	s_or_b64 exec, exec, s[6:7]
.LBB56_1067:
	s_or_b64 exec, exec, s[4:5]
	v_mov_b32_e32 v120, 0
	ds_read_b64 v[120:121], v120 offset:416
	s_waitcnt lgkmcnt(0)
	v_mul_f64 v[118:119], v[118:119], v[120:121]
	scratch_store_dwordx2 off, v[118:119], off offset:416
.LBB56_1068:
	s_or_b64 exec, exec, s[2:3]
	scratch_load_dwordx2 v[118:119], off, off offset:424
	v_cmp_gt_u32_e32 vcc, 53, v0
	s_waitcnt vmcnt(0)
	ds_write_b64 v1, v[118:119]
	s_waitcnt lgkmcnt(0)
	; wave barrier
	s_and_saveexec_b64 s[2:3], vcc
	s_cbranch_execz .LBB56_1078
; %bb.1069:
	s_and_b64 vcc, exec, s[0:1]
	s_cbranch_vccnz .LBB56_1071
; %bb.1070:
	scratch_load_dwordx2 v[118:119], v11, off
	ds_read_b64 v[120:121], v1
	s_waitcnt vmcnt(0) lgkmcnt(0)
	v_mul_f64 v[118:119], v[118:119], v[120:121]
	s_cbranch_execz .LBB56_1072
	s_branch .LBB56_1073
.LBB56_1071:
                                        ; implicit-def: $vgpr118_vgpr119
.LBB56_1072:
	ds_read_b64 v[118:119], v1
.LBB56_1073:
	v_cmp_ne_u32_e32 vcc, 52, v0
	s_and_saveexec_b64 s[4:5], vcc
	s_cbranch_execz .LBB56_1077
; %bb.1074:
	s_mov_b32 s6, 0
	v_add_u32_e32 v120, 0x1d8, v10
	v_add3_u32 v121, v10, s6, 8
	s_mov_b64 s[6:7], 0
	v_mov_b32_e32 v122, v0
.LBB56_1075:                            ; =>This Inner Loop Header: Depth=1
	scratch_load_dwordx2 v[124:125], v121, off
	ds_read_b64 v[126:127], v120
	v_add_u32_e32 v122, 1, v122
	v_cmp_lt_u32_e32 vcc, 51, v122
	v_add_u32_e32 v120, 8, v120
	v_add_u32_e32 v121, 8, v121
	s_or_b64 s[6:7], vcc, s[6:7]
	s_waitcnt vmcnt(0) lgkmcnt(0)
	v_fmac_f64_e32 v[118:119], v[124:125], v[126:127]
	s_andn2_b64 exec, exec, s[6:7]
	s_cbranch_execnz .LBB56_1075
; %bb.1076:
	s_or_b64 exec, exec, s[6:7]
.LBB56_1077:
	s_or_b64 exec, exec, s[4:5]
	v_mov_b32_e32 v120, 0
	ds_read_b64 v[120:121], v120 offset:424
	s_waitcnt lgkmcnt(0)
	v_mul_f64 v[118:119], v[118:119], v[120:121]
	scratch_store_dwordx2 off, v[118:119], off offset:424
.LBB56_1078:
	s_or_b64 exec, exec, s[2:3]
	scratch_load_dwordx2 v[118:119], off, off offset:432
	v_cmp_gt_u32_e32 vcc, 54, v0
	s_waitcnt vmcnt(0)
	ds_write_b64 v1, v[118:119]
	s_waitcnt lgkmcnt(0)
	; wave barrier
	s_and_saveexec_b64 s[2:3], vcc
	s_cbranch_execz .LBB56_1088
; %bb.1079:
	s_and_b64 vcc, exec, s[0:1]
	s_cbranch_vccnz .LBB56_1081
; %bb.1080:
	scratch_load_dwordx2 v[118:119], v11, off
	ds_read_b64 v[120:121], v1
	s_waitcnt vmcnt(0) lgkmcnt(0)
	v_mul_f64 v[118:119], v[118:119], v[120:121]
	s_cbranch_execz .LBB56_1082
	s_branch .LBB56_1083
.LBB56_1081:
                                        ; implicit-def: $vgpr118_vgpr119
.LBB56_1082:
	ds_read_b64 v[118:119], v1
.LBB56_1083:
	v_cmp_ne_u32_e32 vcc, 53, v0
	s_and_saveexec_b64 s[4:5], vcc
	s_cbranch_execz .LBB56_1087
; %bb.1084:
	s_mov_b32 s6, 0
	v_add_u32_e32 v120, 0x1d8, v10
	v_add3_u32 v121, v10, s6, 8
	s_mov_b64 s[6:7], 0
	v_mov_b32_e32 v122, v0
.LBB56_1085:                            ; =>This Inner Loop Header: Depth=1
	scratch_load_dwordx2 v[124:125], v121, off
	ds_read_b64 v[126:127], v120
	v_add_u32_e32 v122, 1, v122
	v_cmp_lt_u32_e32 vcc, 52, v122
	v_add_u32_e32 v120, 8, v120
	v_add_u32_e32 v121, 8, v121
	s_or_b64 s[6:7], vcc, s[6:7]
	s_waitcnt vmcnt(0) lgkmcnt(0)
	v_fmac_f64_e32 v[118:119], v[124:125], v[126:127]
	s_andn2_b64 exec, exec, s[6:7]
	s_cbranch_execnz .LBB56_1085
; %bb.1086:
	s_or_b64 exec, exec, s[6:7]
.LBB56_1087:
	s_or_b64 exec, exec, s[4:5]
	v_mov_b32_e32 v120, 0
	ds_read_b64 v[120:121], v120 offset:432
	s_waitcnt lgkmcnt(0)
	v_mul_f64 v[118:119], v[118:119], v[120:121]
	scratch_store_dwordx2 off, v[118:119], off offset:432
.LBB56_1088:
	s_or_b64 exec, exec, s[2:3]
	scratch_load_dwordx2 v[118:119], off, off offset:440
	v_cmp_gt_u32_e64 s[2:3], 55, v0
	s_waitcnt vmcnt(0)
	ds_write_b64 v1, v[118:119]
	s_waitcnt lgkmcnt(0)
	; wave barrier
	s_and_saveexec_b64 s[4:5], s[2:3]
	s_cbranch_execz .LBB56_1098
; %bb.1089:
	s_and_b64 vcc, exec, s[0:1]
	s_cbranch_vccnz .LBB56_1091
; %bb.1090:
	scratch_load_dwordx2 v[118:119], v11, off
	ds_read_b64 v[120:121], v1
	s_waitcnt vmcnt(0) lgkmcnt(0)
	v_mul_f64 v[118:119], v[118:119], v[120:121]
	s_cbranch_execz .LBB56_1092
	s_branch .LBB56_1093
.LBB56_1091:
                                        ; implicit-def: $vgpr118_vgpr119
.LBB56_1092:
	ds_read_b64 v[118:119], v1
.LBB56_1093:
	v_cmp_ne_u32_e32 vcc, 54, v0
	s_and_saveexec_b64 s[6:7], vcc
	s_cbranch_execz .LBB56_1097
; %bb.1094:
	s_mov_b32 s8, 0
	v_add_u32_e32 v120, 0x1d8, v10
	v_add3_u32 v121, v10, s8, 8
	s_mov_b64 s[8:9], 0
	v_mov_b32_e32 v122, v0
.LBB56_1095:                            ; =>This Inner Loop Header: Depth=1
	scratch_load_dwordx2 v[124:125], v121, off
	ds_read_b64 v[126:127], v120
	v_add_u32_e32 v122, 1, v122
	v_cmp_lt_u32_e32 vcc, 53, v122
	v_add_u32_e32 v120, 8, v120
	v_add_u32_e32 v121, 8, v121
	s_or_b64 s[8:9], vcc, s[8:9]
	s_waitcnt vmcnt(0) lgkmcnt(0)
	v_fmac_f64_e32 v[118:119], v[124:125], v[126:127]
	s_andn2_b64 exec, exec, s[8:9]
	s_cbranch_execnz .LBB56_1095
; %bb.1096:
	s_or_b64 exec, exec, s[8:9]
.LBB56_1097:
	s_or_b64 exec, exec, s[6:7]
	v_mov_b32_e32 v120, 0
	ds_read_b64 v[120:121], v120 offset:440
	s_waitcnt lgkmcnt(0)
	v_mul_f64 v[118:119], v[118:119], v[120:121]
	scratch_store_dwordx2 off, v[118:119], off offset:440
.LBB56_1098:
	s_or_b64 exec, exec, s[4:5]
	scratch_load_dwordx2 v[118:119], off, off offset:448
	v_cmp_ne_u32_e32 vcc, 56, v0
	s_waitcnt vmcnt(0)
	ds_write_b64 v1, v[118:119]
	s_waitcnt lgkmcnt(0)
	; wave barrier
	s_and_saveexec_b64 s[4:5], vcc
	s_cbranch_execz .LBB56_1108
; %bb.1099:
	s_and_b64 vcc, exec, s[0:1]
	s_cbranch_vccnz .LBB56_1101
; %bb.1100:
	scratch_load_dwordx2 v[118:119], v11, off
	ds_read_b64 v[120:121], v1
	s_waitcnt vmcnt(0) lgkmcnt(0)
	v_mul_f64 v[118:119], v[118:119], v[120:121]
	s_cbranch_execz .LBB56_1102
	s_branch .LBB56_1103
.LBB56_1101:
                                        ; implicit-def: $vgpr118_vgpr119
.LBB56_1102:
	ds_read_b64 v[118:119], v1
.LBB56_1103:
	s_and_saveexec_b64 s[0:1], s[2:3]
	s_cbranch_execz .LBB56_1107
; %bb.1104:
	s_mov_b32 s2, 0
	v_add_u32_e32 v1, 0x1d8, v10
	v_add3_u32 v10, v10, s2, 8
	s_mov_b64 s[2:3], 0
.LBB56_1105:                            ; =>This Inner Loop Header: Depth=1
	scratch_load_dwordx2 v[120:121], v10, off
	ds_read_b64 v[122:123], v1
	v_add_u32_e32 v0, 1, v0
	v_cmp_lt_u32_e32 vcc, 54, v0
	v_add_u32_e32 v1, 8, v1
	v_add_u32_e32 v10, 8, v10
	s_or_b64 s[2:3], vcc, s[2:3]
	s_waitcnt vmcnt(0) lgkmcnt(0)
	v_fmac_f64_e32 v[118:119], v[120:121], v[122:123]
	s_andn2_b64 exec, exec, s[2:3]
	s_cbranch_execnz .LBB56_1105
; %bb.1106:
	s_or_b64 exec, exec, s[2:3]
.LBB56_1107:
	s_or_b64 exec, exec, s[0:1]
	v_mov_b32_e32 v0, 0
	ds_read_b64 v[0:1], v0 offset:448
	s_waitcnt lgkmcnt(0)
	v_mul_f64 v[0:1], v[118:119], v[0:1]
	scratch_store_dwordx2 off, v[0:1], off offset:448
.LBB56_1108:
	s_or_b64 exec, exec, s[4:5]
.LBB56_1109:
	scratch_load_dwordx4 v[118:121], off, off
	s_waitcnt vmcnt(0)
	global_store_dwordx2 v[2:3], v[118:119], off
	global_store_dwordx2 v[4:5], v[120:121], off
	scratch_load_dwordx4 v[0:3], off, off offset:16
	s_waitcnt vmcnt(0)
	global_store_dwordx2 v[6:7], v[0:1], off
	global_store_dwordx2 v[8:9], v[2:3], off
	scratch_load_dwordx4 v[0:3], off, off offset:32
	;; [unrolled: 4-line block ×27, first 2 shown]
	s_waitcnt vmcnt(0)
	global_store_dwordx2 v[114:115], v[0:1], off
	global_store_dwordx2 v[116:117], v[2:3], off
	scratch_load_dwordx2 v[0:1], off, off offset:448
	s_waitcnt vmcnt(0)
	global_store_dwordx2 v[108:109], v[0:1], off
.LBB56_1110:
	s_endpgm
	.section	.rodata,"a",@progbits
	.p2align	6, 0x0
	.amdhsa_kernel _ZN9rocsolver6v33100L18trti2_kernel_smallILi57EdPdEEv13rocblas_fill_17rocblas_diagonal_T1_iil
		.amdhsa_group_segment_fixed_size 920
		.amdhsa_private_segment_fixed_size 464
		.amdhsa_kernarg_size 32
		.amdhsa_user_sgpr_count 2
		.amdhsa_user_sgpr_dispatch_ptr 0
		.amdhsa_user_sgpr_queue_ptr 0
		.amdhsa_user_sgpr_kernarg_segment_ptr 1
		.amdhsa_user_sgpr_dispatch_id 0
		.amdhsa_user_sgpr_kernarg_preload_length 0
		.amdhsa_user_sgpr_kernarg_preload_offset 0
		.amdhsa_user_sgpr_private_segment_size 0
		.amdhsa_uses_dynamic_stack 0
		.amdhsa_enable_private_segment 1
		.amdhsa_system_sgpr_workgroup_id_x 1
		.amdhsa_system_sgpr_workgroup_id_y 0
		.amdhsa_system_sgpr_workgroup_id_z 0
		.amdhsa_system_sgpr_workgroup_info 0
		.amdhsa_system_vgpr_workitem_id 0
		.amdhsa_next_free_vgpr 128
		.amdhsa_next_free_sgpr 39
		.amdhsa_accum_offset 128
		.amdhsa_reserve_vcc 1
		.amdhsa_float_round_mode_32 0
		.amdhsa_float_round_mode_16_64 0
		.amdhsa_float_denorm_mode_32 3
		.amdhsa_float_denorm_mode_16_64 3
		.amdhsa_dx10_clamp 1
		.amdhsa_ieee_mode 1
		.amdhsa_fp16_overflow 0
		.amdhsa_tg_split 0
		.amdhsa_exception_fp_ieee_invalid_op 0
		.amdhsa_exception_fp_denorm_src 0
		.amdhsa_exception_fp_ieee_div_zero 0
		.amdhsa_exception_fp_ieee_overflow 0
		.amdhsa_exception_fp_ieee_underflow 0
		.amdhsa_exception_fp_ieee_inexact 0
		.amdhsa_exception_int_div_zero 0
	.end_amdhsa_kernel
	.section	.text._ZN9rocsolver6v33100L18trti2_kernel_smallILi57EdPdEEv13rocblas_fill_17rocblas_diagonal_T1_iil,"axG",@progbits,_ZN9rocsolver6v33100L18trti2_kernel_smallILi57EdPdEEv13rocblas_fill_17rocblas_diagonal_T1_iil,comdat
.Lfunc_end56:
	.size	_ZN9rocsolver6v33100L18trti2_kernel_smallILi57EdPdEEv13rocblas_fill_17rocblas_diagonal_T1_iil, .Lfunc_end56-_ZN9rocsolver6v33100L18trti2_kernel_smallILi57EdPdEEv13rocblas_fill_17rocblas_diagonal_T1_iil
                                        ; -- End function
	.set _ZN9rocsolver6v33100L18trti2_kernel_smallILi57EdPdEEv13rocblas_fill_17rocblas_diagonal_T1_iil.num_vgpr, 128
	.set _ZN9rocsolver6v33100L18trti2_kernel_smallILi57EdPdEEv13rocblas_fill_17rocblas_diagonal_T1_iil.num_agpr, 0
	.set _ZN9rocsolver6v33100L18trti2_kernel_smallILi57EdPdEEv13rocblas_fill_17rocblas_diagonal_T1_iil.numbered_sgpr, 39
	.set _ZN9rocsolver6v33100L18trti2_kernel_smallILi57EdPdEEv13rocblas_fill_17rocblas_diagonal_T1_iil.num_named_barrier, 0
	.set _ZN9rocsolver6v33100L18trti2_kernel_smallILi57EdPdEEv13rocblas_fill_17rocblas_diagonal_T1_iil.private_seg_size, 464
	.set _ZN9rocsolver6v33100L18trti2_kernel_smallILi57EdPdEEv13rocblas_fill_17rocblas_diagonal_T1_iil.uses_vcc, 1
	.set _ZN9rocsolver6v33100L18trti2_kernel_smallILi57EdPdEEv13rocblas_fill_17rocblas_diagonal_T1_iil.uses_flat_scratch, 0
	.set _ZN9rocsolver6v33100L18trti2_kernel_smallILi57EdPdEEv13rocblas_fill_17rocblas_diagonal_T1_iil.has_dyn_sized_stack, 0
	.set _ZN9rocsolver6v33100L18trti2_kernel_smallILi57EdPdEEv13rocblas_fill_17rocblas_diagonal_T1_iil.has_recursion, 0
	.set _ZN9rocsolver6v33100L18trti2_kernel_smallILi57EdPdEEv13rocblas_fill_17rocblas_diagonal_T1_iil.has_indirect_call, 0
	.section	.AMDGPU.csdata,"",@progbits
; Kernel info:
; codeLenInByte = 27224
; TotalNumSgprs: 45
; NumVgprs: 128
; NumAgprs: 0
; TotalNumVgprs: 128
; ScratchSize: 464
; MemoryBound: 0
; FloatMode: 240
; IeeeMode: 1
; LDSByteSize: 920 bytes/workgroup (compile time only)
; SGPRBlocks: 5
; VGPRBlocks: 15
; NumSGPRsForWavesPerEU: 45
; NumVGPRsForWavesPerEU: 128
; AccumOffset: 128
; Occupancy: 4
; WaveLimiterHint : 0
; COMPUTE_PGM_RSRC2:SCRATCH_EN: 1
; COMPUTE_PGM_RSRC2:USER_SGPR: 2
; COMPUTE_PGM_RSRC2:TRAP_HANDLER: 0
; COMPUTE_PGM_RSRC2:TGID_X_EN: 1
; COMPUTE_PGM_RSRC2:TGID_Y_EN: 0
; COMPUTE_PGM_RSRC2:TGID_Z_EN: 0
; COMPUTE_PGM_RSRC2:TIDIG_COMP_CNT: 0
; COMPUTE_PGM_RSRC3_GFX90A:ACCUM_OFFSET: 31
; COMPUTE_PGM_RSRC3_GFX90A:TG_SPLIT: 0
	.section	.text._ZN9rocsolver6v33100L18trti2_kernel_smallILi58EdPdEEv13rocblas_fill_17rocblas_diagonal_T1_iil,"axG",@progbits,_ZN9rocsolver6v33100L18trti2_kernel_smallILi58EdPdEEv13rocblas_fill_17rocblas_diagonal_T1_iil,comdat
	.globl	_ZN9rocsolver6v33100L18trti2_kernel_smallILi58EdPdEEv13rocblas_fill_17rocblas_diagonal_T1_iil ; -- Begin function _ZN9rocsolver6v33100L18trti2_kernel_smallILi58EdPdEEv13rocblas_fill_17rocblas_diagonal_T1_iil
	.p2align	8
	.type	_ZN9rocsolver6v33100L18trti2_kernel_smallILi58EdPdEEv13rocblas_fill_17rocblas_diagonal_T1_iil,@function
_ZN9rocsolver6v33100L18trti2_kernel_smallILi58EdPdEEv13rocblas_fill_17rocblas_diagonal_T1_iil: ; @_ZN9rocsolver6v33100L18trti2_kernel_smallILi58EdPdEEv13rocblas_fill_17rocblas_diagonal_T1_iil
; %bb.0:
	v_cmp_gt_u32_e32 vcc, 58, v0
	s_and_saveexec_b64 s[4:5], vcc
	s_cbranch_execz .LBB57_1130
; %bb.1:
	s_load_dwordx8 s[4:11], s[0:1], 0x0
	s_ashr_i32 s3, s2, 31
	v_lshlrev_b32_e32 v16, 3, v0
	v_mov_b32_e32 v17, 0
	s_waitcnt lgkmcnt(0)
	s_ashr_i32 s1, s8, 31
	s_mov_b32 s0, s8
	s_mul_hi_u32 s8, s10, s2
	s_mul_i32 s3, s10, s3
	s_add_i32 s3, s8, s3
	s_mul_i32 s8, s11, s2
	s_add_i32 s3, s3, s8
	s_mul_i32 s2, s10, s2
	s_lshl_b64 s[2:3], s[2:3], 3
	s_add_u32 s2, s6, s2
	s_addc_u32 s3, s7, s3
	s_lshl_b64 s[0:1], s[0:1], 3
	s_add_u32 s0, s2, s0
	s_addc_u32 s1, s3, s1
	v_lshl_add_u64 v[2:3], s[0:1], 0, v[16:17]
	s_ashr_i32 s3, s9, 31
	s_mov_b32 s2, s9
	v_lshl_add_u64 v[4:5], s[2:3], 3, v[2:3]
	global_load_dwordx2 v[6:7], v16, s[0:1]
	global_load_dwordx2 v[8:9], v[4:5], off
	s_add_i32 s2, s9, s9
	s_cmpk_lg_i32 s5, 0x84
	s_cselect_b64 s[6:7], -1, 0
	s_cmpk_eq_i32 s5, 0x84
	s_waitcnt vmcnt(0)
	scratch_store_dwordx4 off, v[6:9], off
	s_nop 1
	v_add_u32_e32 v8, s2, v0
	v_add_u32_e32 v10, s9, v8
	v_ashrrev_i32_e32 v9, 31, v8
	v_ashrrev_i32_e32 v11, 31, v10
	v_lshl_add_u64 v[6:7], v[8:9], 3, s[0:1]
	v_lshl_add_u64 v[8:9], v[10:11], 3, s[0:1]
	global_load_dwordx2 v[12:13], v[6:7], off
	global_load_dwordx2 v[14:15], v[8:9], off
	s_waitcnt vmcnt(0)
	scratch_store_dwordx4 off, v[12:15], off offset:16
	s_nop 1
	v_add_u32_e32 v12, s9, v10
	v_add_u32_e32 v14, s9, v12
	v_ashrrev_i32_e32 v13, 31, v12
	v_ashrrev_i32_e32 v15, 31, v14
	v_lshl_add_u64 v[10:11], v[12:13], 3, s[0:1]
	v_lshl_add_u64 v[12:13], v[14:15], 3, s[0:1]
	global_load_dwordx2 v[18:19], v[10:11], off
	global_load_dwordx2 v[20:21], v[12:13], off
	s_waitcnt vmcnt(0)
	scratch_store_dwordx4 off, v[18:21], off offset:32
	;; [unrolled: 11-line block ×22, first 2 shown]
	s_nop 1
	v_add_u32_e32 v98, s9, v96
	v_ashrrev_i32_e32 v99, 31, v98
	v_lshl_add_u64 v[96:97], v[98:99], 3, s[0:1]
	v_add_u32_e32 v98, s9, v98
	v_ashrrev_i32_e32 v99, 31, v98
	v_lshl_add_u64 v[100:101], v[98:99], 3, s[0:1]
	global_load_dwordx2 v[102:103], v[96:97], off
	global_load_dwordx2 v[104:105], v[100:101], off
	v_add_u32_e32 v98, s9, v98
	v_ashrrev_i32_e32 v99, 31, v98
	s_waitcnt vmcnt(0)
	scratch_store_dwordx4 off, v[102:105], off offset:368
	s_nop 1
	v_lshl_add_u64 v[102:103], v[98:99], 3, s[0:1]
	v_add_u32_e32 v98, s9, v98
	v_ashrrev_i32_e32 v99, 31, v98
	v_lshl_add_u64 v[106:107], v[98:99], 3, s[0:1]
	global_load_dwordx2 v[108:109], v[102:103], off
	global_load_dwordx2 v[110:111], v[106:107], off
	v_add_u32_e32 v98, s9, v98
	v_ashrrev_i32_e32 v99, 31, v98
	s_waitcnt vmcnt(0)
	scratch_store_dwordx4 off, v[108:111], off offset:384
	s_nop 1
	v_lshl_add_u64 v[108:109], v[98:99], 3, s[0:1]
	v_add_u32_e32 v98, s9, v98
	v_ashrrev_i32_e32 v99, 31, v98
	v_lshl_add_u64 v[110:111], v[98:99], 3, s[0:1]
	global_load_dwordx2 v[112:113], v[108:109], off
	global_load_dwordx2 v[114:115], v[110:111], off
	v_add_u32_e32 v98, s9, v98
	v_ashrrev_i32_e32 v99, 31, v98
	s_waitcnt vmcnt(0)
	scratch_store_dwordx4 off, v[112:115], off offset:400
	s_nop 1
	v_lshl_add_u64 v[112:113], v[98:99], 3, s[0:1]
	v_add_u32_e32 v98, s9, v98
	v_ashrrev_i32_e32 v99, 31, v98
	v_lshl_add_u64 v[114:115], v[98:99], 3, s[0:1]
	global_load_dwordx2 v[116:117], v[112:113], off
	global_load_dwordx2 v[118:119], v[114:115], off
	v_add_u32_e32 v98, s9, v98
	v_ashrrev_i32_e32 v99, 31, v98
	s_waitcnt vmcnt(0)
	scratch_store_dwordx4 off, v[116:119], off offset:416
	s_nop 1
	v_lshl_add_u64 v[116:117], v[98:99], 3, s[0:1]
	v_add_u32_e32 v98, s9, v98
	v_ashrrev_i32_e32 v99, 31, v98
	v_lshl_add_u64 v[118:119], v[98:99], 3, s[0:1]
	global_load_dwordx2 v[120:121], v[116:117], off
	global_load_dwordx2 v[122:123], v[118:119], off
	v_add_u32_e32 v104, s9, v98
	v_ashrrev_i32_e32 v105, 31, v104
	v_lshl_add_u64 v[98:99], v[104:105], 3, s[0:1]
	v_add_u32_e32 v104, s9, v104
	v_ashrrev_i32_e32 v105, 31, v104
	v_lshl_add_u64 v[104:105], v[104:105], 3, s[0:1]
	s_waitcnt vmcnt(0)
	scratch_store_dwordx4 off, v[120:123], off offset:432
	global_load_dwordx2 v[120:121], v[98:99], off
	s_nop 0
	global_load_dwordx2 v[122:123], v[104:105], off
	s_waitcnt vmcnt(0)
	scratch_store_dwordx4 off, v[120:123], off offset:448
	s_nop 1
	v_mov_b64_e32 v[120:121], -1.0
	s_cbranch_scc1 .LBB57_3
; %bb.2:
	scratch_load_dwordx2 v[120:121], v16, off
	s_waitcnt vmcnt(0)
	v_div_scale_f64 v[122:123], s[0:1], v[120:121], v[120:121], 1.0
	v_rcp_f64_e32 v[124:125], v[122:123]
	v_div_scale_f64 v[126:127], vcc, 1.0, v[120:121], 1.0
	v_fma_f64 v[128:129], -v[122:123], v[124:125], 1.0
	v_fmac_f64_e32 v[124:125], v[124:125], v[128:129]
	v_fma_f64 v[128:129], -v[122:123], v[124:125], 1.0
	v_fmac_f64_e32 v[124:125], v[124:125], v[128:129]
	v_mul_f64 v[128:129], v[126:127], v[124:125]
	v_fma_f64 v[122:123], -v[122:123], v[128:129], v[126:127]
	v_div_fmas_f64 v[122:123], v[122:123], v[124:125], v[128:129]
	v_div_fixup_f64 v[120:121], v[122:123], v[120:121], 1.0
	scratch_store_dwordx2 v16, v[120:121], off
	v_xor_b32_e32 v121, 0x80000000, v121
.LBB57_3:
	s_cmpk_eq_i32 s4, 0x79
	v_add_u32_e32 v1, 0x1d0, v16
	v_mov_b32_e32 v17, v16
	s_mov_b64 s[0:1], -1
	ds_write_b64 v16, v[120:121]
	s_cbranch_scc1 .LBB57_567
; %bb.4:
	scratch_load_dwordx2 v[120:121], off, off offset:448
	s_movk_i32 s8, 0x50
	s_movk_i32 s9, 0x60
	;; [unrolled: 1-line block ×23, first 2 shown]
	v_cmp_eq_u32_e64 s[0:1], 57, v0
	s_waitcnt vmcnt(0)
	ds_write_b64 v1, v[120:121]
	s_waitcnt lgkmcnt(0)
	; wave barrier
	s_and_saveexec_b64 s[2:3], s[0:1]
	s_cbranch_execz .LBB57_10
; %bb.5:
	s_and_b64 vcc, exec, s[6:7]
	s_cbranch_vccz .LBB57_7
; %bb.6:
	scratch_load_dwordx2 v[120:121], v17, off
	ds_read_b64 v[122:123], v1
	s_waitcnt vmcnt(0) lgkmcnt(0)
	v_mul_f64 v[120:121], v[120:121], v[122:123]
	s_cbranch_execz .LBB57_8
	s_branch .LBB57_9
.LBB57_7:
                                        ; implicit-def: $vgpr120_vgpr121
.LBB57_8:
	ds_read_b64 v[120:121], v1
.LBB57_9:
	v_mov_b32_e32 v122, 0
	ds_read_b64 v[122:123], v122 offset:448
	s_waitcnt lgkmcnt(0)
	v_mul_f64 v[120:121], v[120:121], v[122:123]
	scratch_store_dwordx2 off, v[120:121], off offset:448
.LBB57_10:
	s_or_b64 exec, exec, s[2:3]
	scratch_load_dwordx2 v[120:121], off, off offset:440
	s_mov_b32 s10, 16
	s_mov_b32 s11, 32
	s_mov_b32 s12, 48
	s_mov_b32 s13, 64
	s_mov_b32 s14, s8
	s_mov_b32 s15, s9
	v_cmp_lt_u32_e64 s[2:3], 55, v0
	s_waitcnt vmcnt(0)
	ds_write_b64 v1, v[120:121]
	s_waitcnt lgkmcnt(0)
	; wave barrier
	s_and_saveexec_b64 s[4:5], s[2:3]
	s_cbranch_execz .LBB57_16
; %bb.11:
	s_andn2_b64 vcc, exec, s[6:7]
	s_cbranch_vccnz .LBB57_13
; %bb.12:
	scratch_load_dwordx2 v[120:121], v17, off
	ds_read_b64 v[122:123], v1
	s_waitcnt vmcnt(0) lgkmcnt(0)
	v_mul_f64 v[120:121], v[120:121], v[122:123]
	s_cbranch_execz .LBB57_14
	s_branch .LBB57_15
.LBB57_13:
                                        ; implicit-def: $vgpr120_vgpr121
.LBB57_14:
	ds_read_b64 v[120:121], v1
.LBB57_15:
	scratch_load_dwordx2 v[126:127], off, off offset:448
	v_mov_b32_e32 v122, 0
	ds_read2_b64 v[122:125], v122 offset0:55 offset1:114
	s_waitcnt vmcnt(0) lgkmcnt(0)
	v_fma_f64 v[124:125], v[126:127], v[124:125], v[120:121]
	v_cndmask_b32_e64 v121, v121, v125, s[0:1]
	v_cndmask_b32_e64 v120, v120, v124, s[0:1]
	v_mul_f64 v[120:121], v[120:121], v[122:123]
	scratch_store_dwordx2 off, v[120:121], off offset:440
.LBB57_16:
	s_or_b64 exec, exec, s[4:5]
	scratch_load_dwordx2 v[120:121], off, off offset:432
	v_cmp_lt_u32_e64 s[0:1], 54, v0
	s_waitcnt vmcnt(0)
	ds_write_b64 v1, v[120:121]
	s_waitcnt lgkmcnt(0)
	; wave barrier
	s_and_saveexec_b64 s[4:5], s[0:1]
	s_cbranch_execz .LBB57_26
; %bb.17:
	s_andn2_b64 vcc, exec, s[6:7]
	s_cbranch_vccnz .LBB57_19
; %bb.18:
	scratch_load_dwordx2 v[120:121], v17, off
	ds_read_b64 v[122:123], v1
	s_waitcnt vmcnt(0) lgkmcnt(0)
	v_mul_f64 v[120:121], v[120:121], v[122:123]
	s_cbranch_execz .LBB57_20
	s_branch .LBB57_21
.LBB57_19:
                                        ; implicit-def: $vgpr120_vgpr121
.LBB57_20:
	ds_read_b64 v[120:121], v1
.LBB57_21:
	s_and_saveexec_b64 s[8:9], s[2:3]
	s_cbranch_execz .LBB57_25
; %bb.22:
	s_movk_i32 s38, 0x1b8
	v_subrev_u32_e32 v122, 55, v0
	s_movk_i32 s39, 0x388
	s_mov_b64 s[2:3], 0
.LBB57_23:                              ; =>This Inner Loop Header: Depth=1
	scratch_load_dwordx2 v[124:125], off, s38
	v_mov_b32_e32 v123, s39
	ds_read_b64 v[126:127], v123
	v_add_u32_e32 v122, -1, v122
	s_add_i32 s39, s39, 8
	s_add_i32 s38, s38, 8
	v_cmp_eq_u32_e32 vcc, 0, v122
	s_or_b64 s[2:3], vcc, s[2:3]
	s_waitcnt vmcnt(0) lgkmcnt(0)
	v_fmac_f64_e32 v[120:121], v[124:125], v[126:127]
	s_andn2_b64 exec, exec, s[2:3]
	s_cbranch_execnz .LBB57_23
; %bb.24:
	s_or_b64 exec, exec, s[2:3]
.LBB57_25:
	s_or_b64 exec, exec, s[8:9]
	v_mov_b32_e32 v122, 0
	ds_read_b64 v[122:123], v122 offset:432
	s_waitcnt lgkmcnt(0)
	v_mul_f64 v[120:121], v[120:121], v[122:123]
	scratch_store_dwordx2 off, v[120:121], off offset:432
.LBB57_26:
	s_or_b64 exec, exec, s[4:5]
	scratch_load_dwordx2 v[120:121], off, off offset:424
	v_cmp_lt_u32_e64 s[2:3], 53, v0
	s_waitcnt vmcnt(0)
	ds_write_b64 v1, v[120:121]
	s_waitcnt lgkmcnt(0)
	; wave barrier
	s_and_saveexec_b64 s[4:5], s[2:3]
	s_cbranch_execz .LBB57_36
; %bb.27:
	s_andn2_b64 vcc, exec, s[6:7]
	s_cbranch_vccnz .LBB57_29
; %bb.28:
	scratch_load_dwordx2 v[120:121], v17, off
	ds_read_b64 v[122:123], v1
	s_waitcnt vmcnt(0) lgkmcnt(0)
	v_mul_f64 v[120:121], v[120:121], v[122:123]
	s_cbranch_execz .LBB57_30
	s_branch .LBB57_31
.LBB57_29:
                                        ; implicit-def: $vgpr120_vgpr121
.LBB57_30:
	ds_read_b64 v[120:121], v1
.LBB57_31:
	s_and_saveexec_b64 s[8:9], s[0:1]
	s_cbranch_execz .LBB57_35
; %bb.32:
	v_subrev_u32_e32 v122, 54, v0
	s_movk_i32 s38, 0x380
	s_mov_b64 s[0:1], 0
.LBB57_33:                              ; =>This Inner Loop Header: Depth=1
	scratch_load_dwordx2 v[124:125], off, s37
	v_mov_b32_e32 v123, s38
	ds_read_b64 v[126:127], v123
	v_add_u32_e32 v122, -1, v122
	s_add_i32 s38, s38, 8
	s_add_i32 s37, s37, 8
	v_cmp_eq_u32_e32 vcc, 0, v122
	s_or_b64 s[0:1], vcc, s[0:1]
	s_waitcnt vmcnt(0) lgkmcnt(0)
	v_fmac_f64_e32 v[120:121], v[124:125], v[126:127]
	s_andn2_b64 exec, exec, s[0:1]
	s_cbranch_execnz .LBB57_33
; %bb.34:
	s_or_b64 exec, exec, s[0:1]
.LBB57_35:
	s_or_b64 exec, exec, s[8:9]
	v_mov_b32_e32 v122, 0
	ds_read_b64 v[122:123], v122 offset:424
	s_waitcnt lgkmcnt(0)
	v_mul_f64 v[120:121], v[120:121], v[122:123]
	scratch_store_dwordx2 off, v[120:121], off offset:424
.LBB57_36:
	s_or_b64 exec, exec, s[4:5]
	scratch_load_dwordx2 v[120:121], off, off offset:416
	v_cmp_lt_u32_e64 s[0:1], 52, v0
	s_waitcnt vmcnt(0)
	ds_write_b64 v1, v[120:121]
	s_waitcnt lgkmcnt(0)
	; wave barrier
	s_and_saveexec_b64 s[4:5], s[0:1]
	s_cbranch_execz .LBB57_46
; %bb.37:
	s_andn2_b64 vcc, exec, s[6:7]
	s_cbranch_vccnz .LBB57_39
; %bb.38:
	scratch_load_dwordx2 v[120:121], v17, off
	ds_read_b64 v[122:123], v1
	s_waitcnt vmcnt(0) lgkmcnt(0)
	v_mul_f64 v[120:121], v[120:121], v[122:123]
	s_cbranch_execz .LBB57_40
	s_branch .LBB57_41
.LBB57_39:
                                        ; implicit-def: $vgpr120_vgpr121
.LBB57_40:
	ds_read_b64 v[120:121], v1
.LBB57_41:
	s_and_saveexec_b64 s[8:9], s[2:3]
	s_cbranch_execz .LBB57_45
; %bb.42:
	s_movk_i32 s37, 0x1a8
	v_subrev_u32_e32 v122, 53, v0
	s_movk_i32 s38, 0x378
	s_mov_b64 s[2:3], 0
.LBB57_43:                              ; =>This Inner Loop Header: Depth=1
	scratch_load_dwordx2 v[124:125], off, s37
	v_mov_b32_e32 v123, s38
	ds_read_b64 v[126:127], v123
	v_add_u32_e32 v122, -1, v122
	s_add_i32 s38, s38, 8
	s_add_i32 s37, s37, 8
	v_cmp_eq_u32_e32 vcc, 0, v122
	s_or_b64 s[2:3], vcc, s[2:3]
	s_waitcnt vmcnt(0) lgkmcnt(0)
	v_fmac_f64_e32 v[120:121], v[124:125], v[126:127]
	s_andn2_b64 exec, exec, s[2:3]
	s_cbranch_execnz .LBB57_43
; %bb.44:
	s_or_b64 exec, exec, s[2:3]
.LBB57_45:
	s_or_b64 exec, exec, s[8:9]
	v_mov_b32_e32 v122, 0
	ds_read_b64 v[122:123], v122 offset:416
	s_waitcnt lgkmcnt(0)
	v_mul_f64 v[120:121], v[120:121], v[122:123]
	scratch_store_dwordx2 off, v[120:121], off offset:416
.LBB57_46:
	s_or_b64 exec, exec, s[4:5]
	scratch_load_dwordx2 v[120:121], off, off offset:408
	v_cmp_lt_u32_e64 s[2:3], 51, v0
	s_waitcnt vmcnt(0)
	ds_write_b64 v1, v[120:121]
	s_waitcnt lgkmcnt(0)
	; wave barrier
	s_and_saveexec_b64 s[4:5], s[2:3]
	s_cbranch_execz .LBB57_56
; %bb.47:
	s_andn2_b64 vcc, exec, s[6:7]
	s_cbranch_vccnz .LBB57_49
; %bb.48:
	scratch_load_dwordx2 v[120:121], v17, off
	ds_read_b64 v[122:123], v1
	s_waitcnt vmcnt(0) lgkmcnt(0)
	v_mul_f64 v[120:121], v[120:121], v[122:123]
	s_cbranch_execz .LBB57_50
	s_branch .LBB57_51
.LBB57_49:
                                        ; implicit-def: $vgpr120_vgpr121
.LBB57_50:
	ds_read_b64 v[120:121], v1
.LBB57_51:
	s_and_saveexec_b64 s[8:9], s[0:1]
	s_cbranch_execz .LBB57_55
; %bb.52:
	v_subrev_u32_e32 v122, 52, v0
	s_movk_i32 s37, 0x370
	s_mov_b64 s[0:1], 0
.LBB57_53:                              ; =>This Inner Loop Header: Depth=1
	scratch_load_dwordx2 v[124:125], off, s36
	v_mov_b32_e32 v123, s37
	ds_read_b64 v[126:127], v123
	v_add_u32_e32 v122, -1, v122
	s_add_i32 s37, s37, 8
	s_add_i32 s36, s36, 8
	v_cmp_eq_u32_e32 vcc, 0, v122
	s_or_b64 s[0:1], vcc, s[0:1]
	s_waitcnt vmcnt(0) lgkmcnt(0)
	v_fmac_f64_e32 v[120:121], v[124:125], v[126:127]
	s_andn2_b64 exec, exec, s[0:1]
	s_cbranch_execnz .LBB57_53
; %bb.54:
	s_or_b64 exec, exec, s[0:1]
.LBB57_55:
	s_or_b64 exec, exec, s[8:9]
	v_mov_b32_e32 v122, 0
	ds_read_b64 v[122:123], v122 offset:408
	s_waitcnt lgkmcnt(0)
	v_mul_f64 v[120:121], v[120:121], v[122:123]
	scratch_store_dwordx2 off, v[120:121], off offset:408
.LBB57_56:
	s_or_b64 exec, exec, s[4:5]
	scratch_load_dwordx2 v[120:121], off, off offset:400
	v_cmp_lt_u32_e64 s[0:1], 50, v0
	s_waitcnt vmcnt(0)
	ds_write_b64 v1, v[120:121]
	s_waitcnt lgkmcnt(0)
	; wave barrier
	s_and_saveexec_b64 s[4:5], s[0:1]
	s_cbranch_execz .LBB57_66
; %bb.57:
	s_andn2_b64 vcc, exec, s[6:7]
	s_cbranch_vccnz .LBB57_59
; %bb.58:
	scratch_load_dwordx2 v[120:121], v17, off
	ds_read_b64 v[122:123], v1
	s_waitcnt vmcnt(0) lgkmcnt(0)
	v_mul_f64 v[120:121], v[120:121], v[122:123]
	s_cbranch_execz .LBB57_60
	s_branch .LBB57_61
.LBB57_59:
                                        ; implicit-def: $vgpr120_vgpr121
.LBB57_60:
	ds_read_b64 v[120:121], v1
.LBB57_61:
	s_and_saveexec_b64 s[8:9], s[2:3]
	s_cbranch_execz .LBB57_65
; %bb.62:
	s_movk_i32 s36, 0x198
	v_subrev_u32_e32 v122, 51, v0
	s_movk_i32 s37, 0x368
	s_mov_b64 s[2:3], 0
.LBB57_63:                              ; =>This Inner Loop Header: Depth=1
	scratch_load_dwordx2 v[124:125], off, s36
	v_mov_b32_e32 v123, s37
	ds_read_b64 v[126:127], v123
	v_add_u32_e32 v122, -1, v122
	s_add_i32 s37, s37, 8
	s_add_i32 s36, s36, 8
	v_cmp_eq_u32_e32 vcc, 0, v122
	s_or_b64 s[2:3], vcc, s[2:3]
	s_waitcnt vmcnt(0) lgkmcnt(0)
	v_fmac_f64_e32 v[120:121], v[124:125], v[126:127]
	s_andn2_b64 exec, exec, s[2:3]
	s_cbranch_execnz .LBB57_63
; %bb.64:
	s_or_b64 exec, exec, s[2:3]
.LBB57_65:
	s_or_b64 exec, exec, s[8:9]
	v_mov_b32_e32 v122, 0
	ds_read_b64 v[122:123], v122 offset:400
	s_waitcnt lgkmcnt(0)
	v_mul_f64 v[120:121], v[120:121], v[122:123]
	scratch_store_dwordx2 off, v[120:121], off offset:400
.LBB57_66:
	s_or_b64 exec, exec, s[4:5]
	scratch_load_dwordx2 v[120:121], off, off offset:392
	v_cmp_lt_u32_e64 s[2:3], 49, v0
	s_waitcnt vmcnt(0)
	ds_write_b64 v1, v[120:121]
	s_waitcnt lgkmcnt(0)
	; wave barrier
	s_and_saveexec_b64 s[4:5], s[2:3]
	s_cbranch_execz .LBB57_76
; %bb.67:
	s_andn2_b64 vcc, exec, s[6:7]
	s_cbranch_vccnz .LBB57_69
; %bb.68:
	scratch_load_dwordx2 v[120:121], v17, off
	ds_read_b64 v[122:123], v1
	s_waitcnt vmcnt(0) lgkmcnt(0)
	v_mul_f64 v[120:121], v[120:121], v[122:123]
	s_cbranch_execz .LBB57_70
	s_branch .LBB57_71
.LBB57_69:
                                        ; implicit-def: $vgpr120_vgpr121
.LBB57_70:
	ds_read_b64 v[120:121], v1
.LBB57_71:
	s_and_saveexec_b64 s[8:9], s[0:1]
	s_cbranch_execz .LBB57_75
; %bb.72:
	v_subrev_u32_e32 v122, 50, v0
	s_movk_i32 s36, 0x360
	s_mov_b64 s[0:1], 0
.LBB57_73:                              ; =>This Inner Loop Header: Depth=1
	scratch_load_dwordx2 v[124:125], off, s35
	v_mov_b32_e32 v123, s36
	ds_read_b64 v[126:127], v123
	v_add_u32_e32 v122, -1, v122
	s_add_i32 s36, s36, 8
	s_add_i32 s35, s35, 8
	v_cmp_eq_u32_e32 vcc, 0, v122
	s_or_b64 s[0:1], vcc, s[0:1]
	s_waitcnt vmcnt(0) lgkmcnt(0)
	v_fmac_f64_e32 v[120:121], v[124:125], v[126:127]
	s_andn2_b64 exec, exec, s[0:1]
	s_cbranch_execnz .LBB57_73
; %bb.74:
	s_or_b64 exec, exec, s[0:1]
.LBB57_75:
	s_or_b64 exec, exec, s[8:9]
	v_mov_b32_e32 v122, 0
	ds_read_b64 v[122:123], v122 offset:392
	s_waitcnt lgkmcnt(0)
	v_mul_f64 v[120:121], v[120:121], v[122:123]
	scratch_store_dwordx2 off, v[120:121], off offset:392
.LBB57_76:
	s_or_b64 exec, exec, s[4:5]
	scratch_load_dwordx2 v[120:121], off, off offset:384
	v_cmp_lt_u32_e64 s[0:1], 48, v0
	s_waitcnt vmcnt(0)
	ds_write_b64 v1, v[120:121]
	s_waitcnt lgkmcnt(0)
	; wave barrier
	s_and_saveexec_b64 s[4:5], s[0:1]
	s_cbranch_execz .LBB57_86
; %bb.77:
	s_andn2_b64 vcc, exec, s[6:7]
	s_cbranch_vccnz .LBB57_79
; %bb.78:
	scratch_load_dwordx2 v[120:121], v17, off
	ds_read_b64 v[122:123], v1
	s_waitcnt vmcnt(0) lgkmcnt(0)
	v_mul_f64 v[120:121], v[120:121], v[122:123]
	s_cbranch_execz .LBB57_80
	s_branch .LBB57_81
.LBB57_79:
                                        ; implicit-def: $vgpr120_vgpr121
.LBB57_80:
	ds_read_b64 v[120:121], v1
.LBB57_81:
	s_and_saveexec_b64 s[8:9], s[2:3]
	s_cbranch_execz .LBB57_85
; %bb.82:
	s_movk_i32 s35, 0x188
	v_subrev_u32_e32 v122, 49, v0
	s_movk_i32 s36, 0x358
	s_mov_b64 s[2:3], 0
.LBB57_83:                              ; =>This Inner Loop Header: Depth=1
	scratch_load_dwordx2 v[124:125], off, s35
	v_mov_b32_e32 v123, s36
	ds_read_b64 v[126:127], v123
	v_add_u32_e32 v122, -1, v122
	s_add_i32 s36, s36, 8
	s_add_i32 s35, s35, 8
	v_cmp_eq_u32_e32 vcc, 0, v122
	s_or_b64 s[2:3], vcc, s[2:3]
	s_waitcnt vmcnt(0) lgkmcnt(0)
	v_fmac_f64_e32 v[120:121], v[124:125], v[126:127]
	s_andn2_b64 exec, exec, s[2:3]
	s_cbranch_execnz .LBB57_83
; %bb.84:
	s_or_b64 exec, exec, s[2:3]
.LBB57_85:
	s_or_b64 exec, exec, s[8:9]
	v_mov_b32_e32 v122, 0
	ds_read_b64 v[122:123], v122 offset:384
	s_waitcnt lgkmcnt(0)
	v_mul_f64 v[120:121], v[120:121], v[122:123]
	scratch_store_dwordx2 off, v[120:121], off offset:384
.LBB57_86:
	s_or_b64 exec, exec, s[4:5]
	scratch_load_dwordx2 v[120:121], off, off offset:376
	v_cmp_lt_u32_e64 s[2:3], 47, v0
	s_waitcnt vmcnt(0)
	ds_write_b64 v1, v[120:121]
	s_waitcnt lgkmcnt(0)
	; wave barrier
	s_and_saveexec_b64 s[4:5], s[2:3]
	s_cbranch_execz .LBB57_96
; %bb.87:
	s_andn2_b64 vcc, exec, s[6:7]
	s_cbranch_vccnz .LBB57_89
; %bb.88:
	scratch_load_dwordx2 v[120:121], v17, off
	ds_read_b64 v[122:123], v1
	s_waitcnt vmcnt(0) lgkmcnt(0)
	v_mul_f64 v[120:121], v[120:121], v[122:123]
	s_cbranch_execz .LBB57_90
	s_branch .LBB57_91
.LBB57_89:
                                        ; implicit-def: $vgpr120_vgpr121
.LBB57_90:
	ds_read_b64 v[120:121], v1
.LBB57_91:
	s_and_saveexec_b64 s[8:9], s[0:1]
	s_cbranch_execz .LBB57_95
; %bb.92:
	v_subrev_u32_e32 v122, 48, v0
	s_movk_i32 s35, 0x350
	s_mov_b64 s[0:1], 0
.LBB57_93:                              ; =>This Inner Loop Header: Depth=1
	scratch_load_dwordx2 v[124:125], off, s34
	v_mov_b32_e32 v123, s35
	ds_read_b64 v[126:127], v123
	v_add_u32_e32 v122, -1, v122
	s_add_i32 s35, s35, 8
	s_add_i32 s34, s34, 8
	v_cmp_eq_u32_e32 vcc, 0, v122
	s_or_b64 s[0:1], vcc, s[0:1]
	s_waitcnt vmcnt(0) lgkmcnt(0)
	v_fmac_f64_e32 v[120:121], v[124:125], v[126:127]
	s_andn2_b64 exec, exec, s[0:1]
	s_cbranch_execnz .LBB57_93
; %bb.94:
	s_or_b64 exec, exec, s[0:1]
.LBB57_95:
	s_or_b64 exec, exec, s[8:9]
	v_mov_b32_e32 v122, 0
	ds_read_b64 v[122:123], v122 offset:376
	s_waitcnt lgkmcnt(0)
	v_mul_f64 v[120:121], v[120:121], v[122:123]
	scratch_store_dwordx2 off, v[120:121], off offset:376
.LBB57_96:
	s_or_b64 exec, exec, s[4:5]
	scratch_load_dwordx2 v[120:121], off, off offset:368
	v_cmp_lt_u32_e64 s[0:1], 46, v0
	s_waitcnt vmcnt(0)
	ds_write_b64 v1, v[120:121]
	s_waitcnt lgkmcnt(0)
	; wave barrier
	s_and_saveexec_b64 s[4:5], s[0:1]
	s_cbranch_execz .LBB57_106
; %bb.97:
	s_andn2_b64 vcc, exec, s[6:7]
	s_cbranch_vccnz .LBB57_99
; %bb.98:
	scratch_load_dwordx2 v[120:121], v17, off
	ds_read_b64 v[122:123], v1
	s_waitcnt vmcnt(0) lgkmcnt(0)
	v_mul_f64 v[120:121], v[120:121], v[122:123]
	s_cbranch_execz .LBB57_100
	s_branch .LBB57_101
.LBB57_99:
                                        ; implicit-def: $vgpr120_vgpr121
.LBB57_100:
	ds_read_b64 v[120:121], v1
.LBB57_101:
	s_and_saveexec_b64 s[8:9], s[2:3]
	s_cbranch_execz .LBB57_105
; %bb.102:
	s_movk_i32 s34, 0x178
	v_subrev_u32_e32 v122, 47, v0
	s_movk_i32 s35, 0x348
	s_mov_b64 s[2:3], 0
.LBB57_103:                             ; =>This Inner Loop Header: Depth=1
	scratch_load_dwordx2 v[124:125], off, s34
	v_mov_b32_e32 v123, s35
	ds_read_b64 v[126:127], v123
	v_add_u32_e32 v122, -1, v122
	s_add_i32 s35, s35, 8
	s_add_i32 s34, s34, 8
	v_cmp_eq_u32_e32 vcc, 0, v122
	s_or_b64 s[2:3], vcc, s[2:3]
	s_waitcnt vmcnt(0) lgkmcnt(0)
	v_fmac_f64_e32 v[120:121], v[124:125], v[126:127]
	s_andn2_b64 exec, exec, s[2:3]
	s_cbranch_execnz .LBB57_103
; %bb.104:
	s_or_b64 exec, exec, s[2:3]
.LBB57_105:
	s_or_b64 exec, exec, s[8:9]
	v_mov_b32_e32 v122, 0
	ds_read_b64 v[122:123], v122 offset:368
	s_waitcnt lgkmcnt(0)
	v_mul_f64 v[120:121], v[120:121], v[122:123]
	scratch_store_dwordx2 off, v[120:121], off offset:368
.LBB57_106:
	s_or_b64 exec, exec, s[4:5]
	scratch_load_dwordx2 v[120:121], off, off offset:360
	v_cmp_lt_u32_e64 s[2:3], 45, v0
	s_waitcnt vmcnt(0)
	ds_write_b64 v1, v[120:121]
	s_waitcnt lgkmcnt(0)
	; wave barrier
	s_and_saveexec_b64 s[4:5], s[2:3]
	s_cbranch_execz .LBB57_116
; %bb.107:
	s_andn2_b64 vcc, exec, s[6:7]
	s_cbranch_vccnz .LBB57_109
; %bb.108:
	scratch_load_dwordx2 v[120:121], v17, off
	ds_read_b64 v[122:123], v1
	s_waitcnt vmcnt(0) lgkmcnt(0)
	v_mul_f64 v[120:121], v[120:121], v[122:123]
	s_cbranch_execz .LBB57_110
	s_branch .LBB57_111
.LBB57_109:
                                        ; implicit-def: $vgpr120_vgpr121
.LBB57_110:
	ds_read_b64 v[120:121], v1
.LBB57_111:
	s_and_saveexec_b64 s[8:9], s[0:1]
	s_cbranch_execz .LBB57_115
; %bb.112:
	v_subrev_u32_e32 v122, 46, v0
	s_movk_i32 s34, 0x340
	s_mov_b64 s[0:1], 0
.LBB57_113:                             ; =>This Inner Loop Header: Depth=1
	scratch_load_dwordx2 v[124:125], off, s33
	v_mov_b32_e32 v123, s34
	ds_read_b64 v[126:127], v123
	v_add_u32_e32 v122, -1, v122
	s_add_i32 s34, s34, 8
	s_add_i32 s33, s33, 8
	v_cmp_eq_u32_e32 vcc, 0, v122
	s_or_b64 s[0:1], vcc, s[0:1]
	s_waitcnt vmcnt(0) lgkmcnt(0)
	v_fmac_f64_e32 v[120:121], v[124:125], v[126:127]
	s_andn2_b64 exec, exec, s[0:1]
	s_cbranch_execnz .LBB57_113
; %bb.114:
	s_or_b64 exec, exec, s[0:1]
.LBB57_115:
	s_or_b64 exec, exec, s[8:9]
	v_mov_b32_e32 v122, 0
	ds_read_b64 v[122:123], v122 offset:360
	s_waitcnt lgkmcnt(0)
	v_mul_f64 v[120:121], v[120:121], v[122:123]
	scratch_store_dwordx2 off, v[120:121], off offset:360
.LBB57_116:
	s_or_b64 exec, exec, s[4:5]
	scratch_load_dwordx2 v[120:121], off, off offset:352
	v_cmp_lt_u32_e64 s[0:1], 44, v0
	s_waitcnt vmcnt(0)
	ds_write_b64 v1, v[120:121]
	s_waitcnt lgkmcnt(0)
	; wave barrier
	s_and_saveexec_b64 s[4:5], s[0:1]
	s_cbranch_execz .LBB57_126
; %bb.117:
	s_andn2_b64 vcc, exec, s[6:7]
	s_cbranch_vccnz .LBB57_119
; %bb.118:
	scratch_load_dwordx2 v[120:121], v17, off
	ds_read_b64 v[122:123], v1
	s_waitcnt vmcnt(0) lgkmcnt(0)
	v_mul_f64 v[120:121], v[120:121], v[122:123]
	s_cbranch_execz .LBB57_120
	s_branch .LBB57_121
.LBB57_119:
                                        ; implicit-def: $vgpr120_vgpr121
.LBB57_120:
	ds_read_b64 v[120:121], v1
.LBB57_121:
	s_and_saveexec_b64 s[8:9], s[2:3]
	s_cbranch_execz .LBB57_125
; %bb.122:
	s_movk_i32 s33, 0x168
	v_subrev_u32_e32 v122, 45, v0
	s_movk_i32 s34, 0x338
	s_mov_b64 s[2:3], 0
.LBB57_123:                             ; =>This Inner Loop Header: Depth=1
	scratch_load_dwordx2 v[124:125], off, s33
	v_mov_b32_e32 v123, s34
	ds_read_b64 v[126:127], v123
	v_add_u32_e32 v122, -1, v122
	s_add_i32 s34, s34, 8
	s_add_i32 s33, s33, 8
	v_cmp_eq_u32_e32 vcc, 0, v122
	s_or_b64 s[2:3], vcc, s[2:3]
	s_waitcnt vmcnt(0) lgkmcnt(0)
	v_fmac_f64_e32 v[120:121], v[124:125], v[126:127]
	s_andn2_b64 exec, exec, s[2:3]
	s_cbranch_execnz .LBB57_123
; %bb.124:
	s_or_b64 exec, exec, s[2:3]
.LBB57_125:
	s_or_b64 exec, exec, s[8:9]
	v_mov_b32_e32 v122, 0
	ds_read_b64 v[122:123], v122 offset:352
	s_waitcnt lgkmcnt(0)
	v_mul_f64 v[120:121], v[120:121], v[122:123]
	scratch_store_dwordx2 off, v[120:121], off offset:352
.LBB57_126:
	s_or_b64 exec, exec, s[4:5]
	scratch_load_dwordx2 v[120:121], off, off offset:344
	v_cmp_lt_u32_e64 s[2:3], 43, v0
	s_waitcnt vmcnt(0)
	ds_write_b64 v1, v[120:121]
	s_waitcnt lgkmcnt(0)
	; wave barrier
	s_and_saveexec_b64 s[4:5], s[2:3]
	s_cbranch_execz .LBB57_136
; %bb.127:
	s_andn2_b64 vcc, exec, s[6:7]
	s_cbranch_vccnz .LBB57_129
; %bb.128:
	scratch_load_dwordx2 v[120:121], v17, off
	ds_read_b64 v[122:123], v1
	s_waitcnt vmcnt(0) lgkmcnt(0)
	v_mul_f64 v[120:121], v[120:121], v[122:123]
	s_cbranch_execz .LBB57_130
	s_branch .LBB57_131
.LBB57_129:
                                        ; implicit-def: $vgpr120_vgpr121
.LBB57_130:
	ds_read_b64 v[120:121], v1
.LBB57_131:
	s_and_saveexec_b64 s[8:9], s[0:1]
	s_cbranch_execz .LBB57_135
; %bb.132:
	v_subrev_u32_e32 v122, 44, v0
	s_movk_i32 s33, 0x330
	s_mov_b64 s[0:1], 0
.LBB57_133:                             ; =>This Inner Loop Header: Depth=1
	scratch_load_dwordx2 v[124:125], off, s31
	v_mov_b32_e32 v123, s33
	ds_read_b64 v[126:127], v123
	v_add_u32_e32 v122, -1, v122
	s_add_i32 s33, s33, 8
	s_add_i32 s31, s31, 8
	v_cmp_eq_u32_e32 vcc, 0, v122
	s_or_b64 s[0:1], vcc, s[0:1]
	s_waitcnt vmcnt(0) lgkmcnt(0)
	v_fmac_f64_e32 v[120:121], v[124:125], v[126:127]
	s_andn2_b64 exec, exec, s[0:1]
	s_cbranch_execnz .LBB57_133
; %bb.134:
	s_or_b64 exec, exec, s[0:1]
.LBB57_135:
	s_or_b64 exec, exec, s[8:9]
	v_mov_b32_e32 v122, 0
	ds_read_b64 v[122:123], v122 offset:344
	s_waitcnt lgkmcnt(0)
	v_mul_f64 v[120:121], v[120:121], v[122:123]
	scratch_store_dwordx2 off, v[120:121], off offset:344
.LBB57_136:
	s_or_b64 exec, exec, s[4:5]
	scratch_load_dwordx2 v[120:121], off, off offset:336
	v_cmp_lt_u32_e64 s[0:1], 42, v0
	s_waitcnt vmcnt(0)
	ds_write_b64 v1, v[120:121]
	s_waitcnt lgkmcnt(0)
	; wave barrier
	s_and_saveexec_b64 s[4:5], s[0:1]
	s_cbranch_execz .LBB57_146
; %bb.137:
	s_andn2_b64 vcc, exec, s[6:7]
	s_cbranch_vccnz .LBB57_139
; %bb.138:
	scratch_load_dwordx2 v[120:121], v17, off
	ds_read_b64 v[122:123], v1
	s_waitcnt vmcnt(0) lgkmcnt(0)
	v_mul_f64 v[120:121], v[120:121], v[122:123]
	s_cbranch_execz .LBB57_140
	s_branch .LBB57_141
.LBB57_139:
                                        ; implicit-def: $vgpr120_vgpr121
.LBB57_140:
	ds_read_b64 v[120:121], v1
.LBB57_141:
	s_and_saveexec_b64 s[8:9], s[2:3]
	s_cbranch_execz .LBB57_145
; %bb.142:
	s_movk_i32 s31, 0x158
	v_subrev_u32_e32 v122, 43, v0
	s_movk_i32 s33, 0x328
	s_mov_b64 s[2:3], 0
.LBB57_143:                             ; =>This Inner Loop Header: Depth=1
	scratch_load_dwordx2 v[124:125], off, s31
	v_mov_b32_e32 v123, s33
	ds_read_b64 v[126:127], v123
	v_add_u32_e32 v122, -1, v122
	s_add_i32 s33, s33, 8
	s_add_i32 s31, s31, 8
	v_cmp_eq_u32_e32 vcc, 0, v122
	s_or_b64 s[2:3], vcc, s[2:3]
	s_waitcnt vmcnt(0) lgkmcnt(0)
	v_fmac_f64_e32 v[120:121], v[124:125], v[126:127]
	s_andn2_b64 exec, exec, s[2:3]
	s_cbranch_execnz .LBB57_143
; %bb.144:
	s_or_b64 exec, exec, s[2:3]
.LBB57_145:
	s_or_b64 exec, exec, s[8:9]
	v_mov_b32_e32 v122, 0
	ds_read_b64 v[122:123], v122 offset:336
	s_waitcnt lgkmcnt(0)
	v_mul_f64 v[120:121], v[120:121], v[122:123]
	scratch_store_dwordx2 off, v[120:121], off offset:336
.LBB57_146:
	s_or_b64 exec, exec, s[4:5]
	scratch_load_dwordx2 v[120:121], off, off offset:328
	v_cmp_lt_u32_e64 s[2:3], 41, v0
	s_waitcnt vmcnt(0)
	ds_write_b64 v1, v[120:121]
	s_waitcnt lgkmcnt(0)
	; wave barrier
	s_and_saveexec_b64 s[4:5], s[2:3]
	s_cbranch_execz .LBB57_156
; %bb.147:
	s_andn2_b64 vcc, exec, s[6:7]
	s_cbranch_vccnz .LBB57_149
; %bb.148:
	scratch_load_dwordx2 v[120:121], v17, off
	ds_read_b64 v[122:123], v1
	s_waitcnt vmcnt(0) lgkmcnt(0)
	v_mul_f64 v[120:121], v[120:121], v[122:123]
	s_cbranch_execz .LBB57_150
	s_branch .LBB57_151
.LBB57_149:
                                        ; implicit-def: $vgpr120_vgpr121
.LBB57_150:
	ds_read_b64 v[120:121], v1
.LBB57_151:
	s_and_saveexec_b64 s[8:9], s[0:1]
	s_cbranch_execz .LBB57_155
; %bb.152:
	v_subrev_u32_e32 v122, 42, v0
	s_movk_i32 s31, 0x320
	s_mov_b64 s[0:1], 0
.LBB57_153:                             ; =>This Inner Loop Header: Depth=1
	scratch_load_dwordx2 v[124:125], off, s30
	v_mov_b32_e32 v123, s31
	ds_read_b64 v[126:127], v123
	v_add_u32_e32 v122, -1, v122
	s_add_i32 s31, s31, 8
	s_add_i32 s30, s30, 8
	v_cmp_eq_u32_e32 vcc, 0, v122
	s_or_b64 s[0:1], vcc, s[0:1]
	s_waitcnt vmcnt(0) lgkmcnt(0)
	v_fmac_f64_e32 v[120:121], v[124:125], v[126:127]
	s_andn2_b64 exec, exec, s[0:1]
	s_cbranch_execnz .LBB57_153
; %bb.154:
	s_or_b64 exec, exec, s[0:1]
.LBB57_155:
	s_or_b64 exec, exec, s[8:9]
	v_mov_b32_e32 v122, 0
	ds_read_b64 v[122:123], v122 offset:328
	s_waitcnt lgkmcnt(0)
	v_mul_f64 v[120:121], v[120:121], v[122:123]
	scratch_store_dwordx2 off, v[120:121], off offset:328
.LBB57_156:
	s_or_b64 exec, exec, s[4:5]
	scratch_load_dwordx2 v[120:121], off, off offset:320
	v_cmp_lt_u32_e64 s[0:1], 40, v0
	s_waitcnt vmcnt(0)
	ds_write_b64 v1, v[120:121]
	s_waitcnt lgkmcnt(0)
	; wave barrier
	s_and_saveexec_b64 s[4:5], s[0:1]
	s_cbranch_execz .LBB57_166
; %bb.157:
	s_andn2_b64 vcc, exec, s[6:7]
	s_cbranch_vccnz .LBB57_159
; %bb.158:
	scratch_load_dwordx2 v[120:121], v17, off
	ds_read_b64 v[122:123], v1
	s_waitcnt vmcnt(0) lgkmcnt(0)
	v_mul_f64 v[120:121], v[120:121], v[122:123]
	s_cbranch_execz .LBB57_160
	s_branch .LBB57_161
.LBB57_159:
                                        ; implicit-def: $vgpr120_vgpr121
.LBB57_160:
	ds_read_b64 v[120:121], v1
.LBB57_161:
	s_and_saveexec_b64 s[8:9], s[2:3]
	s_cbranch_execz .LBB57_165
; %bb.162:
	s_movk_i32 s30, 0x148
	v_subrev_u32_e32 v122, 41, v0
	s_movk_i32 s31, 0x318
	s_mov_b64 s[2:3], 0
.LBB57_163:                             ; =>This Inner Loop Header: Depth=1
	scratch_load_dwordx2 v[124:125], off, s30
	v_mov_b32_e32 v123, s31
	ds_read_b64 v[126:127], v123
	v_add_u32_e32 v122, -1, v122
	s_add_i32 s31, s31, 8
	s_add_i32 s30, s30, 8
	v_cmp_eq_u32_e32 vcc, 0, v122
	s_or_b64 s[2:3], vcc, s[2:3]
	s_waitcnt vmcnt(0) lgkmcnt(0)
	v_fmac_f64_e32 v[120:121], v[124:125], v[126:127]
	s_andn2_b64 exec, exec, s[2:3]
	s_cbranch_execnz .LBB57_163
; %bb.164:
	s_or_b64 exec, exec, s[2:3]
.LBB57_165:
	s_or_b64 exec, exec, s[8:9]
	v_mov_b32_e32 v122, 0
	ds_read_b64 v[122:123], v122 offset:320
	s_waitcnt lgkmcnt(0)
	v_mul_f64 v[120:121], v[120:121], v[122:123]
	scratch_store_dwordx2 off, v[120:121], off offset:320
.LBB57_166:
	s_or_b64 exec, exec, s[4:5]
	scratch_load_dwordx2 v[120:121], off, off offset:312
	v_cmp_lt_u32_e64 s[2:3], 39, v0
	s_waitcnt vmcnt(0)
	ds_write_b64 v1, v[120:121]
	s_waitcnt lgkmcnt(0)
	; wave barrier
	s_and_saveexec_b64 s[4:5], s[2:3]
	s_cbranch_execz .LBB57_176
; %bb.167:
	s_andn2_b64 vcc, exec, s[6:7]
	s_cbranch_vccnz .LBB57_169
; %bb.168:
	scratch_load_dwordx2 v[120:121], v17, off
	ds_read_b64 v[122:123], v1
	s_waitcnt vmcnt(0) lgkmcnt(0)
	v_mul_f64 v[120:121], v[120:121], v[122:123]
	s_cbranch_execz .LBB57_170
	s_branch .LBB57_171
.LBB57_169:
                                        ; implicit-def: $vgpr120_vgpr121
.LBB57_170:
	ds_read_b64 v[120:121], v1
.LBB57_171:
	s_and_saveexec_b64 s[8:9], s[0:1]
	s_cbranch_execz .LBB57_175
; %bb.172:
	v_subrev_u32_e32 v122, 40, v0
	s_movk_i32 s30, 0x310
	s_mov_b64 s[0:1], 0
.LBB57_173:                             ; =>This Inner Loop Header: Depth=1
	scratch_load_dwordx2 v[124:125], off, s29
	v_mov_b32_e32 v123, s30
	ds_read_b64 v[126:127], v123
	v_add_u32_e32 v122, -1, v122
	s_add_i32 s30, s30, 8
	s_add_i32 s29, s29, 8
	v_cmp_eq_u32_e32 vcc, 0, v122
	s_or_b64 s[0:1], vcc, s[0:1]
	s_waitcnt vmcnt(0) lgkmcnt(0)
	v_fmac_f64_e32 v[120:121], v[124:125], v[126:127]
	s_andn2_b64 exec, exec, s[0:1]
	s_cbranch_execnz .LBB57_173
; %bb.174:
	s_or_b64 exec, exec, s[0:1]
.LBB57_175:
	s_or_b64 exec, exec, s[8:9]
	v_mov_b32_e32 v122, 0
	ds_read_b64 v[122:123], v122 offset:312
	s_waitcnt lgkmcnt(0)
	v_mul_f64 v[120:121], v[120:121], v[122:123]
	scratch_store_dwordx2 off, v[120:121], off offset:312
.LBB57_176:
	s_or_b64 exec, exec, s[4:5]
	scratch_load_dwordx2 v[120:121], off, off offset:304
	v_cmp_lt_u32_e64 s[0:1], 38, v0
	s_waitcnt vmcnt(0)
	ds_write_b64 v1, v[120:121]
	s_waitcnt lgkmcnt(0)
	; wave barrier
	s_and_saveexec_b64 s[4:5], s[0:1]
	s_cbranch_execz .LBB57_186
; %bb.177:
	s_andn2_b64 vcc, exec, s[6:7]
	s_cbranch_vccnz .LBB57_179
; %bb.178:
	scratch_load_dwordx2 v[120:121], v17, off
	ds_read_b64 v[122:123], v1
	s_waitcnt vmcnt(0) lgkmcnt(0)
	v_mul_f64 v[120:121], v[120:121], v[122:123]
	s_cbranch_execz .LBB57_180
	s_branch .LBB57_181
.LBB57_179:
                                        ; implicit-def: $vgpr120_vgpr121
.LBB57_180:
	ds_read_b64 v[120:121], v1
.LBB57_181:
	s_and_saveexec_b64 s[8:9], s[2:3]
	s_cbranch_execz .LBB57_185
; %bb.182:
	s_movk_i32 s29, 0x138
	v_subrev_u32_e32 v122, 39, v0
	s_movk_i32 s30, 0x308
	s_mov_b64 s[2:3], 0
.LBB57_183:                             ; =>This Inner Loop Header: Depth=1
	scratch_load_dwordx2 v[124:125], off, s29
	v_mov_b32_e32 v123, s30
	ds_read_b64 v[126:127], v123
	v_add_u32_e32 v122, -1, v122
	s_add_i32 s30, s30, 8
	s_add_i32 s29, s29, 8
	v_cmp_eq_u32_e32 vcc, 0, v122
	s_or_b64 s[2:3], vcc, s[2:3]
	s_waitcnt vmcnt(0) lgkmcnt(0)
	v_fmac_f64_e32 v[120:121], v[124:125], v[126:127]
	s_andn2_b64 exec, exec, s[2:3]
	s_cbranch_execnz .LBB57_183
; %bb.184:
	s_or_b64 exec, exec, s[2:3]
.LBB57_185:
	s_or_b64 exec, exec, s[8:9]
	v_mov_b32_e32 v122, 0
	ds_read_b64 v[122:123], v122 offset:304
	s_waitcnt lgkmcnt(0)
	v_mul_f64 v[120:121], v[120:121], v[122:123]
	scratch_store_dwordx2 off, v[120:121], off offset:304
.LBB57_186:
	s_or_b64 exec, exec, s[4:5]
	scratch_load_dwordx2 v[120:121], off, off offset:296
	v_cmp_lt_u32_e64 s[2:3], 37, v0
	s_waitcnt vmcnt(0)
	ds_write_b64 v1, v[120:121]
	s_waitcnt lgkmcnt(0)
	; wave barrier
	s_and_saveexec_b64 s[4:5], s[2:3]
	s_cbranch_execz .LBB57_196
; %bb.187:
	s_andn2_b64 vcc, exec, s[6:7]
	s_cbranch_vccnz .LBB57_189
; %bb.188:
	scratch_load_dwordx2 v[120:121], v17, off
	ds_read_b64 v[122:123], v1
	s_waitcnt vmcnt(0) lgkmcnt(0)
	v_mul_f64 v[120:121], v[120:121], v[122:123]
	s_cbranch_execz .LBB57_190
	s_branch .LBB57_191
.LBB57_189:
                                        ; implicit-def: $vgpr120_vgpr121
.LBB57_190:
	ds_read_b64 v[120:121], v1
.LBB57_191:
	s_and_saveexec_b64 s[8:9], s[0:1]
	s_cbranch_execz .LBB57_195
; %bb.192:
	v_subrev_u32_e32 v122, 38, v0
	s_movk_i32 s29, 0x300
	s_mov_b64 s[0:1], 0
.LBB57_193:                             ; =>This Inner Loop Header: Depth=1
	scratch_load_dwordx2 v[124:125], off, s28
	v_mov_b32_e32 v123, s29
	ds_read_b64 v[126:127], v123
	v_add_u32_e32 v122, -1, v122
	s_add_i32 s29, s29, 8
	s_add_i32 s28, s28, 8
	v_cmp_eq_u32_e32 vcc, 0, v122
	s_or_b64 s[0:1], vcc, s[0:1]
	s_waitcnt vmcnt(0) lgkmcnt(0)
	v_fmac_f64_e32 v[120:121], v[124:125], v[126:127]
	s_andn2_b64 exec, exec, s[0:1]
	s_cbranch_execnz .LBB57_193
; %bb.194:
	s_or_b64 exec, exec, s[0:1]
.LBB57_195:
	s_or_b64 exec, exec, s[8:9]
	v_mov_b32_e32 v122, 0
	ds_read_b64 v[122:123], v122 offset:296
	s_waitcnt lgkmcnt(0)
	v_mul_f64 v[120:121], v[120:121], v[122:123]
	scratch_store_dwordx2 off, v[120:121], off offset:296
.LBB57_196:
	s_or_b64 exec, exec, s[4:5]
	scratch_load_dwordx2 v[120:121], off, off offset:288
	v_cmp_lt_u32_e64 s[0:1], 36, v0
	s_waitcnt vmcnt(0)
	ds_write_b64 v1, v[120:121]
	s_waitcnt lgkmcnt(0)
	; wave barrier
	s_and_saveexec_b64 s[4:5], s[0:1]
	s_cbranch_execz .LBB57_206
; %bb.197:
	s_andn2_b64 vcc, exec, s[6:7]
	s_cbranch_vccnz .LBB57_199
; %bb.198:
	scratch_load_dwordx2 v[120:121], v17, off
	ds_read_b64 v[122:123], v1
	s_waitcnt vmcnt(0) lgkmcnt(0)
	v_mul_f64 v[120:121], v[120:121], v[122:123]
	s_cbranch_execz .LBB57_200
	s_branch .LBB57_201
.LBB57_199:
                                        ; implicit-def: $vgpr120_vgpr121
.LBB57_200:
	ds_read_b64 v[120:121], v1
.LBB57_201:
	s_and_saveexec_b64 s[8:9], s[2:3]
	s_cbranch_execz .LBB57_205
; %bb.202:
	s_movk_i32 s28, 0x128
	v_subrev_u32_e32 v122, 37, v0
	s_movk_i32 s29, 0x2f8
	s_mov_b64 s[2:3], 0
.LBB57_203:                             ; =>This Inner Loop Header: Depth=1
	scratch_load_dwordx2 v[124:125], off, s28
	v_mov_b32_e32 v123, s29
	ds_read_b64 v[126:127], v123
	v_add_u32_e32 v122, -1, v122
	s_add_i32 s29, s29, 8
	s_add_i32 s28, s28, 8
	v_cmp_eq_u32_e32 vcc, 0, v122
	s_or_b64 s[2:3], vcc, s[2:3]
	s_waitcnt vmcnt(0) lgkmcnt(0)
	v_fmac_f64_e32 v[120:121], v[124:125], v[126:127]
	s_andn2_b64 exec, exec, s[2:3]
	s_cbranch_execnz .LBB57_203
; %bb.204:
	s_or_b64 exec, exec, s[2:3]
.LBB57_205:
	s_or_b64 exec, exec, s[8:9]
	v_mov_b32_e32 v122, 0
	ds_read_b64 v[122:123], v122 offset:288
	s_waitcnt lgkmcnt(0)
	v_mul_f64 v[120:121], v[120:121], v[122:123]
	scratch_store_dwordx2 off, v[120:121], off offset:288
.LBB57_206:
	s_or_b64 exec, exec, s[4:5]
	scratch_load_dwordx2 v[120:121], off, off offset:280
	v_cmp_lt_u32_e64 s[2:3], 35, v0
	s_waitcnt vmcnt(0)
	ds_write_b64 v1, v[120:121]
	s_waitcnt lgkmcnt(0)
	; wave barrier
	s_and_saveexec_b64 s[4:5], s[2:3]
	s_cbranch_execz .LBB57_216
; %bb.207:
	s_andn2_b64 vcc, exec, s[6:7]
	s_cbranch_vccnz .LBB57_209
; %bb.208:
	scratch_load_dwordx2 v[120:121], v17, off
	ds_read_b64 v[122:123], v1
	s_waitcnt vmcnt(0) lgkmcnt(0)
	v_mul_f64 v[120:121], v[120:121], v[122:123]
	s_cbranch_execz .LBB57_210
	s_branch .LBB57_211
.LBB57_209:
                                        ; implicit-def: $vgpr120_vgpr121
.LBB57_210:
	ds_read_b64 v[120:121], v1
.LBB57_211:
	s_and_saveexec_b64 s[8:9], s[0:1]
	s_cbranch_execz .LBB57_215
; %bb.212:
	v_subrev_u32_e32 v122, 36, v0
	s_movk_i32 s28, 0x2f0
	s_mov_b64 s[0:1], 0
.LBB57_213:                             ; =>This Inner Loop Header: Depth=1
	scratch_load_dwordx2 v[124:125], off, s27
	v_mov_b32_e32 v123, s28
	ds_read_b64 v[126:127], v123
	v_add_u32_e32 v122, -1, v122
	s_add_i32 s28, s28, 8
	s_add_i32 s27, s27, 8
	v_cmp_eq_u32_e32 vcc, 0, v122
	s_or_b64 s[0:1], vcc, s[0:1]
	s_waitcnt vmcnt(0) lgkmcnt(0)
	v_fmac_f64_e32 v[120:121], v[124:125], v[126:127]
	s_andn2_b64 exec, exec, s[0:1]
	s_cbranch_execnz .LBB57_213
; %bb.214:
	s_or_b64 exec, exec, s[0:1]
.LBB57_215:
	s_or_b64 exec, exec, s[8:9]
	v_mov_b32_e32 v122, 0
	ds_read_b64 v[122:123], v122 offset:280
	s_waitcnt lgkmcnt(0)
	v_mul_f64 v[120:121], v[120:121], v[122:123]
	scratch_store_dwordx2 off, v[120:121], off offset:280
.LBB57_216:
	s_or_b64 exec, exec, s[4:5]
	scratch_load_dwordx2 v[120:121], off, off offset:272
	v_cmp_lt_u32_e64 s[0:1], 34, v0
	s_waitcnt vmcnt(0)
	ds_write_b64 v1, v[120:121]
	s_waitcnt lgkmcnt(0)
	; wave barrier
	s_and_saveexec_b64 s[4:5], s[0:1]
	s_cbranch_execz .LBB57_226
; %bb.217:
	s_andn2_b64 vcc, exec, s[6:7]
	s_cbranch_vccnz .LBB57_219
; %bb.218:
	scratch_load_dwordx2 v[120:121], v17, off
	ds_read_b64 v[122:123], v1
	s_waitcnt vmcnt(0) lgkmcnt(0)
	v_mul_f64 v[120:121], v[120:121], v[122:123]
	s_cbranch_execz .LBB57_220
	s_branch .LBB57_221
.LBB57_219:
                                        ; implicit-def: $vgpr120_vgpr121
.LBB57_220:
	ds_read_b64 v[120:121], v1
.LBB57_221:
	s_and_saveexec_b64 s[8:9], s[2:3]
	s_cbranch_execz .LBB57_225
; %bb.222:
	s_movk_i32 s27, 0x118
	v_subrev_u32_e32 v122, 35, v0
	s_movk_i32 s28, 0x2e8
	s_mov_b64 s[2:3], 0
.LBB57_223:                             ; =>This Inner Loop Header: Depth=1
	scratch_load_dwordx2 v[124:125], off, s27
	v_mov_b32_e32 v123, s28
	ds_read_b64 v[126:127], v123
	v_add_u32_e32 v122, -1, v122
	s_add_i32 s28, s28, 8
	s_add_i32 s27, s27, 8
	v_cmp_eq_u32_e32 vcc, 0, v122
	s_or_b64 s[2:3], vcc, s[2:3]
	s_waitcnt vmcnt(0) lgkmcnt(0)
	v_fmac_f64_e32 v[120:121], v[124:125], v[126:127]
	s_andn2_b64 exec, exec, s[2:3]
	s_cbranch_execnz .LBB57_223
; %bb.224:
	s_or_b64 exec, exec, s[2:3]
.LBB57_225:
	s_or_b64 exec, exec, s[8:9]
	v_mov_b32_e32 v122, 0
	ds_read_b64 v[122:123], v122 offset:272
	s_waitcnt lgkmcnt(0)
	v_mul_f64 v[120:121], v[120:121], v[122:123]
	scratch_store_dwordx2 off, v[120:121], off offset:272
.LBB57_226:
	s_or_b64 exec, exec, s[4:5]
	scratch_load_dwordx2 v[120:121], off, off offset:264
	v_cmp_lt_u32_e64 s[2:3], 33, v0
	s_waitcnt vmcnt(0)
	ds_write_b64 v1, v[120:121]
	s_waitcnt lgkmcnt(0)
	; wave barrier
	s_and_saveexec_b64 s[4:5], s[2:3]
	s_cbranch_execz .LBB57_236
; %bb.227:
	s_andn2_b64 vcc, exec, s[6:7]
	s_cbranch_vccnz .LBB57_229
; %bb.228:
	scratch_load_dwordx2 v[120:121], v17, off
	ds_read_b64 v[122:123], v1
	s_waitcnt vmcnt(0) lgkmcnt(0)
	v_mul_f64 v[120:121], v[120:121], v[122:123]
	s_cbranch_execz .LBB57_230
	s_branch .LBB57_231
.LBB57_229:
                                        ; implicit-def: $vgpr120_vgpr121
.LBB57_230:
	ds_read_b64 v[120:121], v1
.LBB57_231:
	s_and_saveexec_b64 s[8:9], s[0:1]
	s_cbranch_execz .LBB57_235
; %bb.232:
	v_subrev_u32_e32 v122, 34, v0
	s_movk_i32 s27, 0x2e0
	s_mov_b64 s[0:1], 0
.LBB57_233:                             ; =>This Inner Loop Header: Depth=1
	scratch_load_dwordx2 v[124:125], off, s26
	v_mov_b32_e32 v123, s27
	ds_read_b64 v[126:127], v123
	v_add_u32_e32 v122, -1, v122
	s_add_i32 s27, s27, 8
	s_add_i32 s26, s26, 8
	v_cmp_eq_u32_e32 vcc, 0, v122
	s_or_b64 s[0:1], vcc, s[0:1]
	s_waitcnt vmcnt(0) lgkmcnt(0)
	v_fmac_f64_e32 v[120:121], v[124:125], v[126:127]
	s_andn2_b64 exec, exec, s[0:1]
	s_cbranch_execnz .LBB57_233
; %bb.234:
	s_or_b64 exec, exec, s[0:1]
.LBB57_235:
	s_or_b64 exec, exec, s[8:9]
	v_mov_b32_e32 v122, 0
	ds_read_b64 v[122:123], v122 offset:264
	s_waitcnt lgkmcnt(0)
	v_mul_f64 v[120:121], v[120:121], v[122:123]
	scratch_store_dwordx2 off, v[120:121], off offset:264
.LBB57_236:
	s_or_b64 exec, exec, s[4:5]
	scratch_load_dwordx2 v[120:121], off, off offset:256
	v_cmp_lt_u32_e64 s[0:1], 32, v0
	s_waitcnt vmcnt(0)
	ds_write_b64 v1, v[120:121]
	s_waitcnt lgkmcnt(0)
	; wave barrier
	s_and_saveexec_b64 s[4:5], s[0:1]
	s_cbranch_execz .LBB57_246
; %bb.237:
	s_andn2_b64 vcc, exec, s[6:7]
	s_cbranch_vccnz .LBB57_239
; %bb.238:
	scratch_load_dwordx2 v[120:121], v17, off
	ds_read_b64 v[122:123], v1
	s_waitcnt vmcnt(0) lgkmcnt(0)
	v_mul_f64 v[120:121], v[120:121], v[122:123]
	s_cbranch_execz .LBB57_240
	s_branch .LBB57_241
.LBB57_239:
                                        ; implicit-def: $vgpr120_vgpr121
.LBB57_240:
	ds_read_b64 v[120:121], v1
.LBB57_241:
	s_and_saveexec_b64 s[8:9], s[2:3]
	s_cbranch_execz .LBB57_245
; %bb.242:
	s_movk_i32 s26, 0x108
	v_subrev_u32_e32 v122, 33, v0
	s_movk_i32 s27, 0x2d8
	s_mov_b64 s[2:3], 0
.LBB57_243:                             ; =>This Inner Loop Header: Depth=1
	scratch_load_dwordx2 v[124:125], off, s26
	v_mov_b32_e32 v123, s27
	ds_read_b64 v[126:127], v123
	v_add_u32_e32 v122, -1, v122
	s_add_i32 s27, s27, 8
	s_add_i32 s26, s26, 8
	v_cmp_eq_u32_e32 vcc, 0, v122
	s_or_b64 s[2:3], vcc, s[2:3]
	s_waitcnt vmcnt(0) lgkmcnt(0)
	v_fmac_f64_e32 v[120:121], v[124:125], v[126:127]
	s_andn2_b64 exec, exec, s[2:3]
	s_cbranch_execnz .LBB57_243
; %bb.244:
	s_or_b64 exec, exec, s[2:3]
.LBB57_245:
	s_or_b64 exec, exec, s[8:9]
	v_mov_b32_e32 v122, 0
	ds_read_b64 v[122:123], v122 offset:256
	s_waitcnt lgkmcnt(0)
	v_mul_f64 v[120:121], v[120:121], v[122:123]
	scratch_store_dwordx2 off, v[120:121], off offset:256
.LBB57_246:
	s_or_b64 exec, exec, s[4:5]
	scratch_load_dwordx2 v[120:121], off, off offset:248
	v_cmp_lt_u32_e64 s[2:3], 31, v0
	s_waitcnt vmcnt(0)
	ds_write_b64 v1, v[120:121]
	s_waitcnt lgkmcnt(0)
	; wave barrier
	s_and_saveexec_b64 s[4:5], s[2:3]
	s_cbranch_execz .LBB57_256
; %bb.247:
	s_andn2_b64 vcc, exec, s[6:7]
	s_cbranch_vccnz .LBB57_249
; %bb.248:
	scratch_load_dwordx2 v[120:121], v17, off
	ds_read_b64 v[122:123], v1
	s_waitcnt vmcnt(0) lgkmcnt(0)
	v_mul_f64 v[120:121], v[120:121], v[122:123]
	s_cbranch_execz .LBB57_250
	s_branch .LBB57_251
.LBB57_249:
                                        ; implicit-def: $vgpr120_vgpr121
.LBB57_250:
	ds_read_b64 v[120:121], v1
.LBB57_251:
	s_and_saveexec_b64 s[8:9], s[0:1]
	s_cbranch_execz .LBB57_255
; %bb.252:
	v_subrev_u32_e32 v122, 32, v0
	s_movk_i32 s26, 0x2d0
	s_mov_b64 s[0:1], 0
.LBB57_253:                             ; =>This Inner Loop Header: Depth=1
	scratch_load_dwordx2 v[124:125], off, s25
	v_mov_b32_e32 v123, s26
	ds_read_b64 v[126:127], v123
	v_add_u32_e32 v122, -1, v122
	s_add_i32 s26, s26, 8
	s_add_i32 s25, s25, 8
	v_cmp_eq_u32_e32 vcc, 0, v122
	s_or_b64 s[0:1], vcc, s[0:1]
	s_waitcnt vmcnt(0) lgkmcnt(0)
	v_fmac_f64_e32 v[120:121], v[124:125], v[126:127]
	s_andn2_b64 exec, exec, s[0:1]
	s_cbranch_execnz .LBB57_253
; %bb.254:
	s_or_b64 exec, exec, s[0:1]
.LBB57_255:
	s_or_b64 exec, exec, s[8:9]
	v_mov_b32_e32 v122, 0
	ds_read_b64 v[122:123], v122 offset:248
	s_waitcnt lgkmcnt(0)
	v_mul_f64 v[120:121], v[120:121], v[122:123]
	scratch_store_dwordx2 off, v[120:121], off offset:248
.LBB57_256:
	s_or_b64 exec, exec, s[4:5]
	scratch_load_dwordx2 v[120:121], off, off offset:240
	v_cmp_lt_u32_e64 s[0:1], 30, v0
	s_waitcnt vmcnt(0)
	ds_write_b64 v1, v[120:121]
	s_waitcnt lgkmcnt(0)
	; wave barrier
	s_and_saveexec_b64 s[4:5], s[0:1]
	s_cbranch_execz .LBB57_266
; %bb.257:
	s_andn2_b64 vcc, exec, s[6:7]
	s_cbranch_vccnz .LBB57_259
; %bb.258:
	scratch_load_dwordx2 v[120:121], v17, off
	ds_read_b64 v[122:123], v1
	s_waitcnt vmcnt(0) lgkmcnt(0)
	v_mul_f64 v[120:121], v[120:121], v[122:123]
	s_cbranch_execz .LBB57_260
	s_branch .LBB57_261
.LBB57_259:
                                        ; implicit-def: $vgpr120_vgpr121
.LBB57_260:
	ds_read_b64 v[120:121], v1
.LBB57_261:
	s_and_saveexec_b64 s[8:9], s[2:3]
	s_cbranch_execz .LBB57_265
; %bb.262:
	s_movk_i32 s25, 0xf8
	v_subrev_u32_e32 v122, 31, v0
	s_movk_i32 s26, 0x2c8
	s_mov_b64 s[2:3], 0
.LBB57_263:                             ; =>This Inner Loop Header: Depth=1
	scratch_load_dwordx2 v[124:125], off, s25
	v_mov_b32_e32 v123, s26
	ds_read_b64 v[126:127], v123
	v_add_u32_e32 v122, -1, v122
	s_add_i32 s26, s26, 8
	s_add_i32 s25, s25, 8
	v_cmp_eq_u32_e32 vcc, 0, v122
	s_or_b64 s[2:3], vcc, s[2:3]
	s_waitcnt vmcnt(0) lgkmcnt(0)
	v_fmac_f64_e32 v[120:121], v[124:125], v[126:127]
	s_andn2_b64 exec, exec, s[2:3]
	s_cbranch_execnz .LBB57_263
; %bb.264:
	s_or_b64 exec, exec, s[2:3]
.LBB57_265:
	s_or_b64 exec, exec, s[8:9]
	v_mov_b32_e32 v122, 0
	ds_read_b64 v[122:123], v122 offset:240
	s_waitcnt lgkmcnt(0)
	v_mul_f64 v[120:121], v[120:121], v[122:123]
	scratch_store_dwordx2 off, v[120:121], off offset:240
.LBB57_266:
	s_or_b64 exec, exec, s[4:5]
	scratch_load_dwordx2 v[120:121], off, off offset:232
	v_cmp_lt_u32_e64 s[2:3], 29, v0
	s_waitcnt vmcnt(0)
	ds_write_b64 v1, v[120:121]
	s_waitcnt lgkmcnt(0)
	; wave barrier
	s_and_saveexec_b64 s[4:5], s[2:3]
	s_cbranch_execz .LBB57_276
; %bb.267:
	s_andn2_b64 vcc, exec, s[6:7]
	s_cbranch_vccnz .LBB57_269
; %bb.268:
	scratch_load_dwordx2 v[120:121], v17, off
	ds_read_b64 v[122:123], v1
	s_waitcnt vmcnt(0) lgkmcnt(0)
	v_mul_f64 v[120:121], v[120:121], v[122:123]
	s_cbranch_execz .LBB57_270
	s_branch .LBB57_271
.LBB57_269:
                                        ; implicit-def: $vgpr120_vgpr121
.LBB57_270:
	ds_read_b64 v[120:121], v1
.LBB57_271:
	s_and_saveexec_b64 s[8:9], s[0:1]
	s_cbranch_execz .LBB57_275
; %bb.272:
	v_subrev_u32_e32 v122, 30, v0
	s_movk_i32 s25, 0x2c0
	s_mov_b64 s[0:1], 0
.LBB57_273:                             ; =>This Inner Loop Header: Depth=1
	scratch_load_dwordx2 v[124:125], off, s24
	v_mov_b32_e32 v123, s25
	ds_read_b64 v[126:127], v123
	v_add_u32_e32 v122, -1, v122
	s_add_i32 s25, s25, 8
	s_add_i32 s24, s24, 8
	v_cmp_eq_u32_e32 vcc, 0, v122
	s_or_b64 s[0:1], vcc, s[0:1]
	s_waitcnt vmcnt(0) lgkmcnt(0)
	v_fmac_f64_e32 v[120:121], v[124:125], v[126:127]
	s_andn2_b64 exec, exec, s[0:1]
	s_cbranch_execnz .LBB57_273
; %bb.274:
	s_or_b64 exec, exec, s[0:1]
.LBB57_275:
	s_or_b64 exec, exec, s[8:9]
	v_mov_b32_e32 v122, 0
	ds_read_b64 v[122:123], v122 offset:232
	s_waitcnt lgkmcnt(0)
	v_mul_f64 v[120:121], v[120:121], v[122:123]
	scratch_store_dwordx2 off, v[120:121], off offset:232
.LBB57_276:
	s_or_b64 exec, exec, s[4:5]
	scratch_load_dwordx2 v[120:121], off, off offset:224
	v_cmp_lt_u32_e64 s[0:1], 28, v0
	s_waitcnt vmcnt(0)
	ds_write_b64 v1, v[120:121]
	s_waitcnt lgkmcnt(0)
	; wave barrier
	s_and_saveexec_b64 s[4:5], s[0:1]
	s_cbranch_execz .LBB57_286
; %bb.277:
	s_andn2_b64 vcc, exec, s[6:7]
	s_cbranch_vccnz .LBB57_279
; %bb.278:
	scratch_load_dwordx2 v[120:121], v17, off
	ds_read_b64 v[122:123], v1
	s_waitcnt vmcnt(0) lgkmcnt(0)
	v_mul_f64 v[120:121], v[120:121], v[122:123]
	s_cbranch_execz .LBB57_280
	s_branch .LBB57_281
.LBB57_279:
                                        ; implicit-def: $vgpr120_vgpr121
.LBB57_280:
	ds_read_b64 v[120:121], v1
.LBB57_281:
	s_and_saveexec_b64 s[8:9], s[2:3]
	s_cbranch_execz .LBB57_285
; %bb.282:
	s_movk_i32 s24, 0xe8
	v_subrev_u32_e32 v122, 29, v0
	s_movk_i32 s25, 0x2b8
	s_mov_b64 s[2:3], 0
.LBB57_283:                             ; =>This Inner Loop Header: Depth=1
	scratch_load_dwordx2 v[124:125], off, s24
	v_mov_b32_e32 v123, s25
	ds_read_b64 v[126:127], v123
	v_add_u32_e32 v122, -1, v122
	s_add_i32 s25, s25, 8
	s_add_i32 s24, s24, 8
	v_cmp_eq_u32_e32 vcc, 0, v122
	s_or_b64 s[2:3], vcc, s[2:3]
	s_waitcnt vmcnt(0) lgkmcnt(0)
	v_fmac_f64_e32 v[120:121], v[124:125], v[126:127]
	s_andn2_b64 exec, exec, s[2:3]
	s_cbranch_execnz .LBB57_283
; %bb.284:
	s_or_b64 exec, exec, s[2:3]
.LBB57_285:
	s_or_b64 exec, exec, s[8:9]
	v_mov_b32_e32 v122, 0
	ds_read_b64 v[122:123], v122 offset:224
	s_waitcnt lgkmcnt(0)
	v_mul_f64 v[120:121], v[120:121], v[122:123]
	scratch_store_dwordx2 off, v[120:121], off offset:224
.LBB57_286:
	s_or_b64 exec, exec, s[4:5]
	scratch_load_dwordx2 v[120:121], off, off offset:216
	v_cmp_lt_u32_e64 s[2:3], 27, v0
	s_waitcnt vmcnt(0)
	ds_write_b64 v1, v[120:121]
	s_waitcnt lgkmcnt(0)
	; wave barrier
	s_and_saveexec_b64 s[4:5], s[2:3]
	s_cbranch_execz .LBB57_296
; %bb.287:
	s_andn2_b64 vcc, exec, s[6:7]
	s_cbranch_vccnz .LBB57_289
; %bb.288:
	scratch_load_dwordx2 v[120:121], v17, off
	ds_read_b64 v[122:123], v1
	s_waitcnt vmcnt(0) lgkmcnt(0)
	v_mul_f64 v[120:121], v[120:121], v[122:123]
	s_cbranch_execz .LBB57_290
	s_branch .LBB57_291
.LBB57_289:
                                        ; implicit-def: $vgpr120_vgpr121
.LBB57_290:
	ds_read_b64 v[120:121], v1
.LBB57_291:
	s_and_saveexec_b64 s[8:9], s[0:1]
	s_cbranch_execz .LBB57_295
; %bb.292:
	v_subrev_u32_e32 v122, 28, v0
	s_movk_i32 s24, 0x2b0
	s_mov_b64 s[0:1], 0
.LBB57_293:                             ; =>This Inner Loop Header: Depth=1
	scratch_load_dwordx2 v[124:125], off, s23
	v_mov_b32_e32 v123, s24
	ds_read_b64 v[126:127], v123
	v_add_u32_e32 v122, -1, v122
	s_add_i32 s24, s24, 8
	s_add_i32 s23, s23, 8
	v_cmp_eq_u32_e32 vcc, 0, v122
	s_or_b64 s[0:1], vcc, s[0:1]
	s_waitcnt vmcnt(0) lgkmcnt(0)
	v_fmac_f64_e32 v[120:121], v[124:125], v[126:127]
	s_andn2_b64 exec, exec, s[0:1]
	s_cbranch_execnz .LBB57_293
; %bb.294:
	s_or_b64 exec, exec, s[0:1]
.LBB57_295:
	s_or_b64 exec, exec, s[8:9]
	v_mov_b32_e32 v122, 0
	ds_read_b64 v[122:123], v122 offset:216
	s_waitcnt lgkmcnt(0)
	v_mul_f64 v[120:121], v[120:121], v[122:123]
	scratch_store_dwordx2 off, v[120:121], off offset:216
.LBB57_296:
	s_or_b64 exec, exec, s[4:5]
	scratch_load_dwordx2 v[120:121], off, off offset:208
	v_cmp_lt_u32_e64 s[0:1], 26, v0
	s_waitcnt vmcnt(0)
	ds_write_b64 v1, v[120:121]
	s_waitcnt lgkmcnt(0)
	; wave barrier
	s_and_saveexec_b64 s[4:5], s[0:1]
	s_cbranch_execz .LBB57_306
; %bb.297:
	s_andn2_b64 vcc, exec, s[6:7]
	s_cbranch_vccnz .LBB57_299
; %bb.298:
	scratch_load_dwordx2 v[120:121], v17, off
	ds_read_b64 v[122:123], v1
	s_waitcnt vmcnt(0) lgkmcnt(0)
	v_mul_f64 v[120:121], v[120:121], v[122:123]
	s_cbranch_execz .LBB57_300
	s_branch .LBB57_301
.LBB57_299:
                                        ; implicit-def: $vgpr120_vgpr121
.LBB57_300:
	ds_read_b64 v[120:121], v1
.LBB57_301:
	s_and_saveexec_b64 s[8:9], s[2:3]
	s_cbranch_execz .LBB57_305
; %bb.302:
	s_movk_i32 s23, 0xd8
	v_subrev_u32_e32 v122, 27, v0
	s_movk_i32 s24, 0x2a8
	s_mov_b64 s[2:3], 0
.LBB57_303:                             ; =>This Inner Loop Header: Depth=1
	scratch_load_dwordx2 v[124:125], off, s23
	v_mov_b32_e32 v123, s24
	ds_read_b64 v[126:127], v123
	v_add_u32_e32 v122, -1, v122
	s_add_i32 s24, s24, 8
	s_add_i32 s23, s23, 8
	v_cmp_eq_u32_e32 vcc, 0, v122
	s_or_b64 s[2:3], vcc, s[2:3]
	s_waitcnt vmcnt(0) lgkmcnt(0)
	v_fmac_f64_e32 v[120:121], v[124:125], v[126:127]
	s_andn2_b64 exec, exec, s[2:3]
	s_cbranch_execnz .LBB57_303
; %bb.304:
	s_or_b64 exec, exec, s[2:3]
.LBB57_305:
	s_or_b64 exec, exec, s[8:9]
	v_mov_b32_e32 v122, 0
	ds_read_b64 v[122:123], v122 offset:208
	s_waitcnt lgkmcnt(0)
	v_mul_f64 v[120:121], v[120:121], v[122:123]
	scratch_store_dwordx2 off, v[120:121], off offset:208
.LBB57_306:
	s_or_b64 exec, exec, s[4:5]
	scratch_load_dwordx2 v[120:121], off, off offset:200
	v_cmp_lt_u32_e64 s[2:3], 25, v0
	s_waitcnt vmcnt(0)
	ds_write_b64 v1, v[120:121]
	s_waitcnt lgkmcnt(0)
	; wave barrier
	s_and_saveexec_b64 s[4:5], s[2:3]
	s_cbranch_execz .LBB57_316
; %bb.307:
	s_andn2_b64 vcc, exec, s[6:7]
	s_cbranch_vccnz .LBB57_309
; %bb.308:
	scratch_load_dwordx2 v[120:121], v17, off
	ds_read_b64 v[122:123], v1
	s_waitcnt vmcnt(0) lgkmcnt(0)
	v_mul_f64 v[120:121], v[120:121], v[122:123]
	s_cbranch_execz .LBB57_310
	s_branch .LBB57_311
.LBB57_309:
                                        ; implicit-def: $vgpr120_vgpr121
.LBB57_310:
	ds_read_b64 v[120:121], v1
.LBB57_311:
	s_and_saveexec_b64 s[8:9], s[0:1]
	s_cbranch_execz .LBB57_315
; %bb.312:
	v_subrev_u32_e32 v122, 26, v0
	s_movk_i32 s23, 0x2a0
	s_mov_b64 s[0:1], 0
.LBB57_313:                             ; =>This Inner Loop Header: Depth=1
	scratch_load_dwordx2 v[124:125], off, s22
	v_mov_b32_e32 v123, s23
	ds_read_b64 v[126:127], v123
	v_add_u32_e32 v122, -1, v122
	s_add_i32 s23, s23, 8
	s_add_i32 s22, s22, 8
	v_cmp_eq_u32_e32 vcc, 0, v122
	s_or_b64 s[0:1], vcc, s[0:1]
	s_waitcnt vmcnt(0) lgkmcnt(0)
	v_fmac_f64_e32 v[120:121], v[124:125], v[126:127]
	s_andn2_b64 exec, exec, s[0:1]
	s_cbranch_execnz .LBB57_313
; %bb.314:
	s_or_b64 exec, exec, s[0:1]
.LBB57_315:
	s_or_b64 exec, exec, s[8:9]
	v_mov_b32_e32 v122, 0
	ds_read_b64 v[122:123], v122 offset:200
	s_waitcnt lgkmcnt(0)
	v_mul_f64 v[120:121], v[120:121], v[122:123]
	scratch_store_dwordx2 off, v[120:121], off offset:200
.LBB57_316:
	s_or_b64 exec, exec, s[4:5]
	scratch_load_dwordx2 v[120:121], off, off offset:192
	v_cmp_lt_u32_e64 s[0:1], 24, v0
	s_waitcnt vmcnt(0)
	ds_write_b64 v1, v[120:121]
	s_waitcnt lgkmcnt(0)
	; wave barrier
	s_and_saveexec_b64 s[4:5], s[0:1]
	s_cbranch_execz .LBB57_326
; %bb.317:
	s_andn2_b64 vcc, exec, s[6:7]
	s_cbranch_vccnz .LBB57_319
; %bb.318:
	scratch_load_dwordx2 v[120:121], v17, off
	ds_read_b64 v[122:123], v1
	s_waitcnt vmcnt(0) lgkmcnt(0)
	v_mul_f64 v[120:121], v[120:121], v[122:123]
	s_cbranch_execz .LBB57_320
	s_branch .LBB57_321
.LBB57_319:
                                        ; implicit-def: $vgpr120_vgpr121
.LBB57_320:
	ds_read_b64 v[120:121], v1
.LBB57_321:
	s_and_saveexec_b64 s[8:9], s[2:3]
	s_cbranch_execz .LBB57_325
; %bb.322:
	s_movk_i32 s22, 0xc8
	v_subrev_u32_e32 v122, 25, v0
	s_movk_i32 s23, 0x298
	s_mov_b64 s[2:3], 0
.LBB57_323:                             ; =>This Inner Loop Header: Depth=1
	scratch_load_dwordx2 v[124:125], off, s22
	v_mov_b32_e32 v123, s23
	ds_read_b64 v[126:127], v123
	v_add_u32_e32 v122, -1, v122
	s_add_i32 s23, s23, 8
	s_add_i32 s22, s22, 8
	v_cmp_eq_u32_e32 vcc, 0, v122
	s_or_b64 s[2:3], vcc, s[2:3]
	s_waitcnt vmcnt(0) lgkmcnt(0)
	v_fmac_f64_e32 v[120:121], v[124:125], v[126:127]
	s_andn2_b64 exec, exec, s[2:3]
	s_cbranch_execnz .LBB57_323
; %bb.324:
	s_or_b64 exec, exec, s[2:3]
.LBB57_325:
	s_or_b64 exec, exec, s[8:9]
	v_mov_b32_e32 v122, 0
	ds_read_b64 v[122:123], v122 offset:192
	s_waitcnt lgkmcnt(0)
	v_mul_f64 v[120:121], v[120:121], v[122:123]
	scratch_store_dwordx2 off, v[120:121], off offset:192
.LBB57_326:
	s_or_b64 exec, exec, s[4:5]
	scratch_load_dwordx2 v[120:121], off, off offset:184
	v_cmp_lt_u32_e64 s[2:3], 23, v0
	s_waitcnt vmcnt(0)
	ds_write_b64 v1, v[120:121]
	s_waitcnt lgkmcnt(0)
	; wave barrier
	s_and_saveexec_b64 s[4:5], s[2:3]
	s_cbranch_execz .LBB57_336
; %bb.327:
	s_andn2_b64 vcc, exec, s[6:7]
	s_cbranch_vccnz .LBB57_329
; %bb.328:
	scratch_load_dwordx2 v[120:121], v17, off
	ds_read_b64 v[122:123], v1
	s_waitcnt vmcnt(0) lgkmcnt(0)
	v_mul_f64 v[120:121], v[120:121], v[122:123]
	s_cbranch_execz .LBB57_330
	s_branch .LBB57_331
.LBB57_329:
                                        ; implicit-def: $vgpr120_vgpr121
.LBB57_330:
	ds_read_b64 v[120:121], v1
.LBB57_331:
	s_and_saveexec_b64 s[8:9], s[0:1]
	s_cbranch_execz .LBB57_335
; %bb.332:
	v_subrev_u32_e32 v122, 24, v0
	s_movk_i32 s22, 0x290
	s_mov_b64 s[0:1], 0
.LBB57_333:                             ; =>This Inner Loop Header: Depth=1
	scratch_load_dwordx2 v[124:125], off, s21
	v_mov_b32_e32 v123, s22
	ds_read_b64 v[126:127], v123
	v_add_u32_e32 v122, -1, v122
	s_add_i32 s22, s22, 8
	s_add_i32 s21, s21, 8
	v_cmp_eq_u32_e32 vcc, 0, v122
	s_or_b64 s[0:1], vcc, s[0:1]
	s_waitcnt vmcnt(0) lgkmcnt(0)
	v_fmac_f64_e32 v[120:121], v[124:125], v[126:127]
	s_andn2_b64 exec, exec, s[0:1]
	s_cbranch_execnz .LBB57_333
; %bb.334:
	s_or_b64 exec, exec, s[0:1]
.LBB57_335:
	s_or_b64 exec, exec, s[8:9]
	v_mov_b32_e32 v122, 0
	ds_read_b64 v[122:123], v122 offset:184
	s_waitcnt lgkmcnt(0)
	v_mul_f64 v[120:121], v[120:121], v[122:123]
	scratch_store_dwordx2 off, v[120:121], off offset:184
.LBB57_336:
	s_or_b64 exec, exec, s[4:5]
	scratch_load_dwordx2 v[120:121], off, off offset:176
	v_cmp_lt_u32_e64 s[0:1], 22, v0
	s_waitcnt vmcnt(0)
	ds_write_b64 v1, v[120:121]
	s_waitcnt lgkmcnt(0)
	; wave barrier
	s_and_saveexec_b64 s[4:5], s[0:1]
	s_cbranch_execz .LBB57_346
; %bb.337:
	s_andn2_b64 vcc, exec, s[6:7]
	s_cbranch_vccnz .LBB57_339
; %bb.338:
	scratch_load_dwordx2 v[120:121], v17, off
	ds_read_b64 v[122:123], v1
	s_waitcnt vmcnt(0) lgkmcnt(0)
	v_mul_f64 v[120:121], v[120:121], v[122:123]
	s_cbranch_execz .LBB57_340
	s_branch .LBB57_341
.LBB57_339:
                                        ; implicit-def: $vgpr120_vgpr121
.LBB57_340:
	ds_read_b64 v[120:121], v1
.LBB57_341:
	s_and_saveexec_b64 s[8:9], s[2:3]
	s_cbranch_execz .LBB57_345
; %bb.342:
	s_movk_i32 s21, 0xb8
	v_subrev_u32_e32 v122, 23, v0
	s_movk_i32 s22, 0x288
	s_mov_b64 s[2:3], 0
.LBB57_343:                             ; =>This Inner Loop Header: Depth=1
	scratch_load_dwordx2 v[124:125], off, s21
	v_mov_b32_e32 v123, s22
	ds_read_b64 v[126:127], v123
	v_add_u32_e32 v122, -1, v122
	s_add_i32 s22, s22, 8
	s_add_i32 s21, s21, 8
	v_cmp_eq_u32_e32 vcc, 0, v122
	s_or_b64 s[2:3], vcc, s[2:3]
	s_waitcnt vmcnt(0) lgkmcnt(0)
	v_fmac_f64_e32 v[120:121], v[124:125], v[126:127]
	s_andn2_b64 exec, exec, s[2:3]
	s_cbranch_execnz .LBB57_343
; %bb.344:
	s_or_b64 exec, exec, s[2:3]
.LBB57_345:
	s_or_b64 exec, exec, s[8:9]
	v_mov_b32_e32 v122, 0
	ds_read_b64 v[122:123], v122 offset:176
	s_waitcnt lgkmcnt(0)
	v_mul_f64 v[120:121], v[120:121], v[122:123]
	scratch_store_dwordx2 off, v[120:121], off offset:176
.LBB57_346:
	s_or_b64 exec, exec, s[4:5]
	scratch_load_dwordx2 v[120:121], off, off offset:168
	v_cmp_lt_u32_e64 s[2:3], 21, v0
	s_waitcnt vmcnt(0)
	ds_write_b64 v1, v[120:121]
	s_waitcnt lgkmcnt(0)
	; wave barrier
	s_and_saveexec_b64 s[4:5], s[2:3]
	s_cbranch_execz .LBB57_356
; %bb.347:
	s_andn2_b64 vcc, exec, s[6:7]
	s_cbranch_vccnz .LBB57_349
; %bb.348:
	scratch_load_dwordx2 v[120:121], v17, off
	ds_read_b64 v[122:123], v1
	s_waitcnt vmcnt(0) lgkmcnt(0)
	v_mul_f64 v[120:121], v[120:121], v[122:123]
	s_cbranch_execz .LBB57_350
	s_branch .LBB57_351
.LBB57_349:
                                        ; implicit-def: $vgpr120_vgpr121
.LBB57_350:
	ds_read_b64 v[120:121], v1
.LBB57_351:
	s_and_saveexec_b64 s[8:9], s[0:1]
	s_cbranch_execz .LBB57_355
; %bb.352:
	v_subrev_u32_e32 v122, 22, v0
	s_movk_i32 s21, 0x280
	s_mov_b64 s[0:1], 0
.LBB57_353:                             ; =>This Inner Loop Header: Depth=1
	scratch_load_dwordx2 v[124:125], off, s20
	v_mov_b32_e32 v123, s21
	ds_read_b64 v[126:127], v123
	v_add_u32_e32 v122, -1, v122
	s_add_i32 s21, s21, 8
	s_add_i32 s20, s20, 8
	v_cmp_eq_u32_e32 vcc, 0, v122
	s_or_b64 s[0:1], vcc, s[0:1]
	s_waitcnt vmcnt(0) lgkmcnt(0)
	v_fmac_f64_e32 v[120:121], v[124:125], v[126:127]
	s_andn2_b64 exec, exec, s[0:1]
	s_cbranch_execnz .LBB57_353
; %bb.354:
	s_or_b64 exec, exec, s[0:1]
.LBB57_355:
	s_or_b64 exec, exec, s[8:9]
	v_mov_b32_e32 v122, 0
	ds_read_b64 v[122:123], v122 offset:168
	s_waitcnt lgkmcnt(0)
	v_mul_f64 v[120:121], v[120:121], v[122:123]
	scratch_store_dwordx2 off, v[120:121], off offset:168
.LBB57_356:
	s_or_b64 exec, exec, s[4:5]
	scratch_load_dwordx2 v[120:121], off, off offset:160
	v_cmp_lt_u32_e64 s[0:1], 20, v0
	s_waitcnt vmcnt(0)
	ds_write_b64 v1, v[120:121]
	s_waitcnt lgkmcnt(0)
	; wave barrier
	s_and_saveexec_b64 s[4:5], s[0:1]
	s_cbranch_execz .LBB57_366
; %bb.357:
	s_andn2_b64 vcc, exec, s[6:7]
	s_cbranch_vccnz .LBB57_359
; %bb.358:
	scratch_load_dwordx2 v[120:121], v17, off
	ds_read_b64 v[122:123], v1
	s_waitcnt vmcnt(0) lgkmcnt(0)
	v_mul_f64 v[120:121], v[120:121], v[122:123]
	s_cbranch_execz .LBB57_360
	s_branch .LBB57_361
.LBB57_359:
                                        ; implicit-def: $vgpr120_vgpr121
.LBB57_360:
	ds_read_b64 v[120:121], v1
.LBB57_361:
	s_and_saveexec_b64 s[8:9], s[2:3]
	s_cbranch_execz .LBB57_365
; %bb.362:
	s_movk_i32 s20, 0xa8
	v_subrev_u32_e32 v122, 21, v0
	s_movk_i32 s21, 0x278
	s_mov_b64 s[2:3], 0
.LBB57_363:                             ; =>This Inner Loop Header: Depth=1
	scratch_load_dwordx2 v[124:125], off, s20
	v_mov_b32_e32 v123, s21
	ds_read_b64 v[126:127], v123
	v_add_u32_e32 v122, -1, v122
	s_add_i32 s21, s21, 8
	s_add_i32 s20, s20, 8
	v_cmp_eq_u32_e32 vcc, 0, v122
	s_or_b64 s[2:3], vcc, s[2:3]
	s_waitcnt vmcnt(0) lgkmcnt(0)
	v_fmac_f64_e32 v[120:121], v[124:125], v[126:127]
	s_andn2_b64 exec, exec, s[2:3]
	s_cbranch_execnz .LBB57_363
; %bb.364:
	s_or_b64 exec, exec, s[2:3]
.LBB57_365:
	s_or_b64 exec, exec, s[8:9]
	v_mov_b32_e32 v122, 0
	ds_read_b64 v[122:123], v122 offset:160
	s_waitcnt lgkmcnt(0)
	v_mul_f64 v[120:121], v[120:121], v[122:123]
	scratch_store_dwordx2 off, v[120:121], off offset:160
.LBB57_366:
	s_or_b64 exec, exec, s[4:5]
	scratch_load_dwordx2 v[120:121], off, off offset:152
	v_cmp_lt_u32_e64 s[2:3], 19, v0
	s_waitcnt vmcnt(0)
	ds_write_b64 v1, v[120:121]
	s_waitcnt lgkmcnt(0)
	; wave barrier
	s_and_saveexec_b64 s[4:5], s[2:3]
	s_cbranch_execz .LBB57_376
; %bb.367:
	s_andn2_b64 vcc, exec, s[6:7]
	s_cbranch_vccnz .LBB57_369
; %bb.368:
	scratch_load_dwordx2 v[120:121], v17, off
	ds_read_b64 v[122:123], v1
	s_waitcnt vmcnt(0) lgkmcnt(0)
	v_mul_f64 v[120:121], v[120:121], v[122:123]
	s_cbranch_execz .LBB57_370
	s_branch .LBB57_371
.LBB57_369:
                                        ; implicit-def: $vgpr120_vgpr121
.LBB57_370:
	ds_read_b64 v[120:121], v1
.LBB57_371:
	s_and_saveexec_b64 s[8:9], s[0:1]
	s_cbranch_execz .LBB57_375
; %bb.372:
	v_subrev_u32_e32 v122, 20, v0
	s_movk_i32 s20, 0x270
	s_mov_b64 s[0:1], 0
.LBB57_373:                             ; =>This Inner Loop Header: Depth=1
	scratch_load_dwordx2 v[124:125], off, s19
	v_mov_b32_e32 v123, s20
	ds_read_b64 v[126:127], v123
	v_add_u32_e32 v122, -1, v122
	s_add_i32 s20, s20, 8
	s_add_i32 s19, s19, 8
	v_cmp_eq_u32_e32 vcc, 0, v122
	s_or_b64 s[0:1], vcc, s[0:1]
	s_waitcnt vmcnt(0) lgkmcnt(0)
	v_fmac_f64_e32 v[120:121], v[124:125], v[126:127]
	s_andn2_b64 exec, exec, s[0:1]
	s_cbranch_execnz .LBB57_373
; %bb.374:
	s_or_b64 exec, exec, s[0:1]
.LBB57_375:
	s_or_b64 exec, exec, s[8:9]
	v_mov_b32_e32 v122, 0
	ds_read_b64 v[122:123], v122 offset:152
	s_waitcnt lgkmcnt(0)
	v_mul_f64 v[120:121], v[120:121], v[122:123]
	scratch_store_dwordx2 off, v[120:121], off offset:152
.LBB57_376:
	s_or_b64 exec, exec, s[4:5]
	scratch_load_dwordx2 v[120:121], off, off offset:144
	v_cmp_lt_u32_e64 s[0:1], 18, v0
	s_waitcnt vmcnt(0)
	ds_write_b64 v1, v[120:121]
	s_waitcnt lgkmcnt(0)
	; wave barrier
	s_and_saveexec_b64 s[4:5], s[0:1]
	s_cbranch_execz .LBB57_386
; %bb.377:
	s_andn2_b64 vcc, exec, s[6:7]
	s_cbranch_vccnz .LBB57_379
; %bb.378:
	scratch_load_dwordx2 v[120:121], v17, off
	ds_read_b64 v[122:123], v1
	s_waitcnt vmcnt(0) lgkmcnt(0)
	v_mul_f64 v[120:121], v[120:121], v[122:123]
	s_cbranch_execz .LBB57_380
	s_branch .LBB57_381
.LBB57_379:
                                        ; implicit-def: $vgpr120_vgpr121
.LBB57_380:
	ds_read_b64 v[120:121], v1
.LBB57_381:
	s_and_saveexec_b64 s[8:9], s[2:3]
	s_cbranch_execz .LBB57_385
; %bb.382:
	s_movk_i32 s19, 0x98
	v_subrev_u32_e32 v122, 19, v0
	s_movk_i32 s20, 0x268
	s_mov_b64 s[2:3], 0
.LBB57_383:                             ; =>This Inner Loop Header: Depth=1
	scratch_load_dwordx2 v[124:125], off, s19
	v_mov_b32_e32 v123, s20
	ds_read_b64 v[126:127], v123
	v_add_u32_e32 v122, -1, v122
	s_add_i32 s20, s20, 8
	s_add_i32 s19, s19, 8
	v_cmp_eq_u32_e32 vcc, 0, v122
	s_or_b64 s[2:3], vcc, s[2:3]
	s_waitcnt vmcnt(0) lgkmcnt(0)
	v_fmac_f64_e32 v[120:121], v[124:125], v[126:127]
	s_andn2_b64 exec, exec, s[2:3]
	s_cbranch_execnz .LBB57_383
; %bb.384:
	s_or_b64 exec, exec, s[2:3]
.LBB57_385:
	s_or_b64 exec, exec, s[8:9]
	v_mov_b32_e32 v122, 0
	ds_read_b64 v[122:123], v122 offset:144
	s_waitcnt lgkmcnt(0)
	v_mul_f64 v[120:121], v[120:121], v[122:123]
	scratch_store_dwordx2 off, v[120:121], off offset:144
.LBB57_386:
	s_or_b64 exec, exec, s[4:5]
	scratch_load_dwordx2 v[120:121], off, off offset:136
	v_cmp_lt_u32_e64 s[2:3], 17, v0
	s_waitcnt vmcnt(0)
	ds_write_b64 v1, v[120:121]
	s_waitcnt lgkmcnt(0)
	; wave barrier
	s_and_saveexec_b64 s[4:5], s[2:3]
	s_cbranch_execz .LBB57_396
; %bb.387:
	s_andn2_b64 vcc, exec, s[6:7]
	s_cbranch_vccnz .LBB57_389
; %bb.388:
	scratch_load_dwordx2 v[120:121], v17, off
	ds_read_b64 v[122:123], v1
	s_waitcnt vmcnt(0) lgkmcnt(0)
	v_mul_f64 v[120:121], v[120:121], v[122:123]
	s_cbranch_execz .LBB57_390
	s_branch .LBB57_391
.LBB57_389:
                                        ; implicit-def: $vgpr120_vgpr121
.LBB57_390:
	ds_read_b64 v[120:121], v1
.LBB57_391:
	s_and_saveexec_b64 s[8:9], s[0:1]
	s_cbranch_execz .LBB57_395
; %bb.392:
	v_subrev_u32_e32 v122, 18, v0
	s_movk_i32 s19, 0x260
	s_mov_b64 s[0:1], 0
.LBB57_393:                             ; =>This Inner Loop Header: Depth=1
	scratch_load_dwordx2 v[124:125], off, s18
	v_mov_b32_e32 v123, s19
	ds_read_b64 v[126:127], v123
	v_add_u32_e32 v122, -1, v122
	s_add_i32 s19, s19, 8
	s_add_i32 s18, s18, 8
	v_cmp_eq_u32_e32 vcc, 0, v122
	s_or_b64 s[0:1], vcc, s[0:1]
	s_waitcnt vmcnt(0) lgkmcnt(0)
	v_fmac_f64_e32 v[120:121], v[124:125], v[126:127]
	s_andn2_b64 exec, exec, s[0:1]
	s_cbranch_execnz .LBB57_393
; %bb.394:
	s_or_b64 exec, exec, s[0:1]
.LBB57_395:
	s_or_b64 exec, exec, s[8:9]
	v_mov_b32_e32 v122, 0
	ds_read_b64 v[122:123], v122 offset:136
	s_waitcnt lgkmcnt(0)
	v_mul_f64 v[120:121], v[120:121], v[122:123]
	scratch_store_dwordx2 off, v[120:121], off offset:136
.LBB57_396:
	s_or_b64 exec, exec, s[4:5]
	scratch_load_dwordx2 v[120:121], off, off offset:128
	v_cmp_lt_u32_e64 s[0:1], 16, v0
	s_waitcnt vmcnt(0)
	ds_write_b64 v1, v[120:121]
	s_waitcnt lgkmcnt(0)
	; wave barrier
	s_and_saveexec_b64 s[4:5], s[0:1]
	s_cbranch_execz .LBB57_406
; %bb.397:
	s_andn2_b64 vcc, exec, s[6:7]
	s_cbranch_vccnz .LBB57_399
; %bb.398:
	scratch_load_dwordx2 v[120:121], v17, off
	ds_read_b64 v[122:123], v1
	s_waitcnt vmcnt(0) lgkmcnt(0)
	v_mul_f64 v[120:121], v[120:121], v[122:123]
	s_cbranch_execz .LBB57_400
	s_branch .LBB57_401
.LBB57_399:
                                        ; implicit-def: $vgpr120_vgpr121
.LBB57_400:
	ds_read_b64 v[120:121], v1
.LBB57_401:
	s_and_saveexec_b64 s[8:9], s[2:3]
	s_cbranch_execz .LBB57_405
; %bb.402:
	s_movk_i32 s18, 0x88
	v_subrev_u32_e32 v122, 17, v0
	s_movk_i32 s19, 0x258
	s_mov_b64 s[2:3], 0
.LBB57_403:                             ; =>This Inner Loop Header: Depth=1
	scratch_load_dwordx2 v[124:125], off, s18
	v_mov_b32_e32 v123, s19
	ds_read_b64 v[126:127], v123
	v_add_u32_e32 v122, -1, v122
	s_add_i32 s19, s19, 8
	s_add_i32 s18, s18, 8
	v_cmp_eq_u32_e32 vcc, 0, v122
	s_or_b64 s[2:3], vcc, s[2:3]
	s_waitcnt vmcnt(0) lgkmcnt(0)
	v_fmac_f64_e32 v[120:121], v[124:125], v[126:127]
	s_andn2_b64 exec, exec, s[2:3]
	s_cbranch_execnz .LBB57_403
; %bb.404:
	s_or_b64 exec, exec, s[2:3]
.LBB57_405:
	s_or_b64 exec, exec, s[8:9]
	v_mov_b32_e32 v122, 0
	ds_read_b64 v[122:123], v122 offset:128
	s_waitcnt lgkmcnt(0)
	v_mul_f64 v[120:121], v[120:121], v[122:123]
	scratch_store_dwordx2 off, v[120:121], off offset:128
.LBB57_406:
	s_or_b64 exec, exec, s[4:5]
	scratch_load_dwordx2 v[120:121], off, off offset:120
	v_cmp_lt_u32_e64 s[2:3], 15, v0
	s_waitcnt vmcnt(0)
	ds_write_b64 v1, v[120:121]
	s_waitcnt lgkmcnt(0)
	; wave barrier
	s_and_saveexec_b64 s[4:5], s[2:3]
	s_cbranch_execz .LBB57_416
; %bb.407:
	s_andn2_b64 vcc, exec, s[6:7]
	s_cbranch_vccnz .LBB57_409
; %bb.408:
	scratch_load_dwordx2 v[120:121], v17, off
	ds_read_b64 v[122:123], v1
	s_waitcnt vmcnt(0) lgkmcnt(0)
	v_mul_f64 v[120:121], v[120:121], v[122:123]
	s_cbranch_execz .LBB57_410
	s_branch .LBB57_411
.LBB57_409:
                                        ; implicit-def: $vgpr120_vgpr121
.LBB57_410:
	ds_read_b64 v[120:121], v1
.LBB57_411:
	s_and_saveexec_b64 s[8:9], s[0:1]
	s_cbranch_execz .LBB57_415
; %bb.412:
	v_add_u32_e32 v122, -16, v0
	s_movk_i32 s18, 0x250
	s_mov_b64 s[0:1], 0
.LBB57_413:                             ; =>This Inner Loop Header: Depth=1
	scratch_load_dwordx2 v[124:125], off, s17
	v_mov_b32_e32 v123, s18
	ds_read_b64 v[126:127], v123
	v_add_u32_e32 v122, -1, v122
	s_add_i32 s18, s18, 8
	s_add_i32 s17, s17, 8
	v_cmp_eq_u32_e32 vcc, 0, v122
	s_or_b64 s[0:1], vcc, s[0:1]
	s_waitcnt vmcnt(0) lgkmcnt(0)
	v_fmac_f64_e32 v[120:121], v[124:125], v[126:127]
	s_andn2_b64 exec, exec, s[0:1]
	s_cbranch_execnz .LBB57_413
; %bb.414:
	s_or_b64 exec, exec, s[0:1]
.LBB57_415:
	s_or_b64 exec, exec, s[8:9]
	v_mov_b32_e32 v122, 0
	ds_read_b64 v[122:123], v122 offset:120
	s_waitcnt lgkmcnt(0)
	v_mul_f64 v[120:121], v[120:121], v[122:123]
	scratch_store_dwordx2 off, v[120:121], off offset:120
.LBB57_416:
	s_or_b64 exec, exec, s[4:5]
	scratch_load_dwordx2 v[120:121], off, off offset:112
	v_cmp_lt_u32_e64 s[0:1], 14, v0
	s_waitcnt vmcnt(0)
	ds_write_b64 v1, v[120:121]
	s_waitcnt lgkmcnt(0)
	; wave barrier
	s_and_saveexec_b64 s[4:5], s[0:1]
	s_cbranch_execz .LBB57_426
; %bb.417:
	s_andn2_b64 vcc, exec, s[6:7]
	s_cbranch_vccnz .LBB57_419
; %bb.418:
	scratch_load_dwordx2 v[120:121], v17, off
	ds_read_b64 v[122:123], v1
	s_waitcnt vmcnt(0) lgkmcnt(0)
	v_mul_f64 v[120:121], v[120:121], v[122:123]
	s_cbranch_execz .LBB57_420
	s_branch .LBB57_421
.LBB57_419:
                                        ; implicit-def: $vgpr120_vgpr121
.LBB57_420:
	ds_read_b64 v[120:121], v1
.LBB57_421:
	s_and_saveexec_b64 s[8:9], s[2:3]
	s_cbranch_execz .LBB57_425
; %bb.422:
	s_movk_i32 s17, 0x78
	v_add_u32_e32 v122, -15, v0
	s_movk_i32 s18, 0x248
	s_mov_b64 s[2:3], 0
.LBB57_423:                             ; =>This Inner Loop Header: Depth=1
	scratch_load_dwordx2 v[124:125], off, s17
	v_mov_b32_e32 v123, s18
	ds_read_b64 v[126:127], v123
	v_add_u32_e32 v122, -1, v122
	s_add_i32 s18, s18, 8
	s_add_i32 s17, s17, 8
	v_cmp_eq_u32_e32 vcc, 0, v122
	s_or_b64 s[2:3], vcc, s[2:3]
	s_waitcnt vmcnt(0) lgkmcnt(0)
	v_fmac_f64_e32 v[120:121], v[124:125], v[126:127]
	s_andn2_b64 exec, exec, s[2:3]
	s_cbranch_execnz .LBB57_423
; %bb.424:
	s_or_b64 exec, exec, s[2:3]
.LBB57_425:
	s_or_b64 exec, exec, s[8:9]
	v_mov_b32_e32 v122, 0
	ds_read_b64 v[122:123], v122 offset:112
	s_waitcnt lgkmcnt(0)
	v_mul_f64 v[120:121], v[120:121], v[122:123]
	scratch_store_dwordx2 off, v[120:121], off offset:112
.LBB57_426:
	s_or_b64 exec, exec, s[4:5]
	scratch_load_dwordx2 v[120:121], off, off offset:104
	v_cmp_lt_u32_e64 s[2:3], 13, v0
	s_waitcnt vmcnt(0)
	ds_write_b64 v1, v[120:121]
	s_waitcnt lgkmcnt(0)
	; wave barrier
	s_and_saveexec_b64 s[4:5], s[2:3]
	s_cbranch_execz .LBB57_436
; %bb.427:
	s_andn2_b64 vcc, exec, s[6:7]
	s_cbranch_vccnz .LBB57_429
; %bb.428:
	scratch_load_dwordx2 v[120:121], v17, off
	ds_read_b64 v[122:123], v1
	s_waitcnt vmcnt(0) lgkmcnt(0)
	v_mul_f64 v[120:121], v[120:121], v[122:123]
	s_cbranch_execz .LBB57_430
	s_branch .LBB57_431
.LBB57_429:
                                        ; implicit-def: $vgpr120_vgpr121
.LBB57_430:
	ds_read_b64 v[120:121], v1
.LBB57_431:
	s_and_saveexec_b64 s[8:9], s[0:1]
	s_cbranch_execz .LBB57_435
; %bb.432:
	v_add_u32_e32 v122, -14, v0
	s_movk_i32 s17, 0x240
	s_mov_b64 s[0:1], 0
.LBB57_433:                             ; =>This Inner Loop Header: Depth=1
	scratch_load_dwordx2 v[124:125], off, s16
	v_mov_b32_e32 v123, s17
	ds_read_b64 v[126:127], v123
	v_add_u32_e32 v122, -1, v122
	s_add_i32 s17, s17, 8
	s_add_i32 s16, s16, 8
	v_cmp_eq_u32_e32 vcc, 0, v122
	s_or_b64 s[0:1], vcc, s[0:1]
	s_waitcnt vmcnt(0) lgkmcnt(0)
	v_fmac_f64_e32 v[120:121], v[124:125], v[126:127]
	s_andn2_b64 exec, exec, s[0:1]
	s_cbranch_execnz .LBB57_433
; %bb.434:
	s_or_b64 exec, exec, s[0:1]
.LBB57_435:
	s_or_b64 exec, exec, s[8:9]
	v_mov_b32_e32 v122, 0
	ds_read_b64 v[122:123], v122 offset:104
	s_waitcnt lgkmcnt(0)
	v_mul_f64 v[120:121], v[120:121], v[122:123]
	scratch_store_dwordx2 off, v[120:121], off offset:104
.LBB57_436:
	s_or_b64 exec, exec, s[4:5]
	scratch_load_dwordx2 v[120:121], off, off offset:96
	v_cmp_lt_u32_e64 s[0:1], 12, v0
	s_waitcnt vmcnt(0)
	ds_write_b64 v1, v[120:121]
	s_waitcnt lgkmcnt(0)
	; wave barrier
	s_and_saveexec_b64 s[4:5], s[0:1]
	s_cbranch_execz .LBB57_446
; %bb.437:
	s_andn2_b64 vcc, exec, s[6:7]
	s_cbranch_vccnz .LBB57_439
; %bb.438:
	scratch_load_dwordx2 v[120:121], v17, off
	ds_read_b64 v[122:123], v1
	s_waitcnt vmcnt(0) lgkmcnt(0)
	v_mul_f64 v[120:121], v[120:121], v[122:123]
	s_cbranch_execz .LBB57_440
	s_branch .LBB57_441
.LBB57_439:
                                        ; implicit-def: $vgpr120_vgpr121
.LBB57_440:
	ds_read_b64 v[120:121], v1
.LBB57_441:
	s_and_saveexec_b64 s[8:9], s[2:3]
	s_cbranch_execz .LBB57_445
; %bb.442:
	s_movk_i32 s16, 0x68
	v_add_u32_e32 v122, -13, v0
	s_movk_i32 s17, 0x238
	s_mov_b64 s[2:3], 0
.LBB57_443:                             ; =>This Inner Loop Header: Depth=1
	scratch_load_dwordx2 v[124:125], off, s16
	v_mov_b32_e32 v123, s17
	ds_read_b64 v[126:127], v123
	v_add_u32_e32 v122, -1, v122
	s_add_i32 s17, s17, 8
	s_add_i32 s16, s16, 8
	v_cmp_eq_u32_e32 vcc, 0, v122
	s_or_b64 s[2:3], vcc, s[2:3]
	s_waitcnt vmcnt(0) lgkmcnt(0)
	v_fmac_f64_e32 v[120:121], v[124:125], v[126:127]
	s_andn2_b64 exec, exec, s[2:3]
	s_cbranch_execnz .LBB57_443
; %bb.444:
	s_or_b64 exec, exec, s[2:3]
.LBB57_445:
	s_or_b64 exec, exec, s[8:9]
	v_mov_b32_e32 v122, 0
	ds_read_b64 v[122:123], v122 offset:96
	s_waitcnt lgkmcnt(0)
	v_mul_f64 v[120:121], v[120:121], v[122:123]
	scratch_store_dwordx2 off, v[120:121], off offset:96
.LBB57_446:
	s_or_b64 exec, exec, s[4:5]
	scratch_load_dwordx2 v[120:121], off, off offset:88
	v_cmp_lt_u32_e64 s[2:3], 11, v0
	s_waitcnt vmcnt(0)
	ds_write_b64 v1, v[120:121]
	s_waitcnt lgkmcnt(0)
	; wave barrier
	s_and_saveexec_b64 s[4:5], s[2:3]
	s_cbranch_execz .LBB57_456
; %bb.447:
	s_andn2_b64 vcc, exec, s[6:7]
	s_cbranch_vccnz .LBB57_449
; %bb.448:
	scratch_load_dwordx2 v[120:121], v17, off
	ds_read_b64 v[122:123], v1
	s_waitcnt vmcnt(0) lgkmcnt(0)
	v_mul_f64 v[120:121], v[120:121], v[122:123]
	s_cbranch_execz .LBB57_450
	s_branch .LBB57_451
.LBB57_449:
                                        ; implicit-def: $vgpr120_vgpr121
.LBB57_450:
	ds_read_b64 v[120:121], v1
.LBB57_451:
	s_and_saveexec_b64 s[8:9], s[0:1]
	s_cbranch_execz .LBB57_455
; %bb.452:
	v_add_u32_e32 v122, -12, v0
	s_movk_i32 s16, 0x230
	s_mov_b64 s[0:1], 0
.LBB57_453:                             ; =>This Inner Loop Header: Depth=1
	scratch_load_dwordx2 v[124:125], off, s15
	v_mov_b32_e32 v123, s16
	ds_read_b64 v[126:127], v123
	v_add_u32_e32 v122, -1, v122
	s_add_i32 s16, s16, 8
	s_add_i32 s15, s15, 8
	v_cmp_eq_u32_e32 vcc, 0, v122
	s_or_b64 s[0:1], vcc, s[0:1]
	s_waitcnt vmcnt(0) lgkmcnt(0)
	v_fmac_f64_e32 v[120:121], v[124:125], v[126:127]
	s_andn2_b64 exec, exec, s[0:1]
	s_cbranch_execnz .LBB57_453
; %bb.454:
	s_or_b64 exec, exec, s[0:1]
.LBB57_455:
	s_or_b64 exec, exec, s[8:9]
	v_mov_b32_e32 v122, 0
	ds_read_b64 v[122:123], v122 offset:88
	s_waitcnt lgkmcnt(0)
	v_mul_f64 v[120:121], v[120:121], v[122:123]
	scratch_store_dwordx2 off, v[120:121], off offset:88
.LBB57_456:
	s_or_b64 exec, exec, s[4:5]
	scratch_load_dwordx2 v[120:121], off, off offset:80
	v_cmp_lt_u32_e64 s[0:1], 10, v0
	s_waitcnt vmcnt(0)
	ds_write_b64 v1, v[120:121]
	s_waitcnt lgkmcnt(0)
	; wave barrier
	s_and_saveexec_b64 s[4:5], s[0:1]
	s_cbranch_execz .LBB57_466
; %bb.457:
	s_andn2_b64 vcc, exec, s[6:7]
	s_cbranch_vccnz .LBB57_459
; %bb.458:
	scratch_load_dwordx2 v[120:121], v17, off
	ds_read_b64 v[122:123], v1
	s_waitcnt vmcnt(0) lgkmcnt(0)
	v_mul_f64 v[120:121], v[120:121], v[122:123]
	s_cbranch_execz .LBB57_460
	s_branch .LBB57_461
.LBB57_459:
                                        ; implicit-def: $vgpr120_vgpr121
.LBB57_460:
	ds_read_b64 v[120:121], v1
.LBB57_461:
	s_and_saveexec_b64 s[8:9], s[2:3]
	s_cbranch_execz .LBB57_465
; %bb.462:
	s_movk_i32 s15, 0x58
	v_add_u32_e32 v122, -11, v0
	s_movk_i32 s16, 0x228
	s_mov_b64 s[2:3], 0
.LBB57_463:                             ; =>This Inner Loop Header: Depth=1
	scratch_load_dwordx2 v[124:125], off, s15
	v_mov_b32_e32 v123, s16
	ds_read_b64 v[126:127], v123
	v_add_u32_e32 v122, -1, v122
	s_add_i32 s16, s16, 8
	s_add_i32 s15, s15, 8
	v_cmp_eq_u32_e32 vcc, 0, v122
	s_or_b64 s[2:3], vcc, s[2:3]
	s_waitcnt vmcnt(0) lgkmcnt(0)
	v_fmac_f64_e32 v[120:121], v[124:125], v[126:127]
	s_andn2_b64 exec, exec, s[2:3]
	s_cbranch_execnz .LBB57_463
; %bb.464:
	s_or_b64 exec, exec, s[2:3]
.LBB57_465:
	s_or_b64 exec, exec, s[8:9]
	v_mov_b32_e32 v122, 0
	ds_read_b64 v[122:123], v122 offset:80
	s_waitcnt lgkmcnt(0)
	v_mul_f64 v[120:121], v[120:121], v[122:123]
	scratch_store_dwordx2 off, v[120:121], off offset:80
.LBB57_466:
	s_or_b64 exec, exec, s[4:5]
	scratch_load_dwordx2 v[120:121], off, off offset:72
	v_cmp_lt_u32_e64 s[2:3], 9, v0
	s_waitcnt vmcnt(0)
	ds_write_b64 v1, v[120:121]
	s_waitcnt lgkmcnt(0)
	; wave barrier
	s_and_saveexec_b64 s[4:5], s[2:3]
	s_cbranch_execz .LBB57_476
; %bb.467:
	s_andn2_b64 vcc, exec, s[6:7]
	s_cbranch_vccnz .LBB57_469
; %bb.468:
	scratch_load_dwordx2 v[120:121], v17, off
	ds_read_b64 v[122:123], v1
	s_waitcnt vmcnt(0) lgkmcnt(0)
	v_mul_f64 v[120:121], v[120:121], v[122:123]
	s_cbranch_execz .LBB57_470
	s_branch .LBB57_471
.LBB57_469:
                                        ; implicit-def: $vgpr120_vgpr121
.LBB57_470:
	ds_read_b64 v[120:121], v1
.LBB57_471:
	s_and_saveexec_b64 s[8:9], s[0:1]
	s_cbranch_execz .LBB57_475
; %bb.472:
	v_add_u32_e32 v122, -10, v0
	s_movk_i32 s15, 0x220
	s_mov_b64 s[0:1], 0
.LBB57_473:                             ; =>This Inner Loop Header: Depth=1
	scratch_load_dwordx2 v[124:125], off, s14
	v_mov_b32_e32 v123, s15
	ds_read_b64 v[126:127], v123
	v_add_u32_e32 v122, -1, v122
	s_add_i32 s15, s15, 8
	s_add_i32 s14, s14, 8
	v_cmp_eq_u32_e32 vcc, 0, v122
	s_or_b64 s[0:1], vcc, s[0:1]
	s_waitcnt vmcnt(0) lgkmcnt(0)
	v_fmac_f64_e32 v[120:121], v[124:125], v[126:127]
	s_andn2_b64 exec, exec, s[0:1]
	s_cbranch_execnz .LBB57_473
; %bb.474:
	s_or_b64 exec, exec, s[0:1]
.LBB57_475:
	s_or_b64 exec, exec, s[8:9]
	v_mov_b32_e32 v122, 0
	ds_read_b64 v[122:123], v122 offset:72
	s_waitcnt lgkmcnt(0)
	v_mul_f64 v[120:121], v[120:121], v[122:123]
	scratch_store_dwordx2 off, v[120:121], off offset:72
.LBB57_476:
	s_or_b64 exec, exec, s[4:5]
	scratch_load_dwordx2 v[120:121], off, off offset:64
	v_cmp_lt_u32_e64 s[0:1], 8, v0
	s_waitcnt vmcnt(0)
	ds_write_b64 v1, v[120:121]
	s_waitcnt lgkmcnt(0)
	; wave barrier
	s_and_saveexec_b64 s[4:5], s[0:1]
	s_cbranch_execz .LBB57_486
; %bb.477:
	s_andn2_b64 vcc, exec, s[6:7]
	s_cbranch_vccnz .LBB57_479
; %bb.478:
	scratch_load_dwordx2 v[120:121], v17, off
	ds_read_b64 v[122:123], v1
	s_waitcnt vmcnt(0) lgkmcnt(0)
	v_mul_f64 v[120:121], v[120:121], v[122:123]
	s_cbranch_execz .LBB57_480
	s_branch .LBB57_481
.LBB57_479:
                                        ; implicit-def: $vgpr120_vgpr121
.LBB57_480:
	ds_read_b64 v[120:121], v1
.LBB57_481:
	s_and_saveexec_b64 s[8:9], s[2:3]
	s_cbranch_execz .LBB57_485
; %bb.482:
	s_movk_i32 s14, 0x48
	v_add_u32_e32 v122, -9, v0
	s_movk_i32 s15, 0x218
	s_mov_b64 s[2:3], 0
.LBB57_483:                             ; =>This Inner Loop Header: Depth=1
	scratch_load_dwordx2 v[124:125], off, s14
	v_mov_b32_e32 v123, s15
	ds_read_b64 v[126:127], v123
	v_add_u32_e32 v122, -1, v122
	s_add_i32 s15, s15, 8
	s_add_i32 s14, s14, 8
	v_cmp_eq_u32_e32 vcc, 0, v122
	s_or_b64 s[2:3], vcc, s[2:3]
	s_waitcnt vmcnt(0) lgkmcnt(0)
	v_fmac_f64_e32 v[120:121], v[124:125], v[126:127]
	s_andn2_b64 exec, exec, s[2:3]
	s_cbranch_execnz .LBB57_483
; %bb.484:
	s_or_b64 exec, exec, s[2:3]
.LBB57_485:
	s_or_b64 exec, exec, s[8:9]
	v_mov_b32_e32 v122, 0
	ds_read_b64 v[122:123], v122 offset:64
	s_waitcnt lgkmcnt(0)
	v_mul_f64 v[120:121], v[120:121], v[122:123]
	scratch_store_dwordx2 off, v[120:121], off offset:64
.LBB57_486:
	s_or_b64 exec, exec, s[4:5]
	scratch_load_dwordx2 v[120:121], off, off offset:56
	v_cmp_lt_u32_e64 s[2:3], 7, v0
	s_waitcnt vmcnt(0)
	ds_write_b64 v1, v[120:121]
	s_waitcnt lgkmcnt(0)
	; wave barrier
	s_and_saveexec_b64 s[4:5], s[2:3]
	s_cbranch_execz .LBB57_496
; %bb.487:
	s_andn2_b64 vcc, exec, s[6:7]
	s_cbranch_vccnz .LBB57_489
; %bb.488:
	scratch_load_dwordx2 v[120:121], v17, off
	ds_read_b64 v[122:123], v1
	s_waitcnt vmcnt(0) lgkmcnt(0)
	v_mul_f64 v[120:121], v[120:121], v[122:123]
	s_cbranch_execz .LBB57_490
	s_branch .LBB57_491
.LBB57_489:
                                        ; implicit-def: $vgpr120_vgpr121
.LBB57_490:
	ds_read_b64 v[120:121], v1
.LBB57_491:
	s_and_saveexec_b64 s[8:9], s[0:1]
	s_cbranch_execz .LBB57_495
; %bb.492:
	v_add_u32_e32 v122, -8, v0
	s_movk_i32 s14, 0x210
	s_mov_b64 s[0:1], 0
.LBB57_493:                             ; =>This Inner Loop Header: Depth=1
	scratch_load_dwordx2 v[124:125], off, s13
	v_mov_b32_e32 v123, s14
	ds_read_b64 v[126:127], v123
	v_add_u32_e32 v122, -1, v122
	s_add_i32 s14, s14, 8
	s_add_i32 s13, s13, 8
	v_cmp_eq_u32_e32 vcc, 0, v122
	s_or_b64 s[0:1], vcc, s[0:1]
	s_waitcnt vmcnt(0) lgkmcnt(0)
	v_fmac_f64_e32 v[120:121], v[124:125], v[126:127]
	s_andn2_b64 exec, exec, s[0:1]
	s_cbranch_execnz .LBB57_493
; %bb.494:
	s_or_b64 exec, exec, s[0:1]
.LBB57_495:
	s_or_b64 exec, exec, s[8:9]
	v_mov_b32_e32 v122, 0
	ds_read_b64 v[122:123], v122 offset:56
	s_waitcnt lgkmcnt(0)
	v_mul_f64 v[120:121], v[120:121], v[122:123]
	scratch_store_dwordx2 off, v[120:121], off offset:56
.LBB57_496:
	s_or_b64 exec, exec, s[4:5]
	scratch_load_dwordx2 v[120:121], off, off offset:48
	v_cmp_lt_u32_e64 s[0:1], 6, v0
	s_waitcnt vmcnt(0)
	ds_write_b64 v1, v[120:121]
	s_waitcnt lgkmcnt(0)
	; wave barrier
	s_and_saveexec_b64 s[4:5], s[0:1]
	s_cbranch_execz .LBB57_506
; %bb.497:
	s_andn2_b64 vcc, exec, s[6:7]
	s_cbranch_vccnz .LBB57_499
; %bb.498:
	scratch_load_dwordx2 v[120:121], v17, off
	ds_read_b64 v[122:123], v1
	s_waitcnt vmcnt(0) lgkmcnt(0)
	v_mul_f64 v[120:121], v[120:121], v[122:123]
	s_cbranch_execz .LBB57_500
	s_branch .LBB57_501
.LBB57_499:
                                        ; implicit-def: $vgpr120_vgpr121
.LBB57_500:
	ds_read_b64 v[120:121], v1
.LBB57_501:
	s_and_saveexec_b64 s[8:9], s[2:3]
	s_cbranch_execz .LBB57_505
; %bb.502:
	s_mov_b32 s13, 56
	v_add_u32_e32 v122, -7, v0
	s_movk_i32 s14, 0x208
	s_mov_b64 s[2:3], 0
.LBB57_503:                             ; =>This Inner Loop Header: Depth=1
	scratch_load_dwordx2 v[124:125], off, s13
	v_mov_b32_e32 v123, s14
	ds_read_b64 v[126:127], v123
	v_add_u32_e32 v122, -1, v122
	s_add_i32 s14, s14, 8
	s_add_i32 s13, s13, 8
	v_cmp_eq_u32_e32 vcc, 0, v122
	s_or_b64 s[2:3], vcc, s[2:3]
	s_waitcnt vmcnt(0) lgkmcnt(0)
	v_fmac_f64_e32 v[120:121], v[124:125], v[126:127]
	s_andn2_b64 exec, exec, s[2:3]
	s_cbranch_execnz .LBB57_503
; %bb.504:
	s_or_b64 exec, exec, s[2:3]
.LBB57_505:
	s_or_b64 exec, exec, s[8:9]
	v_mov_b32_e32 v122, 0
	ds_read_b64 v[122:123], v122 offset:48
	s_waitcnt lgkmcnt(0)
	v_mul_f64 v[120:121], v[120:121], v[122:123]
	scratch_store_dwordx2 off, v[120:121], off offset:48
.LBB57_506:
	s_or_b64 exec, exec, s[4:5]
	scratch_load_dwordx2 v[120:121], off, off offset:40
	v_cmp_lt_u32_e64 s[2:3], 5, v0
	s_waitcnt vmcnt(0)
	ds_write_b64 v1, v[120:121]
	s_waitcnt lgkmcnt(0)
	; wave barrier
	s_and_saveexec_b64 s[4:5], s[2:3]
	s_cbranch_execz .LBB57_516
; %bb.507:
	s_andn2_b64 vcc, exec, s[6:7]
	s_cbranch_vccnz .LBB57_509
; %bb.508:
	scratch_load_dwordx2 v[120:121], v17, off
	ds_read_b64 v[122:123], v1
	s_waitcnt vmcnt(0) lgkmcnt(0)
	v_mul_f64 v[120:121], v[120:121], v[122:123]
	s_cbranch_execz .LBB57_510
	s_branch .LBB57_511
.LBB57_509:
                                        ; implicit-def: $vgpr120_vgpr121
.LBB57_510:
	ds_read_b64 v[120:121], v1
.LBB57_511:
	s_and_saveexec_b64 s[8:9], s[0:1]
	s_cbranch_execz .LBB57_515
; %bb.512:
	v_add_u32_e32 v122, -6, v0
	s_movk_i32 s13, 0x200
	s_mov_b64 s[0:1], 0
.LBB57_513:                             ; =>This Inner Loop Header: Depth=1
	scratch_load_dwordx2 v[124:125], off, s12
	v_mov_b32_e32 v123, s13
	ds_read_b64 v[126:127], v123
	v_add_u32_e32 v122, -1, v122
	s_add_i32 s13, s13, 8
	s_add_i32 s12, s12, 8
	v_cmp_eq_u32_e32 vcc, 0, v122
	s_or_b64 s[0:1], vcc, s[0:1]
	s_waitcnt vmcnt(0) lgkmcnt(0)
	v_fmac_f64_e32 v[120:121], v[124:125], v[126:127]
	s_andn2_b64 exec, exec, s[0:1]
	s_cbranch_execnz .LBB57_513
; %bb.514:
	s_or_b64 exec, exec, s[0:1]
.LBB57_515:
	s_or_b64 exec, exec, s[8:9]
	v_mov_b32_e32 v122, 0
	ds_read_b64 v[122:123], v122 offset:40
	s_waitcnt lgkmcnt(0)
	v_mul_f64 v[120:121], v[120:121], v[122:123]
	scratch_store_dwordx2 off, v[120:121], off offset:40
.LBB57_516:
	s_or_b64 exec, exec, s[4:5]
	scratch_load_dwordx2 v[120:121], off, off offset:32
	v_cmp_lt_u32_e64 s[0:1], 4, v0
	s_waitcnt vmcnt(0)
	ds_write_b64 v1, v[120:121]
	s_waitcnt lgkmcnt(0)
	; wave barrier
	s_and_saveexec_b64 s[4:5], s[0:1]
	s_cbranch_execz .LBB57_526
; %bb.517:
	s_andn2_b64 vcc, exec, s[6:7]
	s_cbranch_vccnz .LBB57_519
; %bb.518:
	scratch_load_dwordx2 v[120:121], v17, off
	ds_read_b64 v[122:123], v1
	s_waitcnt vmcnt(0) lgkmcnt(0)
	v_mul_f64 v[120:121], v[120:121], v[122:123]
	s_cbranch_execz .LBB57_520
	s_branch .LBB57_521
.LBB57_519:
                                        ; implicit-def: $vgpr120_vgpr121
.LBB57_520:
	ds_read_b64 v[120:121], v1
.LBB57_521:
	s_and_saveexec_b64 s[8:9], s[2:3]
	s_cbranch_execz .LBB57_525
; %bb.522:
	s_mov_b32 s12, 40
	v_add_u32_e32 v122, -5, v0
	s_movk_i32 s13, 0x1f8
	s_mov_b64 s[2:3], 0
.LBB57_523:                             ; =>This Inner Loop Header: Depth=1
	scratch_load_dwordx2 v[124:125], off, s12
	v_mov_b32_e32 v123, s13
	ds_read_b64 v[126:127], v123
	v_add_u32_e32 v122, -1, v122
	s_add_i32 s13, s13, 8
	s_add_i32 s12, s12, 8
	v_cmp_eq_u32_e32 vcc, 0, v122
	s_or_b64 s[2:3], vcc, s[2:3]
	s_waitcnt vmcnt(0) lgkmcnt(0)
	v_fmac_f64_e32 v[120:121], v[124:125], v[126:127]
	s_andn2_b64 exec, exec, s[2:3]
	s_cbranch_execnz .LBB57_523
; %bb.524:
	s_or_b64 exec, exec, s[2:3]
.LBB57_525:
	s_or_b64 exec, exec, s[8:9]
	v_mov_b32_e32 v122, 0
	ds_read_b64 v[122:123], v122 offset:32
	s_waitcnt lgkmcnt(0)
	v_mul_f64 v[120:121], v[120:121], v[122:123]
	scratch_store_dwordx2 off, v[120:121], off offset:32
.LBB57_526:
	s_or_b64 exec, exec, s[4:5]
	scratch_load_dwordx2 v[120:121], off, off offset:24
	v_cmp_lt_u32_e64 s[2:3], 3, v0
	s_waitcnt vmcnt(0)
	ds_write_b64 v1, v[120:121]
	s_waitcnt lgkmcnt(0)
	; wave barrier
	s_and_saveexec_b64 s[4:5], s[2:3]
	s_cbranch_execz .LBB57_536
; %bb.527:
	s_andn2_b64 vcc, exec, s[6:7]
	s_cbranch_vccnz .LBB57_529
; %bb.528:
	scratch_load_dwordx2 v[120:121], v17, off
	ds_read_b64 v[122:123], v1
	s_waitcnt vmcnt(0) lgkmcnt(0)
	v_mul_f64 v[120:121], v[120:121], v[122:123]
	s_cbranch_execz .LBB57_530
	s_branch .LBB57_531
.LBB57_529:
                                        ; implicit-def: $vgpr120_vgpr121
.LBB57_530:
	ds_read_b64 v[120:121], v1
.LBB57_531:
	s_and_saveexec_b64 s[8:9], s[0:1]
	s_cbranch_execz .LBB57_535
; %bb.532:
	v_add_u32_e32 v122, -4, v0
	s_movk_i32 s12, 0x1f0
	s_mov_b64 s[0:1], 0
.LBB57_533:                             ; =>This Inner Loop Header: Depth=1
	scratch_load_dwordx2 v[124:125], off, s11
	v_mov_b32_e32 v123, s12
	ds_read_b64 v[126:127], v123
	v_add_u32_e32 v122, -1, v122
	s_add_i32 s12, s12, 8
	s_add_i32 s11, s11, 8
	v_cmp_eq_u32_e32 vcc, 0, v122
	s_or_b64 s[0:1], vcc, s[0:1]
	s_waitcnt vmcnt(0) lgkmcnt(0)
	v_fmac_f64_e32 v[120:121], v[124:125], v[126:127]
	s_andn2_b64 exec, exec, s[0:1]
	s_cbranch_execnz .LBB57_533
; %bb.534:
	s_or_b64 exec, exec, s[0:1]
.LBB57_535:
	s_or_b64 exec, exec, s[8:9]
	v_mov_b32_e32 v122, 0
	ds_read_b64 v[122:123], v122 offset:24
	s_waitcnt lgkmcnt(0)
	v_mul_f64 v[120:121], v[120:121], v[122:123]
	scratch_store_dwordx2 off, v[120:121], off offset:24
.LBB57_536:
	s_or_b64 exec, exec, s[4:5]
	scratch_load_dwordx2 v[120:121], off, off offset:16
	v_cmp_lt_u32_e64 s[0:1], 2, v0
	s_waitcnt vmcnt(0)
	ds_write_b64 v1, v[120:121]
	s_waitcnt lgkmcnt(0)
	; wave barrier
	s_and_saveexec_b64 s[4:5], s[0:1]
	s_cbranch_execz .LBB57_546
; %bb.537:
	s_andn2_b64 vcc, exec, s[6:7]
	s_cbranch_vccnz .LBB57_539
; %bb.538:
	scratch_load_dwordx2 v[120:121], v17, off
	ds_read_b64 v[122:123], v1
	s_waitcnt vmcnt(0) lgkmcnt(0)
	v_mul_f64 v[120:121], v[120:121], v[122:123]
	s_cbranch_execz .LBB57_540
	s_branch .LBB57_541
.LBB57_539:
                                        ; implicit-def: $vgpr120_vgpr121
.LBB57_540:
	ds_read_b64 v[120:121], v1
.LBB57_541:
	s_and_saveexec_b64 s[8:9], s[2:3]
	s_cbranch_execz .LBB57_545
; %bb.542:
	s_mov_b32 s11, 24
	v_add_u32_e32 v122, -3, v0
	s_movk_i32 s12, 0x1e8
	s_mov_b64 s[2:3], 0
.LBB57_543:                             ; =>This Inner Loop Header: Depth=1
	scratch_load_dwordx2 v[124:125], off, s11
	v_mov_b32_e32 v123, s12
	ds_read_b64 v[126:127], v123
	v_add_u32_e32 v122, -1, v122
	s_add_i32 s12, s12, 8
	s_add_i32 s11, s11, 8
	v_cmp_eq_u32_e32 vcc, 0, v122
	s_or_b64 s[2:3], vcc, s[2:3]
	s_waitcnt vmcnt(0) lgkmcnt(0)
	v_fmac_f64_e32 v[120:121], v[124:125], v[126:127]
	s_andn2_b64 exec, exec, s[2:3]
	s_cbranch_execnz .LBB57_543
; %bb.544:
	s_or_b64 exec, exec, s[2:3]
.LBB57_545:
	s_or_b64 exec, exec, s[8:9]
	v_mov_b32_e32 v122, 0
	ds_read_b64 v[122:123], v122 offset:16
	s_waitcnt lgkmcnt(0)
	v_mul_f64 v[120:121], v[120:121], v[122:123]
	scratch_store_dwordx2 off, v[120:121], off offset:16
.LBB57_546:
	s_or_b64 exec, exec, s[4:5]
	scratch_load_dwordx2 v[120:121], off, off offset:8
	v_cmp_lt_u32_e64 s[2:3], 1, v0
	s_waitcnt vmcnt(0)
	ds_write_b64 v1, v[120:121]
	s_waitcnt lgkmcnt(0)
	; wave barrier
	s_and_saveexec_b64 s[4:5], s[2:3]
	s_cbranch_execz .LBB57_556
; %bb.547:
	s_andn2_b64 vcc, exec, s[6:7]
	s_cbranch_vccnz .LBB57_549
; %bb.548:
	scratch_load_dwordx2 v[120:121], v17, off
	ds_read_b64 v[122:123], v1
	s_waitcnt vmcnt(0) lgkmcnt(0)
	v_mul_f64 v[120:121], v[120:121], v[122:123]
	s_cbranch_execz .LBB57_550
	s_branch .LBB57_551
.LBB57_549:
                                        ; implicit-def: $vgpr120_vgpr121
.LBB57_550:
	ds_read_b64 v[120:121], v1
.LBB57_551:
	s_and_saveexec_b64 s[8:9], s[0:1]
	s_cbranch_execz .LBB57_555
; %bb.552:
	v_add_u32_e32 v122, -2, v0
	s_movk_i32 s11, 0x1e0
	s_mov_b64 s[0:1], 0
.LBB57_553:                             ; =>This Inner Loop Header: Depth=1
	scratch_load_dwordx2 v[124:125], off, s10
	v_mov_b32_e32 v123, s11
	ds_read_b64 v[126:127], v123
	v_add_u32_e32 v122, -1, v122
	s_add_i32 s11, s11, 8
	s_add_i32 s10, s10, 8
	v_cmp_eq_u32_e32 vcc, 0, v122
	s_or_b64 s[0:1], vcc, s[0:1]
	s_waitcnt vmcnt(0) lgkmcnt(0)
	v_fmac_f64_e32 v[120:121], v[124:125], v[126:127]
	s_andn2_b64 exec, exec, s[0:1]
	s_cbranch_execnz .LBB57_553
; %bb.554:
	s_or_b64 exec, exec, s[0:1]
.LBB57_555:
	s_or_b64 exec, exec, s[8:9]
	v_mov_b32_e32 v122, 0
	ds_read_b64 v[122:123], v122 offset:8
	s_waitcnt lgkmcnt(0)
	v_mul_f64 v[120:121], v[120:121], v[122:123]
	scratch_store_dwordx2 off, v[120:121], off offset:8
.LBB57_556:
	s_or_b64 exec, exec, s[4:5]
	scratch_load_dwordx2 v[120:121], off, off
	v_cmp_ne_u32_e32 vcc, 0, v0
	s_waitcnt vmcnt(0)
	ds_write_b64 v1, v[120:121]
	s_waitcnt lgkmcnt(0)
	; wave barrier
	s_and_saveexec_b64 s[0:1], vcc
	s_cbranch_execz .LBB57_566
; %bb.557:
	s_andn2_b64 vcc, exec, s[6:7]
	s_cbranch_vccnz .LBB57_559
; %bb.558:
	scratch_load_dwordx2 v[120:121], v17, off
	ds_read_b64 v[122:123], v1
	s_waitcnt vmcnt(0) lgkmcnt(0)
	v_mul_f64 v[120:121], v[120:121], v[122:123]
	s_cbranch_execz .LBB57_560
	s_branch .LBB57_561
.LBB57_559:
                                        ; implicit-def: $vgpr120_vgpr121
.LBB57_560:
	ds_read_b64 v[120:121], v1
.LBB57_561:
	s_and_saveexec_b64 s[4:5], s[2:3]
	s_cbranch_execz .LBB57_565
; %bb.562:
	s_or_b32 s8, 0, 8
	v_add_u32_e32 v122, -1, v0
	s_movk_i32 s9, 0x1d8
	s_mov_b64 s[2:3], 0
.LBB57_563:                             ; =>This Inner Loop Header: Depth=1
	scratch_load_dwordx2 v[124:125], off, s8
	v_mov_b32_e32 v123, s9
	ds_read_b64 v[126:127], v123
	v_add_u32_e32 v122, -1, v122
	s_add_i32 s9, s9, 8
	s_add_i32 s8, s8, 8
	v_cmp_eq_u32_e32 vcc, 0, v122
	s_or_b64 s[2:3], vcc, s[2:3]
	s_waitcnt vmcnt(0) lgkmcnt(0)
	v_fmac_f64_e32 v[120:121], v[124:125], v[126:127]
	s_andn2_b64 exec, exec, s[2:3]
	s_cbranch_execnz .LBB57_563
; %bb.564:
	s_or_b64 exec, exec, s[2:3]
.LBB57_565:
	s_or_b64 exec, exec, s[4:5]
	v_mov_b32_e32 v122, 0
	ds_read_b64 v[122:123], v122
	s_waitcnt lgkmcnt(0)
	v_mul_f64 v[120:121], v[120:121], v[122:123]
	scratch_store_dwordx2 off, v[120:121], off
.LBB57_566:
	s_or_b64 exec, exec, s[0:1]
	s_mov_b64 s[0:1], 0
.LBB57_567:
	s_and_b64 vcc, exec, s[0:1]
	s_cbranch_vccz .LBB57_1129
; %bb.568:
	scratch_load_dwordx2 v[120:121], off, off offset:8
	v_cmp_eq_u32_e64 s[2:3], 0, v0
	s_waitcnt vmcnt(0)
	ds_write_b64 v1, v[120:121]
	s_waitcnt lgkmcnt(0)
	; wave barrier
	s_and_saveexec_b64 s[0:1], s[2:3]
	s_cbranch_execz .LBB57_574
; %bb.569:
	s_and_b64 vcc, exec, s[6:7]
	s_cbranch_vccz .LBB57_571
; %bb.570:
	scratch_load_dwordx2 v[120:121], v17, off
	ds_read_b64 v[122:123], v1
	s_waitcnt vmcnt(0) lgkmcnt(0)
	v_mul_f64 v[120:121], v[120:121], v[122:123]
	s_cbranch_execz .LBB57_572
	s_branch .LBB57_573
.LBB57_571:
                                        ; implicit-def: $vgpr120_vgpr121
.LBB57_572:
	ds_read_b64 v[120:121], v1
.LBB57_573:
	v_mov_b32_e32 v122, 0
	ds_read_b64 v[122:123], v122 offset:8
	s_waitcnt lgkmcnt(0)
	v_mul_f64 v[120:121], v[120:121], v[122:123]
	scratch_store_dwordx2 off, v[120:121], off offset:8
.LBB57_574:
	s_or_b64 exec, exec, s[0:1]
	scratch_load_dwordx2 v[120:121], off, off offset:16
	v_cndmask_b32_e64 v122, 0, 1, s[6:7]
	v_cmp_gt_u32_e32 vcc, 2, v0
	v_cmp_ne_u32_e64 s[0:1], 1, v122
	s_waitcnt vmcnt(0)
	ds_write_b64 v1, v[120:121]
	s_waitcnt lgkmcnt(0)
	; wave barrier
	s_and_saveexec_b64 s[4:5], vcc
	s_cbranch_execz .LBB57_580
; %bb.575:
	s_and_b64 vcc, exec, s[0:1]
	s_cbranch_vccnz .LBB57_577
; %bb.576:
	scratch_load_dwordx2 v[120:121], v17, off
	ds_read_b64 v[122:123], v1
	s_waitcnt vmcnt(0) lgkmcnt(0)
	v_mul_f64 v[120:121], v[120:121], v[122:123]
	s_cbranch_execz .LBB57_578
	s_branch .LBB57_579
.LBB57_577:
                                        ; implicit-def: $vgpr120_vgpr121
.LBB57_578:
	ds_read_b64 v[120:121], v1
.LBB57_579:
	scratch_load_dwordx2 v[126:127], off, off offset:8
	v_mov_b32_e32 v122, 0
	ds_read2_b64 v[122:125], v122 offset0:2 offset1:59
	s_waitcnt vmcnt(0) lgkmcnt(0)
	v_fma_f64 v[124:125], v[126:127], v[124:125], v[120:121]
	v_cndmask_b32_e64 v121, v121, v125, s[2:3]
	v_cndmask_b32_e64 v120, v120, v124, s[2:3]
	v_mul_f64 v[120:121], v[120:121], v[122:123]
	scratch_store_dwordx2 off, v[120:121], off offset:16
.LBB57_580:
	s_or_b64 exec, exec, s[4:5]
	scratch_load_dwordx2 v[120:121], off, off offset:24
	v_cmp_gt_u32_e32 vcc, 3, v0
	s_waitcnt vmcnt(0)
	ds_write_b64 v1, v[120:121]
	s_waitcnt lgkmcnt(0)
	; wave barrier
	s_and_saveexec_b64 s[4:5], vcc
	s_cbranch_execz .LBB57_588
; %bb.581:
	s_and_b64 vcc, exec, s[0:1]
	s_cbranch_vccnz .LBB57_583
; %bb.582:
	scratch_load_dwordx2 v[120:121], v17, off
	ds_read_b64 v[122:123], v1
	s_waitcnt vmcnt(0) lgkmcnt(0)
	v_mul_f64 v[120:121], v[120:121], v[122:123]
	s_cbranch_execz .LBB57_584
	s_branch .LBB57_585
.LBB57_583:
                                        ; implicit-def: $vgpr120_vgpr121
.LBB57_584:
	ds_read_b64 v[120:121], v1
.LBB57_585:
	v_cmp_ne_u32_e32 vcc, 2, v0
	s_and_saveexec_b64 s[6:7], vcc
	s_cbranch_execz .LBB57_587
; %bb.586:
	scratch_load_dwordx2 v[122:123], v17, off offset:8
	scratch_load_dwordx2 v[124:125], off, off offset:16
	ds_read_b64 v[126:127], v1 offset:8
	v_mov_b32_e32 v128, 0
	ds_read_b64 v[128:129], v128 offset:480
	s_waitcnt vmcnt(1) lgkmcnt(1)
	v_fmac_f64_e32 v[120:121], v[122:123], v[126:127]
	s_waitcnt vmcnt(0) lgkmcnt(0)
	v_fma_f64 v[122:123], v[124:125], v[128:129], v[120:121]
	v_cndmask_b32_e64 v121, v121, v123, s[2:3]
	v_cndmask_b32_e64 v120, v120, v122, s[2:3]
.LBB57_587:
	s_or_b64 exec, exec, s[6:7]
	v_mov_b32_e32 v122, 0
	ds_read_b64 v[122:123], v122 offset:24
	s_waitcnt lgkmcnt(0)
	v_mul_f64 v[120:121], v[120:121], v[122:123]
	scratch_store_dwordx2 off, v[120:121], off offset:24
.LBB57_588:
	s_or_b64 exec, exec, s[4:5]
	scratch_load_dwordx2 v[120:121], off, off offset:32
	v_cmp_gt_u32_e32 vcc, 4, v0
	s_waitcnt vmcnt(0)
	ds_write_b64 v1, v[120:121]
	s_waitcnt lgkmcnt(0)
	; wave barrier
	s_and_saveexec_b64 s[2:3], vcc
	s_cbranch_execz .LBB57_598
; %bb.589:
	s_and_b64 vcc, exec, s[0:1]
	s_cbranch_vccnz .LBB57_591
; %bb.590:
	scratch_load_dwordx2 v[120:121], v17, off
	ds_read_b64 v[122:123], v1
	s_waitcnt vmcnt(0) lgkmcnt(0)
	v_mul_f64 v[120:121], v[120:121], v[122:123]
	s_cbranch_execz .LBB57_592
	s_branch .LBB57_593
.LBB57_591:
                                        ; implicit-def: $vgpr120_vgpr121
.LBB57_592:
	ds_read_b64 v[120:121], v1
.LBB57_593:
	v_cmp_ne_u32_e32 vcc, 3, v0
	s_and_saveexec_b64 s[4:5], vcc
	s_cbranch_execz .LBB57_597
; %bb.594:
	s_mov_b32 s6, 0
	v_add_u32_e32 v122, 0x1d8, v16
	v_add3_u32 v123, v16, s6, 8
	s_mov_b64 s[6:7], 0
	v_mov_b32_e32 v124, v0
.LBB57_595:                             ; =>This Inner Loop Header: Depth=1
	scratch_load_dwordx2 v[126:127], v123, off
	ds_read_b64 v[128:129], v122
	v_add_u32_e32 v124, 1, v124
	v_cmp_lt_u32_e32 vcc, 2, v124
	v_add_u32_e32 v122, 8, v122
	v_add_u32_e32 v123, 8, v123
	s_or_b64 s[6:7], vcc, s[6:7]
	s_waitcnt vmcnt(0) lgkmcnt(0)
	v_fmac_f64_e32 v[120:121], v[126:127], v[128:129]
	s_andn2_b64 exec, exec, s[6:7]
	s_cbranch_execnz .LBB57_595
; %bb.596:
	s_or_b64 exec, exec, s[6:7]
.LBB57_597:
	s_or_b64 exec, exec, s[4:5]
	v_mov_b32_e32 v122, 0
	ds_read_b64 v[122:123], v122 offset:32
	s_waitcnt lgkmcnt(0)
	v_mul_f64 v[120:121], v[120:121], v[122:123]
	scratch_store_dwordx2 off, v[120:121], off offset:32
.LBB57_598:
	s_or_b64 exec, exec, s[2:3]
	scratch_load_dwordx2 v[120:121], off, off offset:40
	v_cmp_gt_u32_e32 vcc, 5, v0
	s_waitcnt vmcnt(0)
	ds_write_b64 v1, v[120:121]
	s_waitcnt lgkmcnt(0)
	; wave barrier
	s_and_saveexec_b64 s[2:3], vcc
	s_cbranch_execz .LBB57_608
; %bb.599:
	s_and_b64 vcc, exec, s[0:1]
	s_cbranch_vccnz .LBB57_601
; %bb.600:
	scratch_load_dwordx2 v[120:121], v17, off
	ds_read_b64 v[122:123], v1
	s_waitcnt vmcnt(0) lgkmcnt(0)
	v_mul_f64 v[120:121], v[120:121], v[122:123]
	s_cbranch_execz .LBB57_602
	s_branch .LBB57_603
.LBB57_601:
                                        ; implicit-def: $vgpr120_vgpr121
.LBB57_602:
	ds_read_b64 v[120:121], v1
.LBB57_603:
	v_cmp_ne_u32_e32 vcc, 4, v0
	s_and_saveexec_b64 s[4:5], vcc
	s_cbranch_execz .LBB57_607
; %bb.604:
	s_mov_b32 s6, 0
	v_add_u32_e32 v122, 0x1d8, v16
	v_add3_u32 v123, v16, s6, 8
	s_mov_b64 s[6:7], 0
	v_mov_b32_e32 v124, v0
.LBB57_605:                             ; =>This Inner Loop Header: Depth=1
	scratch_load_dwordx2 v[126:127], v123, off
	ds_read_b64 v[128:129], v122
	v_add_u32_e32 v124, 1, v124
	v_cmp_lt_u32_e32 vcc, 3, v124
	v_add_u32_e32 v122, 8, v122
	v_add_u32_e32 v123, 8, v123
	s_or_b64 s[6:7], vcc, s[6:7]
	s_waitcnt vmcnt(0) lgkmcnt(0)
	v_fmac_f64_e32 v[120:121], v[126:127], v[128:129]
	s_andn2_b64 exec, exec, s[6:7]
	s_cbranch_execnz .LBB57_605
; %bb.606:
	s_or_b64 exec, exec, s[6:7]
.LBB57_607:
	s_or_b64 exec, exec, s[4:5]
	v_mov_b32_e32 v122, 0
	ds_read_b64 v[122:123], v122 offset:40
	s_waitcnt lgkmcnt(0)
	v_mul_f64 v[120:121], v[120:121], v[122:123]
	scratch_store_dwordx2 off, v[120:121], off offset:40
.LBB57_608:
	;; [unrolled: 55-line block ×41, first 2 shown]
	s_or_b64 exec, exec, s[2:3]
	scratch_load_dwordx2 v[120:121], off, off offset:360
	v_cmp_gt_u32_e32 vcc, 45, v0
	s_waitcnt vmcnt(0)
	ds_write_b64 v1, v[120:121]
	s_waitcnt lgkmcnt(0)
	; wave barrier
	s_and_saveexec_b64 s[2:3], vcc
	s_cbranch_execz .LBB57_1008
; %bb.999:
	s_and_b64 vcc, exec, s[0:1]
	s_cbranch_vccnz .LBB57_1001
; %bb.1000:
	scratch_load_dwordx2 v[120:121], v17, off
	ds_read_b64 v[122:123], v1
	s_waitcnt vmcnt(0) lgkmcnt(0)
	v_mul_f64 v[120:121], v[120:121], v[122:123]
	s_cbranch_execz .LBB57_1002
	s_branch .LBB57_1003
.LBB57_1001:
                                        ; implicit-def: $vgpr120_vgpr121
.LBB57_1002:
	ds_read_b64 v[120:121], v1
.LBB57_1003:
	v_cmp_ne_u32_e32 vcc, 44, v0
	s_and_saveexec_b64 s[4:5], vcc
	s_cbranch_execz .LBB57_1007
; %bb.1004:
	s_mov_b32 s6, 0
	v_add_u32_e32 v122, 0x1d8, v16
	v_add3_u32 v123, v16, s6, 8
	s_mov_b64 s[6:7], 0
	v_mov_b32_e32 v124, v0
.LBB57_1005:                            ; =>This Inner Loop Header: Depth=1
	scratch_load_dwordx2 v[126:127], v123, off
	ds_read_b64 v[128:129], v122
	v_add_u32_e32 v124, 1, v124
	v_cmp_lt_u32_e32 vcc, 43, v124
	v_add_u32_e32 v122, 8, v122
	v_add_u32_e32 v123, 8, v123
	s_or_b64 s[6:7], vcc, s[6:7]
	s_waitcnt vmcnt(0) lgkmcnt(0)
	v_fmac_f64_e32 v[120:121], v[126:127], v[128:129]
	s_andn2_b64 exec, exec, s[6:7]
	s_cbranch_execnz .LBB57_1005
; %bb.1006:
	s_or_b64 exec, exec, s[6:7]
.LBB57_1007:
	s_or_b64 exec, exec, s[4:5]
	v_mov_b32_e32 v122, 0
	ds_read_b64 v[122:123], v122 offset:360
	s_waitcnt lgkmcnt(0)
	v_mul_f64 v[120:121], v[120:121], v[122:123]
	scratch_store_dwordx2 off, v[120:121], off offset:360
.LBB57_1008:
	s_or_b64 exec, exec, s[2:3]
	scratch_load_dwordx2 v[120:121], off, off offset:368
	v_cmp_gt_u32_e32 vcc, 46, v0
	s_waitcnt vmcnt(0)
	ds_write_b64 v1, v[120:121]
	s_waitcnt lgkmcnt(0)
	; wave barrier
	s_and_saveexec_b64 s[2:3], vcc
	s_cbranch_execz .LBB57_1018
; %bb.1009:
	s_and_b64 vcc, exec, s[0:1]
	s_cbranch_vccnz .LBB57_1011
; %bb.1010:
	scratch_load_dwordx2 v[120:121], v17, off
	ds_read_b64 v[122:123], v1
	s_waitcnt vmcnt(0) lgkmcnt(0)
	v_mul_f64 v[120:121], v[120:121], v[122:123]
	s_cbranch_execz .LBB57_1012
	s_branch .LBB57_1013
.LBB57_1011:
                                        ; implicit-def: $vgpr120_vgpr121
.LBB57_1012:
	ds_read_b64 v[120:121], v1
.LBB57_1013:
	v_cmp_ne_u32_e32 vcc, 45, v0
	s_and_saveexec_b64 s[4:5], vcc
	s_cbranch_execz .LBB57_1017
; %bb.1014:
	s_mov_b32 s6, 0
	v_add_u32_e32 v122, 0x1d8, v16
	v_add3_u32 v123, v16, s6, 8
	s_mov_b64 s[6:7], 0
	v_mov_b32_e32 v124, v0
.LBB57_1015:                            ; =>This Inner Loop Header: Depth=1
	scratch_load_dwordx2 v[126:127], v123, off
	ds_read_b64 v[128:129], v122
	v_add_u32_e32 v124, 1, v124
	v_cmp_lt_u32_e32 vcc, 44, v124
	v_add_u32_e32 v122, 8, v122
	v_add_u32_e32 v123, 8, v123
	s_or_b64 s[6:7], vcc, s[6:7]
	s_waitcnt vmcnt(0) lgkmcnt(0)
	v_fmac_f64_e32 v[120:121], v[126:127], v[128:129]
	s_andn2_b64 exec, exec, s[6:7]
	s_cbranch_execnz .LBB57_1015
; %bb.1016:
	s_or_b64 exec, exec, s[6:7]
.LBB57_1017:
	s_or_b64 exec, exec, s[4:5]
	v_mov_b32_e32 v122, 0
	ds_read_b64 v[122:123], v122 offset:368
	s_waitcnt lgkmcnt(0)
	v_mul_f64 v[120:121], v[120:121], v[122:123]
	scratch_store_dwordx2 off, v[120:121], off offset:368
.LBB57_1018:
	;; [unrolled: 55-line block ×11, first 2 shown]
	s_or_b64 exec, exec, s[2:3]
	scratch_load_dwordx2 v[120:121], off, off offset:448
	v_cmp_gt_u32_e64 s[2:3], 56, v0
	s_waitcnt vmcnt(0)
	ds_write_b64 v1, v[120:121]
	s_waitcnt lgkmcnt(0)
	; wave barrier
	s_and_saveexec_b64 s[4:5], s[2:3]
	s_cbranch_execz .LBB57_1118
; %bb.1109:
	s_and_b64 vcc, exec, s[0:1]
	s_cbranch_vccnz .LBB57_1111
; %bb.1110:
	scratch_load_dwordx2 v[120:121], v17, off
	ds_read_b64 v[122:123], v1
	s_waitcnt vmcnt(0) lgkmcnt(0)
	v_mul_f64 v[120:121], v[120:121], v[122:123]
	s_cbranch_execz .LBB57_1112
	s_branch .LBB57_1113
.LBB57_1111:
                                        ; implicit-def: $vgpr120_vgpr121
.LBB57_1112:
	ds_read_b64 v[120:121], v1
.LBB57_1113:
	v_cmp_ne_u32_e32 vcc, 55, v0
	s_and_saveexec_b64 s[6:7], vcc
	s_cbranch_execz .LBB57_1117
; %bb.1114:
	s_mov_b32 s8, 0
	v_add_u32_e32 v122, 0x1d8, v16
	v_add3_u32 v123, v16, s8, 8
	s_mov_b64 s[8:9], 0
	v_mov_b32_e32 v124, v0
.LBB57_1115:                            ; =>This Inner Loop Header: Depth=1
	scratch_load_dwordx2 v[126:127], v123, off
	ds_read_b64 v[128:129], v122
	v_add_u32_e32 v124, 1, v124
	v_cmp_lt_u32_e32 vcc, 54, v124
	v_add_u32_e32 v122, 8, v122
	v_add_u32_e32 v123, 8, v123
	s_or_b64 s[8:9], vcc, s[8:9]
	s_waitcnt vmcnt(0) lgkmcnt(0)
	v_fmac_f64_e32 v[120:121], v[126:127], v[128:129]
	s_andn2_b64 exec, exec, s[8:9]
	s_cbranch_execnz .LBB57_1115
; %bb.1116:
	s_or_b64 exec, exec, s[8:9]
.LBB57_1117:
	s_or_b64 exec, exec, s[6:7]
	v_mov_b32_e32 v122, 0
	ds_read_b64 v[122:123], v122 offset:448
	s_waitcnt lgkmcnt(0)
	v_mul_f64 v[120:121], v[120:121], v[122:123]
	scratch_store_dwordx2 off, v[120:121], off offset:448
.LBB57_1118:
	s_or_b64 exec, exec, s[4:5]
	scratch_load_dwordx2 v[120:121], off, off offset:456
	v_cmp_ne_u32_e32 vcc, 57, v0
	s_waitcnt vmcnt(0)
	ds_write_b64 v1, v[120:121]
	s_waitcnt lgkmcnt(0)
	; wave barrier
	s_and_saveexec_b64 s[4:5], vcc
	s_cbranch_execz .LBB57_1128
; %bb.1119:
	s_and_b64 vcc, exec, s[0:1]
	s_cbranch_vccnz .LBB57_1121
; %bb.1120:
	scratch_load_dwordx2 v[120:121], v17, off
	ds_read_b64 v[122:123], v1
	s_waitcnt vmcnt(0) lgkmcnt(0)
	v_mul_f64 v[120:121], v[120:121], v[122:123]
	s_cbranch_execz .LBB57_1122
	s_branch .LBB57_1123
.LBB57_1121:
                                        ; implicit-def: $vgpr120_vgpr121
.LBB57_1122:
	ds_read_b64 v[120:121], v1
.LBB57_1123:
	s_and_saveexec_b64 s[0:1], s[2:3]
	s_cbranch_execz .LBB57_1127
; %bb.1124:
	s_mov_b32 s2, 0
	v_add_u32_e32 v1, 0x1d8, v16
	v_add3_u32 v16, v16, s2, 8
	s_mov_b64 s[2:3], 0
.LBB57_1125:                            ; =>This Inner Loop Header: Depth=1
	scratch_load_dwordx2 v[122:123], v16, off
	ds_read_b64 v[124:125], v1
	v_add_u32_e32 v0, 1, v0
	v_cmp_lt_u32_e32 vcc, 55, v0
	v_add_u32_e32 v1, 8, v1
	v_add_u32_e32 v16, 8, v16
	s_or_b64 s[2:3], vcc, s[2:3]
	s_waitcnt vmcnt(0) lgkmcnt(0)
	v_fmac_f64_e32 v[120:121], v[122:123], v[124:125]
	s_andn2_b64 exec, exec, s[2:3]
	s_cbranch_execnz .LBB57_1125
; %bb.1126:
	s_or_b64 exec, exec, s[2:3]
.LBB57_1127:
	s_or_b64 exec, exec, s[0:1]
	v_mov_b32_e32 v0, 0
	ds_read_b64 v[0:1], v0 offset:456
	s_waitcnt lgkmcnt(0)
	v_mul_f64 v[0:1], v[120:121], v[0:1]
	scratch_store_dwordx2 off, v[0:1], off offset:456
.LBB57_1128:
	s_or_b64 exec, exec, s[4:5]
.LBB57_1129:
	scratch_load_dwordx4 v[120:123], off, off
	s_waitcnt vmcnt(0)
	global_store_dwordx2 v[2:3], v[120:121], off
	global_store_dwordx2 v[4:5], v[122:123], off
	scratch_load_dwordx4 v[0:3], off, off offset:16
	s_waitcnt vmcnt(0)
	global_store_dwordx2 v[6:7], v[0:1], off
	global_store_dwordx2 v[8:9], v[2:3], off
	scratch_load_dwordx4 v[0:3], off, off offset:32
	;; [unrolled: 4-line block ×28, first 2 shown]
	s_waitcnt vmcnt(0)
	global_store_dwordx2 v[98:99], v[0:1], off
	global_store_dwordx2 v[104:105], v[2:3], off
.LBB57_1130:
	s_endpgm
	.section	.rodata,"a",@progbits
	.p2align	6, 0x0
	.amdhsa_kernel _ZN9rocsolver6v33100L18trti2_kernel_smallILi58EdPdEEv13rocblas_fill_17rocblas_diagonal_T1_iil
		.amdhsa_group_segment_fixed_size 928
		.amdhsa_private_segment_fixed_size 480
		.amdhsa_kernarg_size 32
		.amdhsa_user_sgpr_count 2
		.amdhsa_user_sgpr_dispatch_ptr 0
		.amdhsa_user_sgpr_queue_ptr 0
		.amdhsa_user_sgpr_kernarg_segment_ptr 1
		.amdhsa_user_sgpr_dispatch_id 0
		.amdhsa_user_sgpr_kernarg_preload_length 0
		.amdhsa_user_sgpr_kernarg_preload_offset 0
		.amdhsa_user_sgpr_private_segment_size 0
		.amdhsa_uses_dynamic_stack 0
		.amdhsa_enable_private_segment 1
		.amdhsa_system_sgpr_workgroup_id_x 1
		.amdhsa_system_sgpr_workgroup_id_y 0
		.amdhsa_system_sgpr_workgroup_id_z 0
		.amdhsa_system_sgpr_workgroup_info 0
		.amdhsa_system_vgpr_workitem_id 0
		.amdhsa_next_free_vgpr 130
		.amdhsa_next_free_sgpr 40
		.amdhsa_accum_offset 132
		.amdhsa_reserve_vcc 1
		.amdhsa_float_round_mode_32 0
		.amdhsa_float_round_mode_16_64 0
		.amdhsa_float_denorm_mode_32 3
		.amdhsa_float_denorm_mode_16_64 3
		.amdhsa_dx10_clamp 1
		.amdhsa_ieee_mode 1
		.amdhsa_fp16_overflow 0
		.amdhsa_tg_split 0
		.amdhsa_exception_fp_ieee_invalid_op 0
		.amdhsa_exception_fp_denorm_src 0
		.amdhsa_exception_fp_ieee_div_zero 0
		.amdhsa_exception_fp_ieee_overflow 0
		.amdhsa_exception_fp_ieee_underflow 0
		.amdhsa_exception_fp_ieee_inexact 0
		.amdhsa_exception_int_div_zero 0
	.end_amdhsa_kernel
	.section	.text._ZN9rocsolver6v33100L18trti2_kernel_smallILi58EdPdEEv13rocblas_fill_17rocblas_diagonal_T1_iil,"axG",@progbits,_ZN9rocsolver6v33100L18trti2_kernel_smallILi58EdPdEEv13rocblas_fill_17rocblas_diagonal_T1_iil,comdat
.Lfunc_end57:
	.size	_ZN9rocsolver6v33100L18trti2_kernel_smallILi58EdPdEEv13rocblas_fill_17rocblas_diagonal_T1_iil, .Lfunc_end57-_ZN9rocsolver6v33100L18trti2_kernel_smallILi58EdPdEEv13rocblas_fill_17rocblas_diagonal_T1_iil
                                        ; -- End function
	.set _ZN9rocsolver6v33100L18trti2_kernel_smallILi58EdPdEEv13rocblas_fill_17rocblas_diagonal_T1_iil.num_vgpr, 130
	.set _ZN9rocsolver6v33100L18trti2_kernel_smallILi58EdPdEEv13rocblas_fill_17rocblas_diagonal_T1_iil.num_agpr, 0
	.set _ZN9rocsolver6v33100L18trti2_kernel_smallILi58EdPdEEv13rocblas_fill_17rocblas_diagonal_T1_iil.numbered_sgpr, 40
	.set _ZN9rocsolver6v33100L18trti2_kernel_smallILi58EdPdEEv13rocblas_fill_17rocblas_diagonal_T1_iil.num_named_barrier, 0
	.set _ZN9rocsolver6v33100L18trti2_kernel_smallILi58EdPdEEv13rocblas_fill_17rocblas_diagonal_T1_iil.private_seg_size, 480
	.set _ZN9rocsolver6v33100L18trti2_kernel_smallILi58EdPdEEv13rocblas_fill_17rocblas_diagonal_T1_iil.uses_vcc, 1
	.set _ZN9rocsolver6v33100L18trti2_kernel_smallILi58EdPdEEv13rocblas_fill_17rocblas_diagonal_T1_iil.uses_flat_scratch, 0
	.set _ZN9rocsolver6v33100L18trti2_kernel_smallILi58EdPdEEv13rocblas_fill_17rocblas_diagonal_T1_iil.has_dyn_sized_stack, 0
	.set _ZN9rocsolver6v33100L18trti2_kernel_smallILi58EdPdEEv13rocblas_fill_17rocblas_diagonal_T1_iil.has_recursion, 0
	.set _ZN9rocsolver6v33100L18trti2_kernel_smallILi58EdPdEEv13rocblas_fill_17rocblas_diagonal_T1_iil.has_indirect_call, 0
	.section	.AMDGPU.csdata,"",@progbits
; Kernel info:
; codeLenInByte = 27704
; TotalNumSgprs: 46
; NumVgprs: 130
; NumAgprs: 0
; TotalNumVgprs: 130
; ScratchSize: 480
; MemoryBound: 0
; FloatMode: 240
; IeeeMode: 1
; LDSByteSize: 928 bytes/workgroup (compile time only)
; SGPRBlocks: 5
; VGPRBlocks: 16
; NumSGPRsForWavesPerEU: 46
; NumVGPRsForWavesPerEU: 130
; AccumOffset: 132
; Occupancy: 3
; WaveLimiterHint : 0
; COMPUTE_PGM_RSRC2:SCRATCH_EN: 1
; COMPUTE_PGM_RSRC2:USER_SGPR: 2
; COMPUTE_PGM_RSRC2:TRAP_HANDLER: 0
; COMPUTE_PGM_RSRC2:TGID_X_EN: 1
; COMPUTE_PGM_RSRC2:TGID_Y_EN: 0
; COMPUTE_PGM_RSRC2:TGID_Z_EN: 0
; COMPUTE_PGM_RSRC2:TIDIG_COMP_CNT: 0
; COMPUTE_PGM_RSRC3_GFX90A:ACCUM_OFFSET: 32
; COMPUTE_PGM_RSRC3_GFX90A:TG_SPLIT: 0
	.section	.text._ZN9rocsolver6v33100L18trti2_kernel_smallILi59EdPdEEv13rocblas_fill_17rocblas_diagonal_T1_iil,"axG",@progbits,_ZN9rocsolver6v33100L18trti2_kernel_smallILi59EdPdEEv13rocblas_fill_17rocblas_diagonal_T1_iil,comdat
	.globl	_ZN9rocsolver6v33100L18trti2_kernel_smallILi59EdPdEEv13rocblas_fill_17rocblas_diagonal_T1_iil ; -- Begin function _ZN9rocsolver6v33100L18trti2_kernel_smallILi59EdPdEEv13rocblas_fill_17rocblas_diagonal_T1_iil
	.p2align	8
	.type	_ZN9rocsolver6v33100L18trti2_kernel_smallILi59EdPdEEv13rocblas_fill_17rocblas_diagonal_T1_iil,@function
_ZN9rocsolver6v33100L18trti2_kernel_smallILi59EdPdEEv13rocblas_fill_17rocblas_diagonal_T1_iil: ; @_ZN9rocsolver6v33100L18trti2_kernel_smallILi59EdPdEEv13rocblas_fill_17rocblas_diagonal_T1_iil
; %bb.0:
	v_cmp_gt_u32_e32 vcc, 59, v0
	s_and_saveexec_b64 s[4:5], vcc
	s_cbranch_execz .LBB58_1150
; %bb.1:
	s_load_dwordx8 s[4:11], s[0:1], 0x0
	s_ashr_i32 s3, s2, 31
	v_lshlrev_b32_e32 v12, 3, v0
	v_mov_b32_e32 v13, 0
	s_waitcnt lgkmcnt(0)
	s_ashr_i32 s1, s8, 31
	s_mov_b32 s0, s8
	s_mul_hi_u32 s8, s10, s2
	s_mul_i32 s3, s10, s3
	s_add_i32 s3, s8, s3
	s_mul_i32 s8, s11, s2
	s_add_i32 s3, s3, s8
	s_mul_i32 s2, s10, s2
	s_lshl_b64 s[2:3], s[2:3], 3
	s_add_u32 s2, s6, s2
	s_addc_u32 s3, s7, s3
	s_lshl_b64 s[0:1], s[0:1], 3
	s_add_u32 s0, s2, s0
	s_addc_u32 s1, s3, s1
	v_lshl_add_u64 v[2:3], s[0:1], 0, v[12:13]
	s_ashr_i32 s3, s9, 31
	s_mov_b32 s2, s9
	v_lshl_add_u64 v[4:5], s[2:3], 3, v[2:3]
	global_load_dwordx2 v[6:7], v12, s[0:1]
	global_load_dwordx2 v[8:9], v[4:5], off
	s_add_i32 s2, s9, s9
	s_cmpk_lg_i32 s5, 0x84
	s_cselect_b64 s[6:7], -1, 0
	s_cmpk_eq_i32 s5, 0x84
	s_waitcnt vmcnt(0)
	scratch_store_dwordx4 off, v[6:9], off
	s_nop 1
	v_add_u32_e32 v8, s2, v0
	v_add_u32_e32 v10, s9, v8
	v_ashrrev_i32_e32 v9, 31, v8
	v_ashrrev_i32_e32 v11, 31, v10
	v_lshl_add_u64 v[6:7], v[8:9], 3, s[0:1]
	v_lshl_add_u64 v[8:9], v[10:11], 3, s[0:1]
	global_load_dwordx2 v[14:15], v[6:7], off
	global_load_dwordx2 v[16:17], v[8:9], off
	s_waitcnt vmcnt(0)
	scratch_store_dwordx4 off, v[14:17], off offset:16
	s_nop 1
	v_add_u32_e32 v14, s9, v10
	v_add_u32_e32 v16, s9, v14
	v_ashrrev_i32_e32 v15, 31, v14
	v_ashrrev_i32_e32 v17, 31, v16
	v_lshl_add_u64 v[10:11], v[14:15], 3, s[0:1]
	v_lshl_add_u64 v[14:15], v[16:17], 3, s[0:1]
	global_load_dwordx2 v[18:19], v[10:11], off
	global_load_dwordx2 v[20:21], v[14:15], off
	s_waitcnt vmcnt(0)
	scratch_store_dwordx4 off, v[18:21], off offset:32
	;; [unrolled: 11-line block ×25, first 2 shown]
	s_nop 1
	v_add_u32_e32 v110, s9, v108
	v_ashrrev_i32_e32 v111, 31, v110
	v_lshl_add_u64 v[108:109], v[110:111], 3, s[0:1]
	v_add_u32_e32 v110, s9, v110
	v_ashrrev_i32_e32 v111, 31, v110
	v_lshl_add_u64 v[112:113], v[110:111], 3, s[0:1]
	global_load_dwordx2 v[114:115], v[108:109], off
	global_load_dwordx2 v[116:117], v[112:113], off
	v_add_u32_e32 v110, s9, v110
	v_ashrrev_i32_e32 v111, 31, v110
	s_waitcnt vmcnt(0)
	scratch_store_dwordx4 off, v[114:117], off offset:416
	s_nop 1
	v_lshl_add_u64 v[114:115], v[110:111], 3, s[0:1]
	v_add_u32_e32 v110, s9, v110
	v_ashrrev_i32_e32 v111, 31, v110
	v_lshl_add_u64 v[116:117], v[110:111], 3, s[0:1]
	global_load_dwordx2 v[118:119], v[114:115], off
	global_load_dwordx2 v[120:121], v[116:117], off
	v_add_u32_e32 v110, s9, v110
	v_ashrrev_i32_e32 v111, 31, v110
	s_waitcnt vmcnt(0)
	scratch_store_dwordx4 off, v[118:121], off offset:432
	s_nop 1
	v_lshl_add_u64 v[118:119], v[110:111], 3, s[0:1]
	v_add_u32_e32 v110, s9, v110
	v_ashrrev_i32_e32 v111, 31, v110
	v_lshl_add_u64 v[120:121], v[110:111], 3, s[0:1]
	global_load_dwordx2 v[122:123], v[118:119], off
	global_load_dwordx2 v[124:125], v[120:121], off
	v_add_u32_e32 v110, s9, v110
	v_ashrrev_i32_e32 v111, 31, v110
	v_lshl_add_u64 v[110:111], v[110:111], 3, s[0:1]
	s_waitcnt vmcnt(0)
	scratch_store_dwordx4 off, v[122:125], off offset:448
	global_load_dwordx2 v[122:123], v[110:111], off
	s_waitcnt vmcnt(0)
	scratch_store_dwordx2 off, v[122:123], off offset:464
	v_mov_b64_e32 v[122:123], -1.0
	s_cbranch_scc1 .LBB58_3
; %bb.2:
	scratch_load_dwordx2 v[122:123], v12, off
	s_waitcnt vmcnt(0)
	v_div_scale_f64 v[124:125], s[0:1], v[122:123], v[122:123], 1.0
	v_rcp_f64_e32 v[126:127], v[124:125]
	v_div_scale_f64 v[128:129], vcc, 1.0, v[122:123], 1.0
	v_fma_f64 v[130:131], -v[124:125], v[126:127], 1.0
	v_fmac_f64_e32 v[126:127], v[126:127], v[130:131]
	v_fma_f64 v[130:131], -v[124:125], v[126:127], 1.0
	v_fmac_f64_e32 v[126:127], v[126:127], v[130:131]
	v_mul_f64 v[130:131], v[128:129], v[126:127]
	v_fma_f64 v[124:125], -v[124:125], v[130:131], v[128:129]
	v_div_fmas_f64 v[124:125], v[124:125], v[126:127], v[130:131]
	v_div_fixup_f64 v[122:123], v[124:125], v[122:123], 1.0
	scratch_store_dwordx2 v12, v[122:123], off
	v_xor_b32_e32 v123, 0x80000000, v123
.LBB58_3:
	s_cmpk_eq_i32 s4, 0x79
	v_add_u32_e32 v1, 0x1e0, v12
	v_mov_b32_e32 v13, v12
	s_mov_b64 s[0:1], -1
	ds_write_b64 v12, v[122:123]
	s_cbranch_scc1 .LBB58_577
; %bb.4:
	scratch_load_dwordx2 v[122:123], off, off offset:456
	s_movk_i32 s8, 0x50
	s_movk_i32 s9, 0x60
	s_movk_i32 s16, 0x70
	s_movk_i32 s17, 0x80
	s_movk_i32 s18, 0x90
	s_movk_i32 s19, 0xa0
	s_movk_i32 s20, 0xb0
	s_movk_i32 s21, 0xc0
	s_movk_i32 s22, 0xd0
	s_movk_i32 s23, 0xe0
	s_movk_i32 s24, 0xf0
	s_movk_i32 s25, 0x100
	s_movk_i32 s26, 0x110
	s_movk_i32 s27, 0x120
	s_movk_i32 s28, 0x130
	s_movk_i32 s29, 0x140
	s_movk_i32 s30, 0x150
	s_movk_i32 s31, 0x160
	s_movk_i32 s33, 0x170
	s_movk_i32 s34, 0x180
	s_movk_i32 s35, 0x190
	s_movk_i32 s36, 0x1a0
	s_movk_i32 s37, 0x1b0
	s_movk_i32 s38, 0x1c0
	v_cmp_eq_u32_e64 s[0:1], 58, v0
	s_waitcnt vmcnt(0)
	ds_write_b64 v1, v[122:123]
	s_waitcnt lgkmcnt(0)
	; wave barrier
	s_and_saveexec_b64 s[2:3], s[0:1]
	s_cbranch_execz .LBB58_10
; %bb.5:
	s_and_b64 vcc, exec, s[6:7]
	s_cbranch_vccz .LBB58_7
; %bb.6:
	scratch_load_dwordx2 v[122:123], v13, off
	ds_read_b64 v[124:125], v1
	s_waitcnt vmcnt(0) lgkmcnt(0)
	v_mul_f64 v[122:123], v[122:123], v[124:125]
	s_cbranch_execz .LBB58_8
	s_branch .LBB58_9
.LBB58_7:
                                        ; implicit-def: $vgpr122_vgpr123
.LBB58_8:
	ds_read_b64 v[122:123], v1
.LBB58_9:
	v_mov_b32_e32 v124, 0
	ds_read_b64 v[124:125], v124 offset:456
	s_waitcnt lgkmcnt(0)
	v_mul_f64 v[122:123], v[122:123], v[124:125]
	scratch_store_dwordx2 off, v[122:123], off offset:456
.LBB58_10:
	s_or_b64 exec, exec, s[2:3]
	scratch_load_dwordx2 v[122:123], off, off offset:448
	s_mov_b32 s10, 16
	s_mov_b32 s11, 32
	;; [unrolled: 1-line block ×6, first 2 shown]
	v_cmp_lt_u32_e64 s[4:5], 56, v0
	s_waitcnt vmcnt(0)
	ds_write_b64 v1, v[122:123]
	s_waitcnt lgkmcnt(0)
	; wave barrier
	s_and_saveexec_b64 s[2:3], s[4:5]
	s_cbranch_execz .LBB58_16
; %bb.11:
	s_andn2_b64 vcc, exec, s[6:7]
	s_cbranch_vccnz .LBB58_13
; %bb.12:
	scratch_load_dwordx2 v[122:123], v13, off
	ds_read_b64 v[124:125], v1
	s_waitcnt vmcnt(0) lgkmcnt(0)
	v_mul_f64 v[122:123], v[122:123], v[124:125]
	s_cbranch_execz .LBB58_14
	s_branch .LBB58_15
.LBB58_13:
                                        ; implicit-def: $vgpr122_vgpr123
.LBB58_14:
	ds_read_b64 v[122:123], v1
.LBB58_15:
	scratch_load_dwordx2 v[128:129], off, off offset:456
	v_mov_b32_e32 v124, 0
	ds_read2_b64 v[124:127], v124 offset0:56 offset1:117
	s_waitcnt vmcnt(0) lgkmcnt(0)
	v_fma_f64 v[126:127], v[128:129], v[126:127], v[122:123]
	v_cndmask_b32_e64 v123, v123, v127, s[0:1]
	v_cndmask_b32_e64 v122, v122, v126, s[0:1]
	v_mul_f64 v[122:123], v[122:123], v[124:125]
	scratch_store_dwordx2 off, v[122:123], off offset:448
.LBB58_16:
	s_or_b64 exec, exec, s[2:3]
	scratch_load_dwordx2 v[122:123], off, off offset:440
	v_cmp_lt_u32_e64 s[2:3], 55, v0
	s_waitcnt vmcnt(0)
	ds_write_b64 v1, v[122:123]
	s_waitcnt lgkmcnt(0)
	; wave barrier
	s_and_saveexec_b64 s[0:1], s[2:3]
	s_cbranch_execz .LBB58_26
; %bb.17:
	s_andn2_b64 vcc, exec, s[6:7]
	s_cbranch_vccnz .LBB58_19
; %bb.18:
	scratch_load_dwordx2 v[122:123], v13, off
	ds_read_b64 v[124:125], v1
	s_waitcnt vmcnt(0) lgkmcnt(0)
	v_mul_f64 v[122:123], v[122:123], v[124:125]
	s_cbranch_execz .LBB58_20
	s_branch .LBB58_21
.LBB58_19:
                                        ; implicit-def: $vgpr122_vgpr123
.LBB58_20:
	ds_read_b64 v[122:123], v1
.LBB58_21:
	s_and_saveexec_b64 s[8:9], s[4:5]
	s_cbranch_execz .LBB58_25
; %bb.22:
	v_subrev_u32_e32 v124, 56, v0
	s_movk_i32 s39, 0x3a0
	s_mov_b64 s[4:5], 0
.LBB58_23:                              ; =>This Inner Loop Header: Depth=1
	scratch_load_dwordx2 v[126:127], off, s38
	v_mov_b32_e32 v125, s39
	ds_read_b64 v[128:129], v125
	v_add_u32_e32 v124, -1, v124
	s_add_i32 s39, s39, 8
	s_add_i32 s38, s38, 8
	v_cmp_eq_u32_e32 vcc, 0, v124
	s_or_b64 s[4:5], vcc, s[4:5]
	s_waitcnt vmcnt(0) lgkmcnt(0)
	v_fmac_f64_e32 v[122:123], v[126:127], v[128:129]
	s_andn2_b64 exec, exec, s[4:5]
	s_cbranch_execnz .LBB58_23
; %bb.24:
	s_or_b64 exec, exec, s[4:5]
.LBB58_25:
	s_or_b64 exec, exec, s[8:9]
	v_mov_b32_e32 v124, 0
	ds_read_b64 v[124:125], v124 offset:440
	s_waitcnt lgkmcnt(0)
	v_mul_f64 v[122:123], v[122:123], v[124:125]
	scratch_store_dwordx2 off, v[122:123], off offset:440
.LBB58_26:
	s_or_b64 exec, exec, s[0:1]
	scratch_load_dwordx2 v[122:123], off, off offset:432
	v_cmp_lt_u32_e64 s[0:1], 54, v0
	s_waitcnt vmcnt(0)
	ds_write_b64 v1, v[122:123]
	s_waitcnt lgkmcnt(0)
	; wave barrier
	s_and_saveexec_b64 s[4:5], s[0:1]
	s_cbranch_execz .LBB58_36
; %bb.27:
	s_andn2_b64 vcc, exec, s[6:7]
	s_cbranch_vccnz .LBB58_29
; %bb.28:
	scratch_load_dwordx2 v[122:123], v13, off
	ds_read_b64 v[124:125], v1
	s_waitcnt vmcnt(0) lgkmcnt(0)
	v_mul_f64 v[122:123], v[122:123], v[124:125]
	s_cbranch_execz .LBB58_30
	s_branch .LBB58_31
.LBB58_29:
                                        ; implicit-def: $vgpr122_vgpr123
.LBB58_30:
	ds_read_b64 v[122:123], v1
.LBB58_31:
	s_and_saveexec_b64 s[8:9], s[2:3]
	s_cbranch_execz .LBB58_35
; %bb.32:
	s_movk_i32 s38, 0x1b8
	v_subrev_u32_e32 v124, 55, v0
	s_movk_i32 s39, 0x398
	s_mov_b64 s[2:3], 0
.LBB58_33:                              ; =>This Inner Loop Header: Depth=1
	scratch_load_dwordx2 v[126:127], off, s38
	v_mov_b32_e32 v125, s39
	ds_read_b64 v[128:129], v125
	v_add_u32_e32 v124, -1, v124
	s_add_i32 s39, s39, 8
	s_add_i32 s38, s38, 8
	v_cmp_eq_u32_e32 vcc, 0, v124
	s_or_b64 s[2:3], vcc, s[2:3]
	s_waitcnt vmcnt(0) lgkmcnt(0)
	v_fmac_f64_e32 v[122:123], v[126:127], v[128:129]
	s_andn2_b64 exec, exec, s[2:3]
	s_cbranch_execnz .LBB58_33
; %bb.34:
	s_or_b64 exec, exec, s[2:3]
.LBB58_35:
	s_or_b64 exec, exec, s[8:9]
	v_mov_b32_e32 v124, 0
	ds_read_b64 v[124:125], v124 offset:432
	s_waitcnt lgkmcnt(0)
	v_mul_f64 v[122:123], v[122:123], v[124:125]
	scratch_store_dwordx2 off, v[122:123], off offset:432
.LBB58_36:
	s_or_b64 exec, exec, s[4:5]
	scratch_load_dwordx2 v[122:123], off, off offset:424
	v_cmp_lt_u32_e64 s[2:3], 53, v0
	s_waitcnt vmcnt(0)
	ds_write_b64 v1, v[122:123]
	s_waitcnt lgkmcnt(0)
	; wave barrier
	s_and_saveexec_b64 s[4:5], s[2:3]
	s_cbranch_execz .LBB58_46
; %bb.37:
	s_andn2_b64 vcc, exec, s[6:7]
	s_cbranch_vccnz .LBB58_39
; %bb.38:
	scratch_load_dwordx2 v[122:123], v13, off
	ds_read_b64 v[124:125], v1
	s_waitcnt vmcnt(0) lgkmcnt(0)
	v_mul_f64 v[122:123], v[122:123], v[124:125]
	s_cbranch_execz .LBB58_40
	s_branch .LBB58_41
.LBB58_39:
                                        ; implicit-def: $vgpr122_vgpr123
.LBB58_40:
	ds_read_b64 v[122:123], v1
.LBB58_41:
	s_and_saveexec_b64 s[8:9], s[0:1]
	s_cbranch_execz .LBB58_45
; %bb.42:
	v_subrev_u32_e32 v124, 54, v0
	s_movk_i32 s38, 0x390
	s_mov_b64 s[0:1], 0
.LBB58_43:                              ; =>This Inner Loop Header: Depth=1
	scratch_load_dwordx2 v[126:127], off, s37
	v_mov_b32_e32 v125, s38
	ds_read_b64 v[128:129], v125
	v_add_u32_e32 v124, -1, v124
	s_add_i32 s38, s38, 8
	s_add_i32 s37, s37, 8
	v_cmp_eq_u32_e32 vcc, 0, v124
	s_or_b64 s[0:1], vcc, s[0:1]
	s_waitcnt vmcnt(0) lgkmcnt(0)
	v_fmac_f64_e32 v[122:123], v[126:127], v[128:129]
	s_andn2_b64 exec, exec, s[0:1]
	s_cbranch_execnz .LBB58_43
; %bb.44:
	s_or_b64 exec, exec, s[0:1]
.LBB58_45:
	s_or_b64 exec, exec, s[8:9]
	v_mov_b32_e32 v124, 0
	ds_read_b64 v[124:125], v124 offset:424
	s_waitcnt lgkmcnt(0)
	v_mul_f64 v[122:123], v[122:123], v[124:125]
	scratch_store_dwordx2 off, v[122:123], off offset:424
.LBB58_46:
	s_or_b64 exec, exec, s[4:5]
	scratch_load_dwordx2 v[122:123], off, off offset:416
	v_cmp_lt_u32_e64 s[0:1], 52, v0
	s_waitcnt vmcnt(0)
	ds_write_b64 v1, v[122:123]
	s_waitcnt lgkmcnt(0)
	; wave barrier
	s_and_saveexec_b64 s[4:5], s[0:1]
	s_cbranch_execz .LBB58_56
; %bb.47:
	s_andn2_b64 vcc, exec, s[6:7]
	s_cbranch_vccnz .LBB58_49
; %bb.48:
	scratch_load_dwordx2 v[122:123], v13, off
	ds_read_b64 v[124:125], v1
	s_waitcnt vmcnt(0) lgkmcnt(0)
	v_mul_f64 v[122:123], v[122:123], v[124:125]
	s_cbranch_execz .LBB58_50
	s_branch .LBB58_51
.LBB58_49:
                                        ; implicit-def: $vgpr122_vgpr123
.LBB58_50:
	ds_read_b64 v[122:123], v1
.LBB58_51:
	s_and_saveexec_b64 s[8:9], s[2:3]
	s_cbranch_execz .LBB58_55
; %bb.52:
	s_movk_i32 s37, 0x1a8
	v_subrev_u32_e32 v124, 53, v0
	s_movk_i32 s38, 0x388
	s_mov_b64 s[2:3], 0
.LBB58_53:                              ; =>This Inner Loop Header: Depth=1
	scratch_load_dwordx2 v[126:127], off, s37
	v_mov_b32_e32 v125, s38
	ds_read_b64 v[128:129], v125
	v_add_u32_e32 v124, -1, v124
	s_add_i32 s38, s38, 8
	s_add_i32 s37, s37, 8
	v_cmp_eq_u32_e32 vcc, 0, v124
	s_or_b64 s[2:3], vcc, s[2:3]
	s_waitcnt vmcnt(0) lgkmcnt(0)
	v_fmac_f64_e32 v[122:123], v[126:127], v[128:129]
	s_andn2_b64 exec, exec, s[2:3]
	s_cbranch_execnz .LBB58_53
; %bb.54:
	s_or_b64 exec, exec, s[2:3]
.LBB58_55:
	s_or_b64 exec, exec, s[8:9]
	v_mov_b32_e32 v124, 0
	ds_read_b64 v[124:125], v124 offset:416
	s_waitcnt lgkmcnt(0)
	v_mul_f64 v[122:123], v[122:123], v[124:125]
	scratch_store_dwordx2 off, v[122:123], off offset:416
.LBB58_56:
	s_or_b64 exec, exec, s[4:5]
	scratch_load_dwordx2 v[122:123], off, off offset:408
	v_cmp_lt_u32_e64 s[2:3], 51, v0
	s_waitcnt vmcnt(0)
	ds_write_b64 v1, v[122:123]
	s_waitcnt lgkmcnt(0)
	; wave barrier
	s_and_saveexec_b64 s[4:5], s[2:3]
	s_cbranch_execz .LBB58_66
; %bb.57:
	s_andn2_b64 vcc, exec, s[6:7]
	s_cbranch_vccnz .LBB58_59
; %bb.58:
	scratch_load_dwordx2 v[122:123], v13, off
	ds_read_b64 v[124:125], v1
	s_waitcnt vmcnt(0) lgkmcnt(0)
	v_mul_f64 v[122:123], v[122:123], v[124:125]
	s_cbranch_execz .LBB58_60
	s_branch .LBB58_61
.LBB58_59:
                                        ; implicit-def: $vgpr122_vgpr123
.LBB58_60:
	ds_read_b64 v[122:123], v1
.LBB58_61:
	s_and_saveexec_b64 s[8:9], s[0:1]
	s_cbranch_execz .LBB58_65
; %bb.62:
	v_subrev_u32_e32 v124, 52, v0
	s_movk_i32 s37, 0x380
	s_mov_b64 s[0:1], 0
.LBB58_63:                              ; =>This Inner Loop Header: Depth=1
	scratch_load_dwordx2 v[126:127], off, s36
	v_mov_b32_e32 v125, s37
	ds_read_b64 v[128:129], v125
	v_add_u32_e32 v124, -1, v124
	s_add_i32 s37, s37, 8
	s_add_i32 s36, s36, 8
	v_cmp_eq_u32_e32 vcc, 0, v124
	s_or_b64 s[0:1], vcc, s[0:1]
	s_waitcnt vmcnt(0) lgkmcnt(0)
	v_fmac_f64_e32 v[122:123], v[126:127], v[128:129]
	s_andn2_b64 exec, exec, s[0:1]
	s_cbranch_execnz .LBB58_63
; %bb.64:
	s_or_b64 exec, exec, s[0:1]
.LBB58_65:
	s_or_b64 exec, exec, s[8:9]
	v_mov_b32_e32 v124, 0
	ds_read_b64 v[124:125], v124 offset:408
	s_waitcnt lgkmcnt(0)
	v_mul_f64 v[122:123], v[122:123], v[124:125]
	scratch_store_dwordx2 off, v[122:123], off offset:408
.LBB58_66:
	s_or_b64 exec, exec, s[4:5]
	scratch_load_dwordx2 v[122:123], off, off offset:400
	v_cmp_lt_u32_e64 s[0:1], 50, v0
	s_waitcnt vmcnt(0)
	ds_write_b64 v1, v[122:123]
	s_waitcnt lgkmcnt(0)
	; wave barrier
	s_and_saveexec_b64 s[4:5], s[0:1]
	s_cbranch_execz .LBB58_76
; %bb.67:
	s_andn2_b64 vcc, exec, s[6:7]
	s_cbranch_vccnz .LBB58_69
; %bb.68:
	scratch_load_dwordx2 v[122:123], v13, off
	ds_read_b64 v[124:125], v1
	s_waitcnt vmcnt(0) lgkmcnt(0)
	v_mul_f64 v[122:123], v[122:123], v[124:125]
	s_cbranch_execz .LBB58_70
	s_branch .LBB58_71
.LBB58_69:
                                        ; implicit-def: $vgpr122_vgpr123
.LBB58_70:
	ds_read_b64 v[122:123], v1
.LBB58_71:
	s_and_saveexec_b64 s[8:9], s[2:3]
	s_cbranch_execz .LBB58_75
; %bb.72:
	s_movk_i32 s36, 0x198
	v_subrev_u32_e32 v124, 51, v0
	s_movk_i32 s37, 0x378
	s_mov_b64 s[2:3], 0
.LBB58_73:                              ; =>This Inner Loop Header: Depth=1
	scratch_load_dwordx2 v[126:127], off, s36
	v_mov_b32_e32 v125, s37
	ds_read_b64 v[128:129], v125
	v_add_u32_e32 v124, -1, v124
	s_add_i32 s37, s37, 8
	s_add_i32 s36, s36, 8
	v_cmp_eq_u32_e32 vcc, 0, v124
	s_or_b64 s[2:3], vcc, s[2:3]
	s_waitcnt vmcnt(0) lgkmcnt(0)
	v_fmac_f64_e32 v[122:123], v[126:127], v[128:129]
	s_andn2_b64 exec, exec, s[2:3]
	s_cbranch_execnz .LBB58_73
; %bb.74:
	s_or_b64 exec, exec, s[2:3]
.LBB58_75:
	s_or_b64 exec, exec, s[8:9]
	v_mov_b32_e32 v124, 0
	ds_read_b64 v[124:125], v124 offset:400
	s_waitcnt lgkmcnt(0)
	v_mul_f64 v[122:123], v[122:123], v[124:125]
	scratch_store_dwordx2 off, v[122:123], off offset:400
.LBB58_76:
	s_or_b64 exec, exec, s[4:5]
	scratch_load_dwordx2 v[122:123], off, off offset:392
	v_cmp_lt_u32_e64 s[2:3], 49, v0
	s_waitcnt vmcnt(0)
	ds_write_b64 v1, v[122:123]
	s_waitcnt lgkmcnt(0)
	; wave barrier
	s_and_saveexec_b64 s[4:5], s[2:3]
	s_cbranch_execz .LBB58_86
; %bb.77:
	s_andn2_b64 vcc, exec, s[6:7]
	s_cbranch_vccnz .LBB58_79
; %bb.78:
	scratch_load_dwordx2 v[122:123], v13, off
	ds_read_b64 v[124:125], v1
	s_waitcnt vmcnt(0) lgkmcnt(0)
	v_mul_f64 v[122:123], v[122:123], v[124:125]
	s_cbranch_execz .LBB58_80
	s_branch .LBB58_81
.LBB58_79:
                                        ; implicit-def: $vgpr122_vgpr123
.LBB58_80:
	ds_read_b64 v[122:123], v1
.LBB58_81:
	s_and_saveexec_b64 s[8:9], s[0:1]
	s_cbranch_execz .LBB58_85
; %bb.82:
	v_subrev_u32_e32 v124, 50, v0
	s_movk_i32 s36, 0x370
	s_mov_b64 s[0:1], 0
.LBB58_83:                              ; =>This Inner Loop Header: Depth=1
	scratch_load_dwordx2 v[126:127], off, s35
	v_mov_b32_e32 v125, s36
	ds_read_b64 v[128:129], v125
	v_add_u32_e32 v124, -1, v124
	s_add_i32 s36, s36, 8
	s_add_i32 s35, s35, 8
	v_cmp_eq_u32_e32 vcc, 0, v124
	s_or_b64 s[0:1], vcc, s[0:1]
	s_waitcnt vmcnt(0) lgkmcnt(0)
	v_fmac_f64_e32 v[122:123], v[126:127], v[128:129]
	s_andn2_b64 exec, exec, s[0:1]
	s_cbranch_execnz .LBB58_83
; %bb.84:
	s_or_b64 exec, exec, s[0:1]
.LBB58_85:
	s_or_b64 exec, exec, s[8:9]
	v_mov_b32_e32 v124, 0
	ds_read_b64 v[124:125], v124 offset:392
	s_waitcnt lgkmcnt(0)
	v_mul_f64 v[122:123], v[122:123], v[124:125]
	scratch_store_dwordx2 off, v[122:123], off offset:392
.LBB58_86:
	s_or_b64 exec, exec, s[4:5]
	scratch_load_dwordx2 v[122:123], off, off offset:384
	v_cmp_lt_u32_e64 s[0:1], 48, v0
	s_waitcnt vmcnt(0)
	ds_write_b64 v1, v[122:123]
	s_waitcnt lgkmcnt(0)
	; wave barrier
	s_and_saveexec_b64 s[4:5], s[0:1]
	s_cbranch_execz .LBB58_96
; %bb.87:
	s_andn2_b64 vcc, exec, s[6:7]
	s_cbranch_vccnz .LBB58_89
; %bb.88:
	scratch_load_dwordx2 v[122:123], v13, off
	ds_read_b64 v[124:125], v1
	s_waitcnt vmcnt(0) lgkmcnt(0)
	v_mul_f64 v[122:123], v[122:123], v[124:125]
	s_cbranch_execz .LBB58_90
	s_branch .LBB58_91
.LBB58_89:
                                        ; implicit-def: $vgpr122_vgpr123
.LBB58_90:
	ds_read_b64 v[122:123], v1
.LBB58_91:
	s_and_saveexec_b64 s[8:9], s[2:3]
	s_cbranch_execz .LBB58_95
; %bb.92:
	s_movk_i32 s35, 0x188
	v_subrev_u32_e32 v124, 49, v0
	s_movk_i32 s36, 0x368
	s_mov_b64 s[2:3], 0
.LBB58_93:                              ; =>This Inner Loop Header: Depth=1
	scratch_load_dwordx2 v[126:127], off, s35
	v_mov_b32_e32 v125, s36
	ds_read_b64 v[128:129], v125
	v_add_u32_e32 v124, -1, v124
	s_add_i32 s36, s36, 8
	s_add_i32 s35, s35, 8
	v_cmp_eq_u32_e32 vcc, 0, v124
	s_or_b64 s[2:3], vcc, s[2:3]
	s_waitcnt vmcnt(0) lgkmcnt(0)
	v_fmac_f64_e32 v[122:123], v[126:127], v[128:129]
	s_andn2_b64 exec, exec, s[2:3]
	s_cbranch_execnz .LBB58_93
; %bb.94:
	s_or_b64 exec, exec, s[2:3]
.LBB58_95:
	s_or_b64 exec, exec, s[8:9]
	v_mov_b32_e32 v124, 0
	ds_read_b64 v[124:125], v124 offset:384
	s_waitcnt lgkmcnt(0)
	v_mul_f64 v[122:123], v[122:123], v[124:125]
	scratch_store_dwordx2 off, v[122:123], off offset:384
.LBB58_96:
	s_or_b64 exec, exec, s[4:5]
	scratch_load_dwordx2 v[122:123], off, off offset:376
	v_cmp_lt_u32_e64 s[2:3], 47, v0
	s_waitcnt vmcnt(0)
	ds_write_b64 v1, v[122:123]
	s_waitcnt lgkmcnt(0)
	; wave barrier
	s_and_saveexec_b64 s[4:5], s[2:3]
	s_cbranch_execz .LBB58_106
; %bb.97:
	s_andn2_b64 vcc, exec, s[6:7]
	s_cbranch_vccnz .LBB58_99
; %bb.98:
	scratch_load_dwordx2 v[122:123], v13, off
	ds_read_b64 v[124:125], v1
	s_waitcnt vmcnt(0) lgkmcnt(0)
	v_mul_f64 v[122:123], v[122:123], v[124:125]
	s_cbranch_execz .LBB58_100
	s_branch .LBB58_101
.LBB58_99:
                                        ; implicit-def: $vgpr122_vgpr123
.LBB58_100:
	ds_read_b64 v[122:123], v1
.LBB58_101:
	s_and_saveexec_b64 s[8:9], s[0:1]
	s_cbranch_execz .LBB58_105
; %bb.102:
	v_subrev_u32_e32 v124, 48, v0
	s_movk_i32 s35, 0x360
	s_mov_b64 s[0:1], 0
.LBB58_103:                             ; =>This Inner Loop Header: Depth=1
	scratch_load_dwordx2 v[126:127], off, s34
	v_mov_b32_e32 v125, s35
	ds_read_b64 v[128:129], v125
	v_add_u32_e32 v124, -1, v124
	s_add_i32 s35, s35, 8
	s_add_i32 s34, s34, 8
	v_cmp_eq_u32_e32 vcc, 0, v124
	s_or_b64 s[0:1], vcc, s[0:1]
	s_waitcnt vmcnt(0) lgkmcnt(0)
	v_fmac_f64_e32 v[122:123], v[126:127], v[128:129]
	s_andn2_b64 exec, exec, s[0:1]
	s_cbranch_execnz .LBB58_103
; %bb.104:
	s_or_b64 exec, exec, s[0:1]
.LBB58_105:
	s_or_b64 exec, exec, s[8:9]
	v_mov_b32_e32 v124, 0
	ds_read_b64 v[124:125], v124 offset:376
	s_waitcnt lgkmcnt(0)
	v_mul_f64 v[122:123], v[122:123], v[124:125]
	scratch_store_dwordx2 off, v[122:123], off offset:376
.LBB58_106:
	s_or_b64 exec, exec, s[4:5]
	scratch_load_dwordx2 v[122:123], off, off offset:368
	v_cmp_lt_u32_e64 s[0:1], 46, v0
	s_waitcnt vmcnt(0)
	ds_write_b64 v1, v[122:123]
	s_waitcnt lgkmcnt(0)
	; wave barrier
	s_and_saveexec_b64 s[4:5], s[0:1]
	s_cbranch_execz .LBB58_116
; %bb.107:
	s_andn2_b64 vcc, exec, s[6:7]
	s_cbranch_vccnz .LBB58_109
; %bb.108:
	scratch_load_dwordx2 v[122:123], v13, off
	ds_read_b64 v[124:125], v1
	s_waitcnt vmcnt(0) lgkmcnt(0)
	v_mul_f64 v[122:123], v[122:123], v[124:125]
	s_cbranch_execz .LBB58_110
	s_branch .LBB58_111
.LBB58_109:
                                        ; implicit-def: $vgpr122_vgpr123
.LBB58_110:
	ds_read_b64 v[122:123], v1
.LBB58_111:
	s_and_saveexec_b64 s[8:9], s[2:3]
	s_cbranch_execz .LBB58_115
; %bb.112:
	s_movk_i32 s34, 0x178
	v_subrev_u32_e32 v124, 47, v0
	s_movk_i32 s35, 0x358
	s_mov_b64 s[2:3], 0
.LBB58_113:                             ; =>This Inner Loop Header: Depth=1
	scratch_load_dwordx2 v[126:127], off, s34
	v_mov_b32_e32 v125, s35
	ds_read_b64 v[128:129], v125
	v_add_u32_e32 v124, -1, v124
	s_add_i32 s35, s35, 8
	s_add_i32 s34, s34, 8
	v_cmp_eq_u32_e32 vcc, 0, v124
	s_or_b64 s[2:3], vcc, s[2:3]
	s_waitcnt vmcnt(0) lgkmcnt(0)
	v_fmac_f64_e32 v[122:123], v[126:127], v[128:129]
	s_andn2_b64 exec, exec, s[2:3]
	s_cbranch_execnz .LBB58_113
; %bb.114:
	s_or_b64 exec, exec, s[2:3]
.LBB58_115:
	s_or_b64 exec, exec, s[8:9]
	v_mov_b32_e32 v124, 0
	ds_read_b64 v[124:125], v124 offset:368
	s_waitcnt lgkmcnt(0)
	v_mul_f64 v[122:123], v[122:123], v[124:125]
	scratch_store_dwordx2 off, v[122:123], off offset:368
.LBB58_116:
	s_or_b64 exec, exec, s[4:5]
	scratch_load_dwordx2 v[122:123], off, off offset:360
	v_cmp_lt_u32_e64 s[2:3], 45, v0
	s_waitcnt vmcnt(0)
	ds_write_b64 v1, v[122:123]
	s_waitcnt lgkmcnt(0)
	; wave barrier
	s_and_saveexec_b64 s[4:5], s[2:3]
	s_cbranch_execz .LBB58_126
; %bb.117:
	s_andn2_b64 vcc, exec, s[6:7]
	s_cbranch_vccnz .LBB58_119
; %bb.118:
	scratch_load_dwordx2 v[122:123], v13, off
	ds_read_b64 v[124:125], v1
	s_waitcnt vmcnt(0) lgkmcnt(0)
	v_mul_f64 v[122:123], v[122:123], v[124:125]
	s_cbranch_execz .LBB58_120
	s_branch .LBB58_121
.LBB58_119:
                                        ; implicit-def: $vgpr122_vgpr123
.LBB58_120:
	ds_read_b64 v[122:123], v1
.LBB58_121:
	s_and_saveexec_b64 s[8:9], s[0:1]
	s_cbranch_execz .LBB58_125
; %bb.122:
	v_subrev_u32_e32 v124, 46, v0
	s_movk_i32 s34, 0x350
	s_mov_b64 s[0:1], 0
.LBB58_123:                             ; =>This Inner Loop Header: Depth=1
	scratch_load_dwordx2 v[126:127], off, s33
	v_mov_b32_e32 v125, s34
	ds_read_b64 v[128:129], v125
	v_add_u32_e32 v124, -1, v124
	s_add_i32 s34, s34, 8
	s_add_i32 s33, s33, 8
	v_cmp_eq_u32_e32 vcc, 0, v124
	s_or_b64 s[0:1], vcc, s[0:1]
	s_waitcnt vmcnt(0) lgkmcnt(0)
	v_fmac_f64_e32 v[122:123], v[126:127], v[128:129]
	s_andn2_b64 exec, exec, s[0:1]
	s_cbranch_execnz .LBB58_123
; %bb.124:
	s_or_b64 exec, exec, s[0:1]
.LBB58_125:
	s_or_b64 exec, exec, s[8:9]
	v_mov_b32_e32 v124, 0
	ds_read_b64 v[124:125], v124 offset:360
	s_waitcnt lgkmcnt(0)
	v_mul_f64 v[122:123], v[122:123], v[124:125]
	scratch_store_dwordx2 off, v[122:123], off offset:360
.LBB58_126:
	s_or_b64 exec, exec, s[4:5]
	scratch_load_dwordx2 v[122:123], off, off offset:352
	v_cmp_lt_u32_e64 s[0:1], 44, v0
	s_waitcnt vmcnt(0)
	ds_write_b64 v1, v[122:123]
	s_waitcnt lgkmcnt(0)
	; wave barrier
	s_and_saveexec_b64 s[4:5], s[0:1]
	s_cbranch_execz .LBB58_136
; %bb.127:
	s_andn2_b64 vcc, exec, s[6:7]
	s_cbranch_vccnz .LBB58_129
; %bb.128:
	scratch_load_dwordx2 v[122:123], v13, off
	ds_read_b64 v[124:125], v1
	s_waitcnt vmcnt(0) lgkmcnt(0)
	v_mul_f64 v[122:123], v[122:123], v[124:125]
	s_cbranch_execz .LBB58_130
	s_branch .LBB58_131
.LBB58_129:
                                        ; implicit-def: $vgpr122_vgpr123
.LBB58_130:
	ds_read_b64 v[122:123], v1
.LBB58_131:
	s_and_saveexec_b64 s[8:9], s[2:3]
	s_cbranch_execz .LBB58_135
; %bb.132:
	s_movk_i32 s33, 0x168
	v_subrev_u32_e32 v124, 45, v0
	s_movk_i32 s34, 0x348
	s_mov_b64 s[2:3], 0
.LBB58_133:                             ; =>This Inner Loop Header: Depth=1
	scratch_load_dwordx2 v[126:127], off, s33
	v_mov_b32_e32 v125, s34
	ds_read_b64 v[128:129], v125
	v_add_u32_e32 v124, -1, v124
	s_add_i32 s34, s34, 8
	s_add_i32 s33, s33, 8
	v_cmp_eq_u32_e32 vcc, 0, v124
	s_or_b64 s[2:3], vcc, s[2:3]
	s_waitcnt vmcnt(0) lgkmcnt(0)
	v_fmac_f64_e32 v[122:123], v[126:127], v[128:129]
	s_andn2_b64 exec, exec, s[2:3]
	s_cbranch_execnz .LBB58_133
; %bb.134:
	s_or_b64 exec, exec, s[2:3]
.LBB58_135:
	s_or_b64 exec, exec, s[8:9]
	v_mov_b32_e32 v124, 0
	ds_read_b64 v[124:125], v124 offset:352
	s_waitcnt lgkmcnt(0)
	v_mul_f64 v[122:123], v[122:123], v[124:125]
	scratch_store_dwordx2 off, v[122:123], off offset:352
.LBB58_136:
	s_or_b64 exec, exec, s[4:5]
	scratch_load_dwordx2 v[122:123], off, off offset:344
	v_cmp_lt_u32_e64 s[2:3], 43, v0
	s_waitcnt vmcnt(0)
	ds_write_b64 v1, v[122:123]
	s_waitcnt lgkmcnt(0)
	; wave barrier
	s_and_saveexec_b64 s[4:5], s[2:3]
	s_cbranch_execz .LBB58_146
; %bb.137:
	s_andn2_b64 vcc, exec, s[6:7]
	s_cbranch_vccnz .LBB58_139
; %bb.138:
	scratch_load_dwordx2 v[122:123], v13, off
	ds_read_b64 v[124:125], v1
	s_waitcnt vmcnt(0) lgkmcnt(0)
	v_mul_f64 v[122:123], v[122:123], v[124:125]
	s_cbranch_execz .LBB58_140
	s_branch .LBB58_141
.LBB58_139:
                                        ; implicit-def: $vgpr122_vgpr123
.LBB58_140:
	ds_read_b64 v[122:123], v1
.LBB58_141:
	s_and_saveexec_b64 s[8:9], s[0:1]
	s_cbranch_execz .LBB58_145
; %bb.142:
	v_subrev_u32_e32 v124, 44, v0
	s_movk_i32 s33, 0x340
	s_mov_b64 s[0:1], 0
.LBB58_143:                             ; =>This Inner Loop Header: Depth=1
	scratch_load_dwordx2 v[126:127], off, s31
	v_mov_b32_e32 v125, s33
	ds_read_b64 v[128:129], v125
	v_add_u32_e32 v124, -1, v124
	s_add_i32 s33, s33, 8
	s_add_i32 s31, s31, 8
	v_cmp_eq_u32_e32 vcc, 0, v124
	s_or_b64 s[0:1], vcc, s[0:1]
	s_waitcnt vmcnt(0) lgkmcnt(0)
	v_fmac_f64_e32 v[122:123], v[126:127], v[128:129]
	s_andn2_b64 exec, exec, s[0:1]
	s_cbranch_execnz .LBB58_143
; %bb.144:
	s_or_b64 exec, exec, s[0:1]
.LBB58_145:
	s_or_b64 exec, exec, s[8:9]
	v_mov_b32_e32 v124, 0
	ds_read_b64 v[124:125], v124 offset:344
	s_waitcnt lgkmcnt(0)
	v_mul_f64 v[122:123], v[122:123], v[124:125]
	scratch_store_dwordx2 off, v[122:123], off offset:344
.LBB58_146:
	s_or_b64 exec, exec, s[4:5]
	scratch_load_dwordx2 v[122:123], off, off offset:336
	v_cmp_lt_u32_e64 s[0:1], 42, v0
	s_waitcnt vmcnt(0)
	ds_write_b64 v1, v[122:123]
	s_waitcnt lgkmcnt(0)
	; wave barrier
	s_and_saveexec_b64 s[4:5], s[0:1]
	s_cbranch_execz .LBB58_156
; %bb.147:
	s_andn2_b64 vcc, exec, s[6:7]
	s_cbranch_vccnz .LBB58_149
; %bb.148:
	scratch_load_dwordx2 v[122:123], v13, off
	ds_read_b64 v[124:125], v1
	s_waitcnt vmcnt(0) lgkmcnt(0)
	v_mul_f64 v[122:123], v[122:123], v[124:125]
	s_cbranch_execz .LBB58_150
	s_branch .LBB58_151
.LBB58_149:
                                        ; implicit-def: $vgpr122_vgpr123
.LBB58_150:
	ds_read_b64 v[122:123], v1
.LBB58_151:
	s_and_saveexec_b64 s[8:9], s[2:3]
	s_cbranch_execz .LBB58_155
; %bb.152:
	s_movk_i32 s31, 0x158
	v_subrev_u32_e32 v124, 43, v0
	s_movk_i32 s33, 0x338
	s_mov_b64 s[2:3], 0
.LBB58_153:                             ; =>This Inner Loop Header: Depth=1
	scratch_load_dwordx2 v[126:127], off, s31
	v_mov_b32_e32 v125, s33
	ds_read_b64 v[128:129], v125
	v_add_u32_e32 v124, -1, v124
	s_add_i32 s33, s33, 8
	s_add_i32 s31, s31, 8
	v_cmp_eq_u32_e32 vcc, 0, v124
	s_or_b64 s[2:3], vcc, s[2:3]
	s_waitcnt vmcnt(0) lgkmcnt(0)
	v_fmac_f64_e32 v[122:123], v[126:127], v[128:129]
	s_andn2_b64 exec, exec, s[2:3]
	s_cbranch_execnz .LBB58_153
; %bb.154:
	s_or_b64 exec, exec, s[2:3]
.LBB58_155:
	s_or_b64 exec, exec, s[8:9]
	v_mov_b32_e32 v124, 0
	ds_read_b64 v[124:125], v124 offset:336
	s_waitcnt lgkmcnt(0)
	v_mul_f64 v[122:123], v[122:123], v[124:125]
	scratch_store_dwordx2 off, v[122:123], off offset:336
.LBB58_156:
	s_or_b64 exec, exec, s[4:5]
	scratch_load_dwordx2 v[122:123], off, off offset:328
	v_cmp_lt_u32_e64 s[2:3], 41, v0
	s_waitcnt vmcnt(0)
	ds_write_b64 v1, v[122:123]
	s_waitcnt lgkmcnt(0)
	; wave barrier
	s_and_saveexec_b64 s[4:5], s[2:3]
	s_cbranch_execz .LBB58_166
; %bb.157:
	s_andn2_b64 vcc, exec, s[6:7]
	s_cbranch_vccnz .LBB58_159
; %bb.158:
	scratch_load_dwordx2 v[122:123], v13, off
	ds_read_b64 v[124:125], v1
	s_waitcnt vmcnt(0) lgkmcnt(0)
	v_mul_f64 v[122:123], v[122:123], v[124:125]
	s_cbranch_execz .LBB58_160
	s_branch .LBB58_161
.LBB58_159:
                                        ; implicit-def: $vgpr122_vgpr123
.LBB58_160:
	ds_read_b64 v[122:123], v1
.LBB58_161:
	s_and_saveexec_b64 s[8:9], s[0:1]
	s_cbranch_execz .LBB58_165
; %bb.162:
	v_subrev_u32_e32 v124, 42, v0
	s_movk_i32 s31, 0x330
	s_mov_b64 s[0:1], 0
.LBB58_163:                             ; =>This Inner Loop Header: Depth=1
	scratch_load_dwordx2 v[126:127], off, s30
	v_mov_b32_e32 v125, s31
	ds_read_b64 v[128:129], v125
	v_add_u32_e32 v124, -1, v124
	s_add_i32 s31, s31, 8
	s_add_i32 s30, s30, 8
	v_cmp_eq_u32_e32 vcc, 0, v124
	s_or_b64 s[0:1], vcc, s[0:1]
	s_waitcnt vmcnt(0) lgkmcnt(0)
	v_fmac_f64_e32 v[122:123], v[126:127], v[128:129]
	s_andn2_b64 exec, exec, s[0:1]
	s_cbranch_execnz .LBB58_163
; %bb.164:
	s_or_b64 exec, exec, s[0:1]
.LBB58_165:
	s_or_b64 exec, exec, s[8:9]
	v_mov_b32_e32 v124, 0
	ds_read_b64 v[124:125], v124 offset:328
	s_waitcnt lgkmcnt(0)
	v_mul_f64 v[122:123], v[122:123], v[124:125]
	scratch_store_dwordx2 off, v[122:123], off offset:328
.LBB58_166:
	s_or_b64 exec, exec, s[4:5]
	scratch_load_dwordx2 v[122:123], off, off offset:320
	v_cmp_lt_u32_e64 s[0:1], 40, v0
	s_waitcnt vmcnt(0)
	ds_write_b64 v1, v[122:123]
	s_waitcnt lgkmcnt(0)
	; wave barrier
	s_and_saveexec_b64 s[4:5], s[0:1]
	s_cbranch_execz .LBB58_176
; %bb.167:
	s_andn2_b64 vcc, exec, s[6:7]
	s_cbranch_vccnz .LBB58_169
; %bb.168:
	scratch_load_dwordx2 v[122:123], v13, off
	ds_read_b64 v[124:125], v1
	s_waitcnt vmcnt(0) lgkmcnt(0)
	v_mul_f64 v[122:123], v[122:123], v[124:125]
	s_cbranch_execz .LBB58_170
	s_branch .LBB58_171
.LBB58_169:
                                        ; implicit-def: $vgpr122_vgpr123
.LBB58_170:
	ds_read_b64 v[122:123], v1
.LBB58_171:
	s_and_saveexec_b64 s[8:9], s[2:3]
	s_cbranch_execz .LBB58_175
; %bb.172:
	s_movk_i32 s30, 0x148
	v_subrev_u32_e32 v124, 41, v0
	s_movk_i32 s31, 0x328
	s_mov_b64 s[2:3], 0
.LBB58_173:                             ; =>This Inner Loop Header: Depth=1
	scratch_load_dwordx2 v[126:127], off, s30
	v_mov_b32_e32 v125, s31
	ds_read_b64 v[128:129], v125
	v_add_u32_e32 v124, -1, v124
	s_add_i32 s31, s31, 8
	s_add_i32 s30, s30, 8
	v_cmp_eq_u32_e32 vcc, 0, v124
	s_or_b64 s[2:3], vcc, s[2:3]
	s_waitcnt vmcnt(0) lgkmcnt(0)
	v_fmac_f64_e32 v[122:123], v[126:127], v[128:129]
	s_andn2_b64 exec, exec, s[2:3]
	s_cbranch_execnz .LBB58_173
; %bb.174:
	s_or_b64 exec, exec, s[2:3]
.LBB58_175:
	s_or_b64 exec, exec, s[8:9]
	v_mov_b32_e32 v124, 0
	ds_read_b64 v[124:125], v124 offset:320
	s_waitcnt lgkmcnt(0)
	v_mul_f64 v[122:123], v[122:123], v[124:125]
	scratch_store_dwordx2 off, v[122:123], off offset:320
.LBB58_176:
	s_or_b64 exec, exec, s[4:5]
	scratch_load_dwordx2 v[122:123], off, off offset:312
	v_cmp_lt_u32_e64 s[2:3], 39, v0
	s_waitcnt vmcnt(0)
	ds_write_b64 v1, v[122:123]
	s_waitcnt lgkmcnt(0)
	; wave barrier
	s_and_saveexec_b64 s[4:5], s[2:3]
	s_cbranch_execz .LBB58_186
; %bb.177:
	s_andn2_b64 vcc, exec, s[6:7]
	s_cbranch_vccnz .LBB58_179
; %bb.178:
	scratch_load_dwordx2 v[122:123], v13, off
	ds_read_b64 v[124:125], v1
	s_waitcnt vmcnt(0) lgkmcnt(0)
	v_mul_f64 v[122:123], v[122:123], v[124:125]
	s_cbranch_execz .LBB58_180
	s_branch .LBB58_181
.LBB58_179:
                                        ; implicit-def: $vgpr122_vgpr123
.LBB58_180:
	ds_read_b64 v[122:123], v1
.LBB58_181:
	s_and_saveexec_b64 s[8:9], s[0:1]
	s_cbranch_execz .LBB58_185
; %bb.182:
	v_subrev_u32_e32 v124, 40, v0
	s_movk_i32 s30, 0x320
	s_mov_b64 s[0:1], 0
.LBB58_183:                             ; =>This Inner Loop Header: Depth=1
	scratch_load_dwordx2 v[126:127], off, s29
	v_mov_b32_e32 v125, s30
	ds_read_b64 v[128:129], v125
	v_add_u32_e32 v124, -1, v124
	s_add_i32 s30, s30, 8
	s_add_i32 s29, s29, 8
	v_cmp_eq_u32_e32 vcc, 0, v124
	s_or_b64 s[0:1], vcc, s[0:1]
	s_waitcnt vmcnt(0) lgkmcnt(0)
	v_fmac_f64_e32 v[122:123], v[126:127], v[128:129]
	s_andn2_b64 exec, exec, s[0:1]
	s_cbranch_execnz .LBB58_183
; %bb.184:
	s_or_b64 exec, exec, s[0:1]
.LBB58_185:
	s_or_b64 exec, exec, s[8:9]
	v_mov_b32_e32 v124, 0
	ds_read_b64 v[124:125], v124 offset:312
	s_waitcnt lgkmcnt(0)
	v_mul_f64 v[122:123], v[122:123], v[124:125]
	scratch_store_dwordx2 off, v[122:123], off offset:312
.LBB58_186:
	s_or_b64 exec, exec, s[4:5]
	scratch_load_dwordx2 v[122:123], off, off offset:304
	v_cmp_lt_u32_e64 s[0:1], 38, v0
	s_waitcnt vmcnt(0)
	ds_write_b64 v1, v[122:123]
	s_waitcnt lgkmcnt(0)
	; wave barrier
	s_and_saveexec_b64 s[4:5], s[0:1]
	s_cbranch_execz .LBB58_196
; %bb.187:
	s_andn2_b64 vcc, exec, s[6:7]
	s_cbranch_vccnz .LBB58_189
; %bb.188:
	scratch_load_dwordx2 v[122:123], v13, off
	ds_read_b64 v[124:125], v1
	s_waitcnt vmcnt(0) lgkmcnt(0)
	v_mul_f64 v[122:123], v[122:123], v[124:125]
	s_cbranch_execz .LBB58_190
	s_branch .LBB58_191
.LBB58_189:
                                        ; implicit-def: $vgpr122_vgpr123
.LBB58_190:
	ds_read_b64 v[122:123], v1
.LBB58_191:
	s_and_saveexec_b64 s[8:9], s[2:3]
	s_cbranch_execz .LBB58_195
; %bb.192:
	s_movk_i32 s29, 0x138
	v_subrev_u32_e32 v124, 39, v0
	s_movk_i32 s30, 0x318
	s_mov_b64 s[2:3], 0
.LBB58_193:                             ; =>This Inner Loop Header: Depth=1
	scratch_load_dwordx2 v[126:127], off, s29
	v_mov_b32_e32 v125, s30
	ds_read_b64 v[128:129], v125
	v_add_u32_e32 v124, -1, v124
	s_add_i32 s30, s30, 8
	s_add_i32 s29, s29, 8
	v_cmp_eq_u32_e32 vcc, 0, v124
	s_or_b64 s[2:3], vcc, s[2:3]
	s_waitcnt vmcnt(0) lgkmcnt(0)
	v_fmac_f64_e32 v[122:123], v[126:127], v[128:129]
	s_andn2_b64 exec, exec, s[2:3]
	s_cbranch_execnz .LBB58_193
; %bb.194:
	s_or_b64 exec, exec, s[2:3]
.LBB58_195:
	s_or_b64 exec, exec, s[8:9]
	v_mov_b32_e32 v124, 0
	ds_read_b64 v[124:125], v124 offset:304
	s_waitcnt lgkmcnt(0)
	v_mul_f64 v[122:123], v[122:123], v[124:125]
	scratch_store_dwordx2 off, v[122:123], off offset:304
.LBB58_196:
	s_or_b64 exec, exec, s[4:5]
	scratch_load_dwordx2 v[122:123], off, off offset:296
	v_cmp_lt_u32_e64 s[2:3], 37, v0
	s_waitcnt vmcnt(0)
	ds_write_b64 v1, v[122:123]
	s_waitcnt lgkmcnt(0)
	; wave barrier
	s_and_saveexec_b64 s[4:5], s[2:3]
	s_cbranch_execz .LBB58_206
; %bb.197:
	s_andn2_b64 vcc, exec, s[6:7]
	s_cbranch_vccnz .LBB58_199
; %bb.198:
	scratch_load_dwordx2 v[122:123], v13, off
	ds_read_b64 v[124:125], v1
	s_waitcnt vmcnt(0) lgkmcnt(0)
	v_mul_f64 v[122:123], v[122:123], v[124:125]
	s_cbranch_execz .LBB58_200
	s_branch .LBB58_201
.LBB58_199:
                                        ; implicit-def: $vgpr122_vgpr123
.LBB58_200:
	ds_read_b64 v[122:123], v1
.LBB58_201:
	s_and_saveexec_b64 s[8:9], s[0:1]
	s_cbranch_execz .LBB58_205
; %bb.202:
	v_subrev_u32_e32 v124, 38, v0
	s_movk_i32 s29, 0x310
	s_mov_b64 s[0:1], 0
.LBB58_203:                             ; =>This Inner Loop Header: Depth=1
	scratch_load_dwordx2 v[126:127], off, s28
	v_mov_b32_e32 v125, s29
	ds_read_b64 v[128:129], v125
	v_add_u32_e32 v124, -1, v124
	s_add_i32 s29, s29, 8
	s_add_i32 s28, s28, 8
	v_cmp_eq_u32_e32 vcc, 0, v124
	s_or_b64 s[0:1], vcc, s[0:1]
	s_waitcnt vmcnt(0) lgkmcnt(0)
	v_fmac_f64_e32 v[122:123], v[126:127], v[128:129]
	s_andn2_b64 exec, exec, s[0:1]
	s_cbranch_execnz .LBB58_203
; %bb.204:
	s_or_b64 exec, exec, s[0:1]
.LBB58_205:
	s_or_b64 exec, exec, s[8:9]
	v_mov_b32_e32 v124, 0
	ds_read_b64 v[124:125], v124 offset:296
	s_waitcnt lgkmcnt(0)
	v_mul_f64 v[122:123], v[122:123], v[124:125]
	scratch_store_dwordx2 off, v[122:123], off offset:296
.LBB58_206:
	s_or_b64 exec, exec, s[4:5]
	scratch_load_dwordx2 v[122:123], off, off offset:288
	v_cmp_lt_u32_e64 s[0:1], 36, v0
	s_waitcnt vmcnt(0)
	ds_write_b64 v1, v[122:123]
	s_waitcnt lgkmcnt(0)
	; wave barrier
	s_and_saveexec_b64 s[4:5], s[0:1]
	s_cbranch_execz .LBB58_216
; %bb.207:
	s_andn2_b64 vcc, exec, s[6:7]
	s_cbranch_vccnz .LBB58_209
; %bb.208:
	scratch_load_dwordx2 v[122:123], v13, off
	ds_read_b64 v[124:125], v1
	s_waitcnt vmcnt(0) lgkmcnt(0)
	v_mul_f64 v[122:123], v[122:123], v[124:125]
	s_cbranch_execz .LBB58_210
	s_branch .LBB58_211
.LBB58_209:
                                        ; implicit-def: $vgpr122_vgpr123
.LBB58_210:
	ds_read_b64 v[122:123], v1
.LBB58_211:
	s_and_saveexec_b64 s[8:9], s[2:3]
	s_cbranch_execz .LBB58_215
; %bb.212:
	s_movk_i32 s28, 0x128
	v_subrev_u32_e32 v124, 37, v0
	s_movk_i32 s29, 0x308
	s_mov_b64 s[2:3], 0
.LBB58_213:                             ; =>This Inner Loop Header: Depth=1
	scratch_load_dwordx2 v[126:127], off, s28
	v_mov_b32_e32 v125, s29
	ds_read_b64 v[128:129], v125
	v_add_u32_e32 v124, -1, v124
	s_add_i32 s29, s29, 8
	s_add_i32 s28, s28, 8
	v_cmp_eq_u32_e32 vcc, 0, v124
	s_or_b64 s[2:3], vcc, s[2:3]
	s_waitcnt vmcnt(0) lgkmcnt(0)
	v_fmac_f64_e32 v[122:123], v[126:127], v[128:129]
	s_andn2_b64 exec, exec, s[2:3]
	s_cbranch_execnz .LBB58_213
; %bb.214:
	s_or_b64 exec, exec, s[2:3]
.LBB58_215:
	s_or_b64 exec, exec, s[8:9]
	v_mov_b32_e32 v124, 0
	ds_read_b64 v[124:125], v124 offset:288
	s_waitcnt lgkmcnt(0)
	v_mul_f64 v[122:123], v[122:123], v[124:125]
	scratch_store_dwordx2 off, v[122:123], off offset:288
.LBB58_216:
	s_or_b64 exec, exec, s[4:5]
	scratch_load_dwordx2 v[122:123], off, off offset:280
	v_cmp_lt_u32_e64 s[2:3], 35, v0
	s_waitcnt vmcnt(0)
	ds_write_b64 v1, v[122:123]
	s_waitcnt lgkmcnt(0)
	; wave barrier
	s_and_saveexec_b64 s[4:5], s[2:3]
	s_cbranch_execz .LBB58_226
; %bb.217:
	s_andn2_b64 vcc, exec, s[6:7]
	s_cbranch_vccnz .LBB58_219
; %bb.218:
	scratch_load_dwordx2 v[122:123], v13, off
	ds_read_b64 v[124:125], v1
	s_waitcnt vmcnt(0) lgkmcnt(0)
	v_mul_f64 v[122:123], v[122:123], v[124:125]
	s_cbranch_execz .LBB58_220
	s_branch .LBB58_221
.LBB58_219:
                                        ; implicit-def: $vgpr122_vgpr123
.LBB58_220:
	ds_read_b64 v[122:123], v1
.LBB58_221:
	s_and_saveexec_b64 s[8:9], s[0:1]
	s_cbranch_execz .LBB58_225
; %bb.222:
	v_subrev_u32_e32 v124, 36, v0
	s_movk_i32 s28, 0x300
	s_mov_b64 s[0:1], 0
.LBB58_223:                             ; =>This Inner Loop Header: Depth=1
	scratch_load_dwordx2 v[126:127], off, s27
	v_mov_b32_e32 v125, s28
	ds_read_b64 v[128:129], v125
	v_add_u32_e32 v124, -1, v124
	s_add_i32 s28, s28, 8
	s_add_i32 s27, s27, 8
	v_cmp_eq_u32_e32 vcc, 0, v124
	s_or_b64 s[0:1], vcc, s[0:1]
	s_waitcnt vmcnt(0) lgkmcnt(0)
	v_fmac_f64_e32 v[122:123], v[126:127], v[128:129]
	s_andn2_b64 exec, exec, s[0:1]
	s_cbranch_execnz .LBB58_223
; %bb.224:
	s_or_b64 exec, exec, s[0:1]
.LBB58_225:
	s_or_b64 exec, exec, s[8:9]
	v_mov_b32_e32 v124, 0
	ds_read_b64 v[124:125], v124 offset:280
	s_waitcnt lgkmcnt(0)
	v_mul_f64 v[122:123], v[122:123], v[124:125]
	scratch_store_dwordx2 off, v[122:123], off offset:280
.LBB58_226:
	s_or_b64 exec, exec, s[4:5]
	scratch_load_dwordx2 v[122:123], off, off offset:272
	v_cmp_lt_u32_e64 s[0:1], 34, v0
	s_waitcnt vmcnt(0)
	ds_write_b64 v1, v[122:123]
	s_waitcnt lgkmcnt(0)
	; wave barrier
	s_and_saveexec_b64 s[4:5], s[0:1]
	s_cbranch_execz .LBB58_236
; %bb.227:
	s_andn2_b64 vcc, exec, s[6:7]
	s_cbranch_vccnz .LBB58_229
; %bb.228:
	scratch_load_dwordx2 v[122:123], v13, off
	ds_read_b64 v[124:125], v1
	s_waitcnt vmcnt(0) lgkmcnt(0)
	v_mul_f64 v[122:123], v[122:123], v[124:125]
	s_cbranch_execz .LBB58_230
	s_branch .LBB58_231
.LBB58_229:
                                        ; implicit-def: $vgpr122_vgpr123
.LBB58_230:
	ds_read_b64 v[122:123], v1
.LBB58_231:
	s_and_saveexec_b64 s[8:9], s[2:3]
	s_cbranch_execz .LBB58_235
; %bb.232:
	s_movk_i32 s27, 0x118
	v_subrev_u32_e32 v124, 35, v0
	s_movk_i32 s28, 0x2f8
	s_mov_b64 s[2:3], 0
.LBB58_233:                             ; =>This Inner Loop Header: Depth=1
	scratch_load_dwordx2 v[126:127], off, s27
	v_mov_b32_e32 v125, s28
	ds_read_b64 v[128:129], v125
	v_add_u32_e32 v124, -1, v124
	s_add_i32 s28, s28, 8
	s_add_i32 s27, s27, 8
	v_cmp_eq_u32_e32 vcc, 0, v124
	s_or_b64 s[2:3], vcc, s[2:3]
	s_waitcnt vmcnt(0) lgkmcnt(0)
	v_fmac_f64_e32 v[122:123], v[126:127], v[128:129]
	s_andn2_b64 exec, exec, s[2:3]
	s_cbranch_execnz .LBB58_233
; %bb.234:
	s_or_b64 exec, exec, s[2:3]
.LBB58_235:
	s_or_b64 exec, exec, s[8:9]
	v_mov_b32_e32 v124, 0
	ds_read_b64 v[124:125], v124 offset:272
	s_waitcnt lgkmcnt(0)
	v_mul_f64 v[122:123], v[122:123], v[124:125]
	scratch_store_dwordx2 off, v[122:123], off offset:272
.LBB58_236:
	s_or_b64 exec, exec, s[4:5]
	scratch_load_dwordx2 v[122:123], off, off offset:264
	v_cmp_lt_u32_e64 s[2:3], 33, v0
	s_waitcnt vmcnt(0)
	ds_write_b64 v1, v[122:123]
	s_waitcnt lgkmcnt(0)
	; wave barrier
	s_and_saveexec_b64 s[4:5], s[2:3]
	s_cbranch_execz .LBB58_246
; %bb.237:
	s_andn2_b64 vcc, exec, s[6:7]
	s_cbranch_vccnz .LBB58_239
; %bb.238:
	scratch_load_dwordx2 v[122:123], v13, off
	ds_read_b64 v[124:125], v1
	s_waitcnt vmcnt(0) lgkmcnt(0)
	v_mul_f64 v[122:123], v[122:123], v[124:125]
	s_cbranch_execz .LBB58_240
	s_branch .LBB58_241
.LBB58_239:
                                        ; implicit-def: $vgpr122_vgpr123
.LBB58_240:
	ds_read_b64 v[122:123], v1
.LBB58_241:
	s_and_saveexec_b64 s[8:9], s[0:1]
	s_cbranch_execz .LBB58_245
; %bb.242:
	v_subrev_u32_e32 v124, 34, v0
	s_movk_i32 s27, 0x2f0
	s_mov_b64 s[0:1], 0
.LBB58_243:                             ; =>This Inner Loop Header: Depth=1
	scratch_load_dwordx2 v[126:127], off, s26
	v_mov_b32_e32 v125, s27
	ds_read_b64 v[128:129], v125
	v_add_u32_e32 v124, -1, v124
	s_add_i32 s27, s27, 8
	s_add_i32 s26, s26, 8
	v_cmp_eq_u32_e32 vcc, 0, v124
	s_or_b64 s[0:1], vcc, s[0:1]
	s_waitcnt vmcnt(0) lgkmcnt(0)
	v_fmac_f64_e32 v[122:123], v[126:127], v[128:129]
	s_andn2_b64 exec, exec, s[0:1]
	s_cbranch_execnz .LBB58_243
; %bb.244:
	s_or_b64 exec, exec, s[0:1]
.LBB58_245:
	s_or_b64 exec, exec, s[8:9]
	v_mov_b32_e32 v124, 0
	ds_read_b64 v[124:125], v124 offset:264
	s_waitcnt lgkmcnt(0)
	v_mul_f64 v[122:123], v[122:123], v[124:125]
	scratch_store_dwordx2 off, v[122:123], off offset:264
.LBB58_246:
	s_or_b64 exec, exec, s[4:5]
	scratch_load_dwordx2 v[122:123], off, off offset:256
	v_cmp_lt_u32_e64 s[0:1], 32, v0
	s_waitcnt vmcnt(0)
	ds_write_b64 v1, v[122:123]
	s_waitcnt lgkmcnt(0)
	; wave barrier
	s_and_saveexec_b64 s[4:5], s[0:1]
	s_cbranch_execz .LBB58_256
; %bb.247:
	s_andn2_b64 vcc, exec, s[6:7]
	s_cbranch_vccnz .LBB58_249
; %bb.248:
	scratch_load_dwordx2 v[122:123], v13, off
	ds_read_b64 v[124:125], v1
	s_waitcnt vmcnt(0) lgkmcnt(0)
	v_mul_f64 v[122:123], v[122:123], v[124:125]
	s_cbranch_execz .LBB58_250
	s_branch .LBB58_251
.LBB58_249:
                                        ; implicit-def: $vgpr122_vgpr123
.LBB58_250:
	ds_read_b64 v[122:123], v1
.LBB58_251:
	s_and_saveexec_b64 s[8:9], s[2:3]
	s_cbranch_execz .LBB58_255
; %bb.252:
	s_movk_i32 s26, 0x108
	v_subrev_u32_e32 v124, 33, v0
	s_movk_i32 s27, 0x2e8
	s_mov_b64 s[2:3], 0
.LBB58_253:                             ; =>This Inner Loop Header: Depth=1
	scratch_load_dwordx2 v[126:127], off, s26
	v_mov_b32_e32 v125, s27
	ds_read_b64 v[128:129], v125
	v_add_u32_e32 v124, -1, v124
	s_add_i32 s27, s27, 8
	s_add_i32 s26, s26, 8
	v_cmp_eq_u32_e32 vcc, 0, v124
	s_or_b64 s[2:3], vcc, s[2:3]
	s_waitcnt vmcnt(0) lgkmcnt(0)
	v_fmac_f64_e32 v[122:123], v[126:127], v[128:129]
	s_andn2_b64 exec, exec, s[2:3]
	s_cbranch_execnz .LBB58_253
; %bb.254:
	s_or_b64 exec, exec, s[2:3]
.LBB58_255:
	s_or_b64 exec, exec, s[8:9]
	v_mov_b32_e32 v124, 0
	ds_read_b64 v[124:125], v124 offset:256
	s_waitcnt lgkmcnt(0)
	v_mul_f64 v[122:123], v[122:123], v[124:125]
	scratch_store_dwordx2 off, v[122:123], off offset:256
.LBB58_256:
	s_or_b64 exec, exec, s[4:5]
	scratch_load_dwordx2 v[122:123], off, off offset:248
	v_cmp_lt_u32_e64 s[2:3], 31, v0
	s_waitcnt vmcnt(0)
	ds_write_b64 v1, v[122:123]
	s_waitcnt lgkmcnt(0)
	; wave barrier
	s_and_saveexec_b64 s[4:5], s[2:3]
	s_cbranch_execz .LBB58_266
; %bb.257:
	s_andn2_b64 vcc, exec, s[6:7]
	s_cbranch_vccnz .LBB58_259
; %bb.258:
	scratch_load_dwordx2 v[122:123], v13, off
	ds_read_b64 v[124:125], v1
	s_waitcnt vmcnt(0) lgkmcnt(0)
	v_mul_f64 v[122:123], v[122:123], v[124:125]
	s_cbranch_execz .LBB58_260
	s_branch .LBB58_261
.LBB58_259:
                                        ; implicit-def: $vgpr122_vgpr123
.LBB58_260:
	ds_read_b64 v[122:123], v1
.LBB58_261:
	s_and_saveexec_b64 s[8:9], s[0:1]
	s_cbranch_execz .LBB58_265
; %bb.262:
	v_subrev_u32_e32 v124, 32, v0
	s_movk_i32 s26, 0x2e0
	s_mov_b64 s[0:1], 0
.LBB58_263:                             ; =>This Inner Loop Header: Depth=1
	scratch_load_dwordx2 v[126:127], off, s25
	v_mov_b32_e32 v125, s26
	ds_read_b64 v[128:129], v125
	v_add_u32_e32 v124, -1, v124
	s_add_i32 s26, s26, 8
	s_add_i32 s25, s25, 8
	v_cmp_eq_u32_e32 vcc, 0, v124
	s_or_b64 s[0:1], vcc, s[0:1]
	s_waitcnt vmcnt(0) lgkmcnt(0)
	v_fmac_f64_e32 v[122:123], v[126:127], v[128:129]
	s_andn2_b64 exec, exec, s[0:1]
	s_cbranch_execnz .LBB58_263
; %bb.264:
	s_or_b64 exec, exec, s[0:1]
.LBB58_265:
	s_or_b64 exec, exec, s[8:9]
	v_mov_b32_e32 v124, 0
	ds_read_b64 v[124:125], v124 offset:248
	s_waitcnt lgkmcnt(0)
	v_mul_f64 v[122:123], v[122:123], v[124:125]
	scratch_store_dwordx2 off, v[122:123], off offset:248
.LBB58_266:
	s_or_b64 exec, exec, s[4:5]
	scratch_load_dwordx2 v[122:123], off, off offset:240
	v_cmp_lt_u32_e64 s[0:1], 30, v0
	s_waitcnt vmcnt(0)
	ds_write_b64 v1, v[122:123]
	s_waitcnt lgkmcnt(0)
	; wave barrier
	s_and_saveexec_b64 s[4:5], s[0:1]
	s_cbranch_execz .LBB58_276
; %bb.267:
	s_andn2_b64 vcc, exec, s[6:7]
	s_cbranch_vccnz .LBB58_269
; %bb.268:
	scratch_load_dwordx2 v[122:123], v13, off
	ds_read_b64 v[124:125], v1
	s_waitcnt vmcnt(0) lgkmcnt(0)
	v_mul_f64 v[122:123], v[122:123], v[124:125]
	s_cbranch_execz .LBB58_270
	s_branch .LBB58_271
.LBB58_269:
                                        ; implicit-def: $vgpr122_vgpr123
.LBB58_270:
	ds_read_b64 v[122:123], v1
.LBB58_271:
	s_and_saveexec_b64 s[8:9], s[2:3]
	s_cbranch_execz .LBB58_275
; %bb.272:
	s_movk_i32 s25, 0xf8
	v_subrev_u32_e32 v124, 31, v0
	s_movk_i32 s26, 0x2d8
	s_mov_b64 s[2:3], 0
.LBB58_273:                             ; =>This Inner Loop Header: Depth=1
	scratch_load_dwordx2 v[126:127], off, s25
	v_mov_b32_e32 v125, s26
	ds_read_b64 v[128:129], v125
	v_add_u32_e32 v124, -1, v124
	s_add_i32 s26, s26, 8
	s_add_i32 s25, s25, 8
	v_cmp_eq_u32_e32 vcc, 0, v124
	s_or_b64 s[2:3], vcc, s[2:3]
	s_waitcnt vmcnt(0) lgkmcnt(0)
	v_fmac_f64_e32 v[122:123], v[126:127], v[128:129]
	s_andn2_b64 exec, exec, s[2:3]
	s_cbranch_execnz .LBB58_273
; %bb.274:
	s_or_b64 exec, exec, s[2:3]
.LBB58_275:
	s_or_b64 exec, exec, s[8:9]
	v_mov_b32_e32 v124, 0
	ds_read_b64 v[124:125], v124 offset:240
	s_waitcnt lgkmcnt(0)
	v_mul_f64 v[122:123], v[122:123], v[124:125]
	scratch_store_dwordx2 off, v[122:123], off offset:240
.LBB58_276:
	s_or_b64 exec, exec, s[4:5]
	scratch_load_dwordx2 v[122:123], off, off offset:232
	v_cmp_lt_u32_e64 s[2:3], 29, v0
	s_waitcnt vmcnt(0)
	ds_write_b64 v1, v[122:123]
	s_waitcnt lgkmcnt(0)
	; wave barrier
	s_and_saveexec_b64 s[4:5], s[2:3]
	s_cbranch_execz .LBB58_286
; %bb.277:
	s_andn2_b64 vcc, exec, s[6:7]
	s_cbranch_vccnz .LBB58_279
; %bb.278:
	scratch_load_dwordx2 v[122:123], v13, off
	ds_read_b64 v[124:125], v1
	s_waitcnt vmcnt(0) lgkmcnt(0)
	v_mul_f64 v[122:123], v[122:123], v[124:125]
	s_cbranch_execz .LBB58_280
	s_branch .LBB58_281
.LBB58_279:
                                        ; implicit-def: $vgpr122_vgpr123
.LBB58_280:
	ds_read_b64 v[122:123], v1
.LBB58_281:
	s_and_saveexec_b64 s[8:9], s[0:1]
	s_cbranch_execz .LBB58_285
; %bb.282:
	v_subrev_u32_e32 v124, 30, v0
	s_movk_i32 s25, 0x2d0
	s_mov_b64 s[0:1], 0
.LBB58_283:                             ; =>This Inner Loop Header: Depth=1
	scratch_load_dwordx2 v[126:127], off, s24
	v_mov_b32_e32 v125, s25
	ds_read_b64 v[128:129], v125
	v_add_u32_e32 v124, -1, v124
	s_add_i32 s25, s25, 8
	s_add_i32 s24, s24, 8
	v_cmp_eq_u32_e32 vcc, 0, v124
	s_or_b64 s[0:1], vcc, s[0:1]
	s_waitcnt vmcnt(0) lgkmcnt(0)
	v_fmac_f64_e32 v[122:123], v[126:127], v[128:129]
	s_andn2_b64 exec, exec, s[0:1]
	s_cbranch_execnz .LBB58_283
; %bb.284:
	s_or_b64 exec, exec, s[0:1]
.LBB58_285:
	s_or_b64 exec, exec, s[8:9]
	v_mov_b32_e32 v124, 0
	ds_read_b64 v[124:125], v124 offset:232
	s_waitcnt lgkmcnt(0)
	v_mul_f64 v[122:123], v[122:123], v[124:125]
	scratch_store_dwordx2 off, v[122:123], off offset:232
.LBB58_286:
	s_or_b64 exec, exec, s[4:5]
	scratch_load_dwordx2 v[122:123], off, off offset:224
	v_cmp_lt_u32_e64 s[0:1], 28, v0
	s_waitcnt vmcnt(0)
	ds_write_b64 v1, v[122:123]
	s_waitcnt lgkmcnt(0)
	; wave barrier
	s_and_saveexec_b64 s[4:5], s[0:1]
	s_cbranch_execz .LBB58_296
; %bb.287:
	s_andn2_b64 vcc, exec, s[6:7]
	s_cbranch_vccnz .LBB58_289
; %bb.288:
	scratch_load_dwordx2 v[122:123], v13, off
	ds_read_b64 v[124:125], v1
	s_waitcnt vmcnt(0) lgkmcnt(0)
	v_mul_f64 v[122:123], v[122:123], v[124:125]
	s_cbranch_execz .LBB58_290
	s_branch .LBB58_291
.LBB58_289:
                                        ; implicit-def: $vgpr122_vgpr123
.LBB58_290:
	ds_read_b64 v[122:123], v1
.LBB58_291:
	s_and_saveexec_b64 s[8:9], s[2:3]
	s_cbranch_execz .LBB58_295
; %bb.292:
	s_movk_i32 s24, 0xe8
	v_subrev_u32_e32 v124, 29, v0
	s_movk_i32 s25, 0x2c8
	s_mov_b64 s[2:3], 0
.LBB58_293:                             ; =>This Inner Loop Header: Depth=1
	scratch_load_dwordx2 v[126:127], off, s24
	v_mov_b32_e32 v125, s25
	ds_read_b64 v[128:129], v125
	v_add_u32_e32 v124, -1, v124
	s_add_i32 s25, s25, 8
	s_add_i32 s24, s24, 8
	v_cmp_eq_u32_e32 vcc, 0, v124
	s_or_b64 s[2:3], vcc, s[2:3]
	s_waitcnt vmcnt(0) lgkmcnt(0)
	v_fmac_f64_e32 v[122:123], v[126:127], v[128:129]
	s_andn2_b64 exec, exec, s[2:3]
	s_cbranch_execnz .LBB58_293
; %bb.294:
	s_or_b64 exec, exec, s[2:3]
.LBB58_295:
	s_or_b64 exec, exec, s[8:9]
	v_mov_b32_e32 v124, 0
	ds_read_b64 v[124:125], v124 offset:224
	s_waitcnt lgkmcnt(0)
	v_mul_f64 v[122:123], v[122:123], v[124:125]
	scratch_store_dwordx2 off, v[122:123], off offset:224
.LBB58_296:
	s_or_b64 exec, exec, s[4:5]
	scratch_load_dwordx2 v[122:123], off, off offset:216
	v_cmp_lt_u32_e64 s[2:3], 27, v0
	s_waitcnt vmcnt(0)
	ds_write_b64 v1, v[122:123]
	s_waitcnt lgkmcnt(0)
	; wave barrier
	s_and_saveexec_b64 s[4:5], s[2:3]
	s_cbranch_execz .LBB58_306
; %bb.297:
	s_andn2_b64 vcc, exec, s[6:7]
	s_cbranch_vccnz .LBB58_299
; %bb.298:
	scratch_load_dwordx2 v[122:123], v13, off
	ds_read_b64 v[124:125], v1
	s_waitcnt vmcnt(0) lgkmcnt(0)
	v_mul_f64 v[122:123], v[122:123], v[124:125]
	s_cbranch_execz .LBB58_300
	s_branch .LBB58_301
.LBB58_299:
                                        ; implicit-def: $vgpr122_vgpr123
.LBB58_300:
	ds_read_b64 v[122:123], v1
.LBB58_301:
	s_and_saveexec_b64 s[8:9], s[0:1]
	s_cbranch_execz .LBB58_305
; %bb.302:
	v_subrev_u32_e32 v124, 28, v0
	s_movk_i32 s24, 0x2c0
	s_mov_b64 s[0:1], 0
.LBB58_303:                             ; =>This Inner Loop Header: Depth=1
	scratch_load_dwordx2 v[126:127], off, s23
	v_mov_b32_e32 v125, s24
	ds_read_b64 v[128:129], v125
	v_add_u32_e32 v124, -1, v124
	s_add_i32 s24, s24, 8
	s_add_i32 s23, s23, 8
	v_cmp_eq_u32_e32 vcc, 0, v124
	s_or_b64 s[0:1], vcc, s[0:1]
	s_waitcnt vmcnt(0) lgkmcnt(0)
	v_fmac_f64_e32 v[122:123], v[126:127], v[128:129]
	s_andn2_b64 exec, exec, s[0:1]
	s_cbranch_execnz .LBB58_303
; %bb.304:
	s_or_b64 exec, exec, s[0:1]
.LBB58_305:
	s_or_b64 exec, exec, s[8:9]
	v_mov_b32_e32 v124, 0
	ds_read_b64 v[124:125], v124 offset:216
	s_waitcnt lgkmcnt(0)
	v_mul_f64 v[122:123], v[122:123], v[124:125]
	scratch_store_dwordx2 off, v[122:123], off offset:216
.LBB58_306:
	s_or_b64 exec, exec, s[4:5]
	scratch_load_dwordx2 v[122:123], off, off offset:208
	v_cmp_lt_u32_e64 s[0:1], 26, v0
	s_waitcnt vmcnt(0)
	ds_write_b64 v1, v[122:123]
	s_waitcnt lgkmcnt(0)
	; wave barrier
	s_and_saveexec_b64 s[4:5], s[0:1]
	s_cbranch_execz .LBB58_316
; %bb.307:
	s_andn2_b64 vcc, exec, s[6:7]
	s_cbranch_vccnz .LBB58_309
; %bb.308:
	scratch_load_dwordx2 v[122:123], v13, off
	ds_read_b64 v[124:125], v1
	s_waitcnt vmcnt(0) lgkmcnt(0)
	v_mul_f64 v[122:123], v[122:123], v[124:125]
	s_cbranch_execz .LBB58_310
	s_branch .LBB58_311
.LBB58_309:
                                        ; implicit-def: $vgpr122_vgpr123
.LBB58_310:
	ds_read_b64 v[122:123], v1
.LBB58_311:
	s_and_saveexec_b64 s[8:9], s[2:3]
	s_cbranch_execz .LBB58_315
; %bb.312:
	s_movk_i32 s23, 0xd8
	v_subrev_u32_e32 v124, 27, v0
	s_movk_i32 s24, 0x2b8
	s_mov_b64 s[2:3], 0
.LBB58_313:                             ; =>This Inner Loop Header: Depth=1
	scratch_load_dwordx2 v[126:127], off, s23
	v_mov_b32_e32 v125, s24
	ds_read_b64 v[128:129], v125
	v_add_u32_e32 v124, -1, v124
	s_add_i32 s24, s24, 8
	s_add_i32 s23, s23, 8
	v_cmp_eq_u32_e32 vcc, 0, v124
	s_or_b64 s[2:3], vcc, s[2:3]
	s_waitcnt vmcnt(0) lgkmcnt(0)
	v_fmac_f64_e32 v[122:123], v[126:127], v[128:129]
	s_andn2_b64 exec, exec, s[2:3]
	s_cbranch_execnz .LBB58_313
; %bb.314:
	s_or_b64 exec, exec, s[2:3]
.LBB58_315:
	s_or_b64 exec, exec, s[8:9]
	v_mov_b32_e32 v124, 0
	ds_read_b64 v[124:125], v124 offset:208
	s_waitcnt lgkmcnt(0)
	v_mul_f64 v[122:123], v[122:123], v[124:125]
	scratch_store_dwordx2 off, v[122:123], off offset:208
.LBB58_316:
	s_or_b64 exec, exec, s[4:5]
	scratch_load_dwordx2 v[122:123], off, off offset:200
	v_cmp_lt_u32_e64 s[2:3], 25, v0
	s_waitcnt vmcnt(0)
	ds_write_b64 v1, v[122:123]
	s_waitcnt lgkmcnt(0)
	; wave barrier
	s_and_saveexec_b64 s[4:5], s[2:3]
	s_cbranch_execz .LBB58_326
; %bb.317:
	s_andn2_b64 vcc, exec, s[6:7]
	s_cbranch_vccnz .LBB58_319
; %bb.318:
	scratch_load_dwordx2 v[122:123], v13, off
	ds_read_b64 v[124:125], v1
	s_waitcnt vmcnt(0) lgkmcnt(0)
	v_mul_f64 v[122:123], v[122:123], v[124:125]
	s_cbranch_execz .LBB58_320
	s_branch .LBB58_321
.LBB58_319:
                                        ; implicit-def: $vgpr122_vgpr123
.LBB58_320:
	ds_read_b64 v[122:123], v1
.LBB58_321:
	s_and_saveexec_b64 s[8:9], s[0:1]
	s_cbranch_execz .LBB58_325
; %bb.322:
	v_subrev_u32_e32 v124, 26, v0
	s_movk_i32 s23, 0x2b0
	s_mov_b64 s[0:1], 0
.LBB58_323:                             ; =>This Inner Loop Header: Depth=1
	scratch_load_dwordx2 v[126:127], off, s22
	v_mov_b32_e32 v125, s23
	ds_read_b64 v[128:129], v125
	v_add_u32_e32 v124, -1, v124
	s_add_i32 s23, s23, 8
	s_add_i32 s22, s22, 8
	v_cmp_eq_u32_e32 vcc, 0, v124
	s_or_b64 s[0:1], vcc, s[0:1]
	s_waitcnt vmcnt(0) lgkmcnt(0)
	v_fmac_f64_e32 v[122:123], v[126:127], v[128:129]
	s_andn2_b64 exec, exec, s[0:1]
	s_cbranch_execnz .LBB58_323
; %bb.324:
	s_or_b64 exec, exec, s[0:1]
.LBB58_325:
	s_or_b64 exec, exec, s[8:9]
	v_mov_b32_e32 v124, 0
	ds_read_b64 v[124:125], v124 offset:200
	s_waitcnt lgkmcnt(0)
	v_mul_f64 v[122:123], v[122:123], v[124:125]
	scratch_store_dwordx2 off, v[122:123], off offset:200
.LBB58_326:
	s_or_b64 exec, exec, s[4:5]
	scratch_load_dwordx2 v[122:123], off, off offset:192
	v_cmp_lt_u32_e64 s[0:1], 24, v0
	s_waitcnt vmcnt(0)
	ds_write_b64 v1, v[122:123]
	s_waitcnt lgkmcnt(0)
	; wave barrier
	s_and_saveexec_b64 s[4:5], s[0:1]
	s_cbranch_execz .LBB58_336
; %bb.327:
	s_andn2_b64 vcc, exec, s[6:7]
	s_cbranch_vccnz .LBB58_329
; %bb.328:
	scratch_load_dwordx2 v[122:123], v13, off
	ds_read_b64 v[124:125], v1
	s_waitcnt vmcnt(0) lgkmcnt(0)
	v_mul_f64 v[122:123], v[122:123], v[124:125]
	s_cbranch_execz .LBB58_330
	s_branch .LBB58_331
.LBB58_329:
                                        ; implicit-def: $vgpr122_vgpr123
.LBB58_330:
	ds_read_b64 v[122:123], v1
.LBB58_331:
	s_and_saveexec_b64 s[8:9], s[2:3]
	s_cbranch_execz .LBB58_335
; %bb.332:
	s_movk_i32 s22, 0xc8
	v_subrev_u32_e32 v124, 25, v0
	s_movk_i32 s23, 0x2a8
	s_mov_b64 s[2:3], 0
.LBB58_333:                             ; =>This Inner Loop Header: Depth=1
	scratch_load_dwordx2 v[126:127], off, s22
	v_mov_b32_e32 v125, s23
	ds_read_b64 v[128:129], v125
	v_add_u32_e32 v124, -1, v124
	s_add_i32 s23, s23, 8
	s_add_i32 s22, s22, 8
	v_cmp_eq_u32_e32 vcc, 0, v124
	s_or_b64 s[2:3], vcc, s[2:3]
	s_waitcnt vmcnt(0) lgkmcnt(0)
	v_fmac_f64_e32 v[122:123], v[126:127], v[128:129]
	s_andn2_b64 exec, exec, s[2:3]
	s_cbranch_execnz .LBB58_333
; %bb.334:
	s_or_b64 exec, exec, s[2:3]
.LBB58_335:
	s_or_b64 exec, exec, s[8:9]
	v_mov_b32_e32 v124, 0
	ds_read_b64 v[124:125], v124 offset:192
	s_waitcnt lgkmcnt(0)
	v_mul_f64 v[122:123], v[122:123], v[124:125]
	scratch_store_dwordx2 off, v[122:123], off offset:192
.LBB58_336:
	s_or_b64 exec, exec, s[4:5]
	scratch_load_dwordx2 v[122:123], off, off offset:184
	v_cmp_lt_u32_e64 s[2:3], 23, v0
	s_waitcnt vmcnt(0)
	ds_write_b64 v1, v[122:123]
	s_waitcnt lgkmcnt(0)
	; wave barrier
	s_and_saveexec_b64 s[4:5], s[2:3]
	s_cbranch_execz .LBB58_346
; %bb.337:
	s_andn2_b64 vcc, exec, s[6:7]
	s_cbranch_vccnz .LBB58_339
; %bb.338:
	scratch_load_dwordx2 v[122:123], v13, off
	ds_read_b64 v[124:125], v1
	s_waitcnt vmcnt(0) lgkmcnt(0)
	v_mul_f64 v[122:123], v[122:123], v[124:125]
	s_cbranch_execz .LBB58_340
	s_branch .LBB58_341
.LBB58_339:
                                        ; implicit-def: $vgpr122_vgpr123
.LBB58_340:
	ds_read_b64 v[122:123], v1
.LBB58_341:
	s_and_saveexec_b64 s[8:9], s[0:1]
	s_cbranch_execz .LBB58_345
; %bb.342:
	v_subrev_u32_e32 v124, 24, v0
	s_movk_i32 s22, 0x2a0
	s_mov_b64 s[0:1], 0
.LBB58_343:                             ; =>This Inner Loop Header: Depth=1
	scratch_load_dwordx2 v[126:127], off, s21
	v_mov_b32_e32 v125, s22
	ds_read_b64 v[128:129], v125
	v_add_u32_e32 v124, -1, v124
	s_add_i32 s22, s22, 8
	s_add_i32 s21, s21, 8
	v_cmp_eq_u32_e32 vcc, 0, v124
	s_or_b64 s[0:1], vcc, s[0:1]
	s_waitcnt vmcnt(0) lgkmcnt(0)
	v_fmac_f64_e32 v[122:123], v[126:127], v[128:129]
	s_andn2_b64 exec, exec, s[0:1]
	s_cbranch_execnz .LBB58_343
; %bb.344:
	s_or_b64 exec, exec, s[0:1]
.LBB58_345:
	s_or_b64 exec, exec, s[8:9]
	v_mov_b32_e32 v124, 0
	ds_read_b64 v[124:125], v124 offset:184
	s_waitcnt lgkmcnt(0)
	v_mul_f64 v[122:123], v[122:123], v[124:125]
	scratch_store_dwordx2 off, v[122:123], off offset:184
.LBB58_346:
	s_or_b64 exec, exec, s[4:5]
	scratch_load_dwordx2 v[122:123], off, off offset:176
	v_cmp_lt_u32_e64 s[0:1], 22, v0
	s_waitcnt vmcnt(0)
	ds_write_b64 v1, v[122:123]
	s_waitcnt lgkmcnt(0)
	; wave barrier
	s_and_saveexec_b64 s[4:5], s[0:1]
	s_cbranch_execz .LBB58_356
; %bb.347:
	s_andn2_b64 vcc, exec, s[6:7]
	s_cbranch_vccnz .LBB58_349
; %bb.348:
	scratch_load_dwordx2 v[122:123], v13, off
	ds_read_b64 v[124:125], v1
	s_waitcnt vmcnt(0) lgkmcnt(0)
	v_mul_f64 v[122:123], v[122:123], v[124:125]
	s_cbranch_execz .LBB58_350
	s_branch .LBB58_351
.LBB58_349:
                                        ; implicit-def: $vgpr122_vgpr123
.LBB58_350:
	ds_read_b64 v[122:123], v1
.LBB58_351:
	s_and_saveexec_b64 s[8:9], s[2:3]
	s_cbranch_execz .LBB58_355
; %bb.352:
	s_movk_i32 s21, 0xb8
	v_subrev_u32_e32 v124, 23, v0
	s_movk_i32 s22, 0x298
	s_mov_b64 s[2:3], 0
.LBB58_353:                             ; =>This Inner Loop Header: Depth=1
	scratch_load_dwordx2 v[126:127], off, s21
	v_mov_b32_e32 v125, s22
	ds_read_b64 v[128:129], v125
	v_add_u32_e32 v124, -1, v124
	s_add_i32 s22, s22, 8
	s_add_i32 s21, s21, 8
	v_cmp_eq_u32_e32 vcc, 0, v124
	s_or_b64 s[2:3], vcc, s[2:3]
	s_waitcnt vmcnt(0) lgkmcnt(0)
	v_fmac_f64_e32 v[122:123], v[126:127], v[128:129]
	s_andn2_b64 exec, exec, s[2:3]
	s_cbranch_execnz .LBB58_353
; %bb.354:
	s_or_b64 exec, exec, s[2:3]
.LBB58_355:
	s_or_b64 exec, exec, s[8:9]
	v_mov_b32_e32 v124, 0
	ds_read_b64 v[124:125], v124 offset:176
	s_waitcnt lgkmcnt(0)
	v_mul_f64 v[122:123], v[122:123], v[124:125]
	scratch_store_dwordx2 off, v[122:123], off offset:176
.LBB58_356:
	s_or_b64 exec, exec, s[4:5]
	scratch_load_dwordx2 v[122:123], off, off offset:168
	v_cmp_lt_u32_e64 s[2:3], 21, v0
	s_waitcnt vmcnt(0)
	ds_write_b64 v1, v[122:123]
	s_waitcnt lgkmcnt(0)
	; wave barrier
	s_and_saveexec_b64 s[4:5], s[2:3]
	s_cbranch_execz .LBB58_366
; %bb.357:
	s_andn2_b64 vcc, exec, s[6:7]
	s_cbranch_vccnz .LBB58_359
; %bb.358:
	scratch_load_dwordx2 v[122:123], v13, off
	ds_read_b64 v[124:125], v1
	s_waitcnt vmcnt(0) lgkmcnt(0)
	v_mul_f64 v[122:123], v[122:123], v[124:125]
	s_cbranch_execz .LBB58_360
	s_branch .LBB58_361
.LBB58_359:
                                        ; implicit-def: $vgpr122_vgpr123
.LBB58_360:
	ds_read_b64 v[122:123], v1
.LBB58_361:
	s_and_saveexec_b64 s[8:9], s[0:1]
	s_cbranch_execz .LBB58_365
; %bb.362:
	v_subrev_u32_e32 v124, 22, v0
	s_movk_i32 s21, 0x290
	s_mov_b64 s[0:1], 0
.LBB58_363:                             ; =>This Inner Loop Header: Depth=1
	scratch_load_dwordx2 v[126:127], off, s20
	v_mov_b32_e32 v125, s21
	ds_read_b64 v[128:129], v125
	v_add_u32_e32 v124, -1, v124
	s_add_i32 s21, s21, 8
	s_add_i32 s20, s20, 8
	v_cmp_eq_u32_e32 vcc, 0, v124
	s_or_b64 s[0:1], vcc, s[0:1]
	s_waitcnt vmcnt(0) lgkmcnt(0)
	v_fmac_f64_e32 v[122:123], v[126:127], v[128:129]
	s_andn2_b64 exec, exec, s[0:1]
	s_cbranch_execnz .LBB58_363
; %bb.364:
	s_or_b64 exec, exec, s[0:1]
.LBB58_365:
	s_or_b64 exec, exec, s[8:9]
	v_mov_b32_e32 v124, 0
	ds_read_b64 v[124:125], v124 offset:168
	s_waitcnt lgkmcnt(0)
	v_mul_f64 v[122:123], v[122:123], v[124:125]
	scratch_store_dwordx2 off, v[122:123], off offset:168
.LBB58_366:
	s_or_b64 exec, exec, s[4:5]
	scratch_load_dwordx2 v[122:123], off, off offset:160
	v_cmp_lt_u32_e64 s[0:1], 20, v0
	s_waitcnt vmcnt(0)
	ds_write_b64 v1, v[122:123]
	s_waitcnt lgkmcnt(0)
	; wave barrier
	s_and_saveexec_b64 s[4:5], s[0:1]
	s_cbranch_execz .LBB58_376
; %bb.367:
	s_andn2_b64 vcc, exec, s[6:7]
	s_cbranch_vccnz .LBB58_369
; %bb.368:
	scratch_load_dwordx2 v[122:123], v13, off
	ds_read_b64 v[124:125], v1
	s_waitcnt vmcnt(0) lgkmcnt(0)
	v_mul_f64 v[122:123], v[122:123], v[124:125]
	s_cbranch_execz .LBB58_370
	s_branch .LBB58_371
.LBB58_369:
                                        ; implicit-def: $vgpr122_vgpr123
.LBB58_370:
	ds_read_b64 v[122:123], v1
.LBB58_371:
	s_and_saveexec_b64 s[8:9], s[2:3]
	s_cbranch_execz .LBB58_375
; %bb.372:
	s_movk_i32 s20, 0xa8
	v_subrev_u32_e32 v124, 21, v0
	s_movk_i32 s21, 0x288
	s_mov_b64 s[2:3], 0
.LBB58_373:                             ; =>This Inner Loop Header: Depth=1
	scratch_load_dwordx2 v[126:127], off, s20
	v_mov_b32_e32 v125, s21
	ds_read_b64 v[128:129], v125
	v_add_u32_e32 v124, -1, v124
	s_add_i32 s21, s21, 8
	s_add_i32 s20, s20, 8
	v_cmp_eq_u32_e32 vcc, 0, v124
	s_or_b64 s[2:3], vcc, s[2:3]
	s_waitcnt vmcnt(0) lgkmcnt(0)
	v_fmac_f64_e32 v[122:123], v[126:127], v[128:129]
	s_andn2_b64 exec, exec, s[2:3]
	s_cbranch_execnz .LBB58_373
; %bb.374:
	s_or_b64 exec, exec, s[2:3]
.LBB58_375:
	s_or_b64 exec, exec, s[8:9]
	v_mov_b32_e32 v124, 0
	ds_read_b64 v[124:125], v124 offset:160
	s_waitcnt lgkmcnt(0)
	v_mul_f64 v[122:123], v[122:123], v[124:125]
	scratch_store_dwordx2 off, v[122:123], off offset:160
.LBB58_376:
	s_or_b64 exec, exec, s[4:5]
	scratch_load_dwordx2 v[122:123], off, off offset:152
	v_cmp_lt_u32_e64 s[2:3], 19, v0
	s_waitcnt vmcnt(0)
	ds_write_b64 v1, v[122:123]
	s_waitcnt lgkmcnt(0)
	; wave barrier
	s_and_saveexec_b64 s[4:5], s[2:3]
	s_cbranch_execz .LBB58_386
; %bb.377:
	s_andn2_b64 vcc, exec, s[6:7]
	s_cbranch_vccnz .LBB58_379
; %bb.378:
	scratch_load_dwordx2 v[122:123], v13, off
	ds_read_b64 v[124:125], v1
	s_waitcnt vmcnt(0) lgkmcnt(0)
	v_mul_f64 v[122:123], v[122:123], v[124:125]
	s_cbranch_execz .LBB58_380
	s_branch .LBB58_381
.LBB58_379:
                                        ; implicit-def: $vgpr122_vgpr123
.LBB58_380:
	ds_read_b64 v[122:123], v1
.LBB58_381:
	s_and_saveexec_b64 s[8:9], s[0:1]
	s_cbranch_execz .LBB58_385
; %bb.382:
	v_subrev_u32_e32 v124, 20, v0
	s_movk_i32 s20, 0x280
	s_mov_b64 s[0:1], 0
.LBB58_383:                             ; =>This Inner Loop Header: Depth=1
	scratch_load_dwordx2 v[126:127], off, s19
	v_mov_b32_e32 v125, s20
	ds_read_b64 v[128:129], v125
	v_add_u32_e32 v124, -1, v124
	s_add_i32 s20, s20, 8
	s_add_i32 s19, s19, 8
	v_cmp_eq_u32_e32 vcc, 0, v124
	s_or_b64 s[0:1], vcc, s[0:1]
	s_waitcnt vmcnt(0) lgkmcnt(0)
	v_fmac_f64_e32 v[122:123], v[126:127], v[128:129]
	s_andn2_b64 exec, exec, s[0:1]
	s_cbranch_execnz .LBB58_383
; %bb.384:
	s_or_b64 exec, exec, s[0:1]
.LBB58_385:
	s_or_b64 exec, exec, s[8:9]
	v_mov_b32_e32 v124, 0
	ds_read_b64 v[124:125], v124 offset:152
	s_waitcnt lgkmcnt(0)
	v_mul_f64 v[122:123], v[122:123], v[124:125]
	scratch_store_dwordx2 off, v[122:123], off offset:152
.LBB58_386:
	s_or_b64 exec, exec, s[4:5]
	scratch_load_dwordx2 v[122:123], off, off offset:144
	v_cmp_lt_u32_e64 s[0:1], 18, v0
	s_waitcnt vmcnt(0)
	ds_write_b64 v1, v[122:123]
	s_waitcnt lgkmcnt(0)
	; wave barrier
	s_and_saveexec_b64 s[4:5], s[0:1]
	s_cbranch_execz .LBB58_396
; %bb.387:
	s_andn2_b64 vcc, exec, s[6:7]
	s_cbranch_vccnz .LBB58_389
; %bb.388:
	scratch_load_dwordx2 v[122:123], v13, off
	ds_read_b64 v[124:125], v1
	s_waitcnt vmcnt(0) lgkmcnt(0)
	v_mul_f64 v[122:123], v[122:123], v[124:125]
	s_cbranch_execz .LBB58_390
	s_branch .LBB58_391
.LBB58_389:
                                        ; implicit-def: $vgpr122_vgpr123
.LBB58_390:
	ds_read_b64 v[122:123], v1
.LBB58_391:
	s_and_saveexec_b64 s[8:9], s[2:3]
	s_cbranch_execz .LBB58_395
; %bb.392:
	s_movk_i32 s19, 0x98
	v_subrev_u32_e32 v124, 19, v0
	s_movk_i32 s20, 0x278
	s_mov_b64 s[2:3], 0
.LBB58_393:                             ; =>This Inner Loop Header: Depth=1
	scratch_load_dwordx2 v[126:127], off, s19
	v_mov_b32_e32 v125, s20
	ds_read_b64 v[128:129], v125
	v_add_u32_e32 v124, -1, v124
	s_add_i32 s20, s20, 8
	s_add_i32 s19, s19, 8
	v_cmp_eq_u32_e32 vcc, 0, v124
	s_or_b64 s[2:3], vcc, s[2:3]
	s_waitcnt vmcnt(0) lgkmcnt(0)
	v_fmac_f64_e32 v[122:123], v[126:127], v[128:129]
	s_andn2_b64 exec, exec, s[2:3]
	s_cbranch_execnz .LBB58_393
; %bb.394:
	s_or_b64 exec, exec, s[2:3]
.LBB58_395:
	s_or_b64 exec, exec, s[8:9]
	v_mov_b32_e32 v124, 0
	ds_read_b64 v[124:125], v124 offset:144
	s_waitcnt lgkmcnt(0)
	v_mul_f64 v[122:123], v[122:123], v[124:125]
	scratch_store_dwordx2 off, v[122:123], off offset:144
.LBB58_396:
	s_or_b64 exec, exec, s[4:5]
	scratch_load_dwordx2 v[122:123], off, off offset:136
	v_cmp_lt_u32_e64 s[2:3], 17, v0
	s_waitcnt vmcnt(0)
	ds_write_b64 v1, v[122:123]
	s_waitcnt lgkmcnt(0)
	; wave barrier
	s_and_saveexec_b64 s[4:5], s[2:3]
	s_cbranch_execz .LBB58_406
; %bb.397:
	s_andn2_b64 vcc, exec, s[6:7]
	s_cbranch_vccnz .LBB58_399
; %bb.398:
	scratch_load_dwordx2 v[122:123], v13, off
	ds_read_b64 v[124:125], v1
	s_waitcnt vmcnt(0) lgkmcnt(0)
	v_mul_f64 v[122:123], v[122:123], v[124:125]
	s_cbranch_execz .LBB58_400
	s_branch .LBB58_401
.LBB58_399:
                                        ; implicit-def: $vgpr122_vgpr123
.LBB58_400:
	ds_read_b64 v[122:123], v1
.LBB58_401:
	s_and_saveexec_b64 s[8:9], s[0:1]
	s_cbranch_execz .LBB58_405
; %bb.402:
	v_subrev_u32_e32 v124, 18, v0
	s_movk_i32 s19, 0x270
	s_mov_b64 s[0:1], 0
.LBB58_403:                             ; =>This Inner Loop Header: Depth=1
	scratch_load_dwordx2 v[126:127], off, s18
	v_mov_b32_e32 v125, s19
	ds_read_b64 v[128:129], v125
	v_add_u32_e32 v124, -1, v124
	s_add_i32 s19, s19, 8
	s_add_i32 s18, s18, 8
	v_cmp_eq_u32_e32 vcc, 0, v124
	s_or_b64 s[0:1], vcc, s[0:1]
	s_waitcnt vmcnt(0) lgkmcnt(0)
	v_fmac_f64_e32 v[122:123], v[126:127], v[128:129]
	s_andn2_b64 exec, exec, s[0:1]
	s_cbranch_execnz .LBB58_403
; %bb.404:
	s_or_b64 exec, exec, s[0:1]
.LBB58_405:
	s_or_b64 exec, exec, s[8:9]
	v_mov_b32_e32 v124, 0
	ds_read_b64 v[124:125], v124 offset:136
	s_waitcnt lgkmcnt(0)
	v_mul_f64 v[122:123], v[122:123], v[124:125]
	scratch_store_dwordx2 off, v[122:123], off offset:136
.LBB58_406:
	s_or_b64 exec, exec, s[4:5]
	scratch_load_dwordx2 v[122:123], off, off offset:128
	v_cmp_lt_u32_e64 s[0:1], 16, v0
	s_waitcnt vmcnt(0)
	ds_write_b64 v1, v[122:123]
	s_waitcnt lgkmcnt(0)
	; wave barrier
	s_and_saveexec_b64 s[4:5], s[0:1]
	s_cbranch_execz .LBB58_416
; %bb.407:
	s_andn2_b64 vcc, exec, s[6:7]
	s_cbranch_vccnz .LBB58_409
; %bb.408:
	scratch_load_dwordx2 v[122:123], v13, off
	ds_read_b64 v[124:125], v1
	s_waitcnt vmcnt(0) lgkmcnt(0)
	v_mul_f64 v[122:123], v[122:123], v[124:125]
	s_cbranch_execz .LBB58_410
	s_branch .LBB58_411
.LBB58_409:
                                        ; implicit-def: $vgpr122_vgpr123
.LBB58_410:
	ds_read_b64 v[122:123], v1
.LBB58_411:
	s_and_saveexec_b64 s[8:9], s[2:3]
	s_cbranch_execz .LBB58_415
; %bb.412:
	s_movk_i32 s18, 0x88
	v_subrev_u32_e32 v124, 17, v0
	s_movk_i32 s19, 0x268
	s_mov_b64 s[2:3], 0
.LBB58_413:                             ; =>This Inner Loop Header: Depth=1
	scratch_load_dwordx2 v[126:127], off, s18
	v_mov_b32_e32 v125, s19
	ds_read_b64 v[128:129], v125
	v_add_u32_e32 v124, -1, v124
	s_add_i32 s19, s19, 8
	s_add_i32 s18, s18, 8
	v_cmp_eq_u32_e32 vcc, 0, v124
	s_or_b64 s[2:3], vcc, s[2:3]
	s_waitcnt vmcnt(0) lgkmcnt(0)
	v_fmac_f64_e32 v[122:123], v[126:127], v[128:129]
	s_andn2_b64 exec, exec, s[2:3]
	s_cbranch_execnz .LBB58_413
; %bb.414:
	s_or_b64 exec, exec, s[2:3]
.LBB58_415:
	s_or_b64 exec, exec, s[8:9]
	v_mov_b32_e32 v124, 0
	ds_read_b64 v[124:125], v124 offset:128
	s_waitcnt lgkmcnt(0)
	v_mul_f64 v[122:123], v[122:123], v[124:125]
	scratch_store_dwordx2 off, v[122:123], off offset:128
.LBB58_416:
	s_or_b64 exec, exec, s[4:5]
	scratch_load_dwordx2 v[122:123], off, off offset:120
	v_cmp_lt_u32_e64 s[2:3], 15, v0
	s_waitcnt vmcnt(0)
	ds_write_b64 v1, v[122:123]
	s_waitcnt lgkmcnt(0)
	; wave barrier
	s_and_saveexec_b64 s[4:5], s[2:3]
	s_cbranch_execz .LBB58_426
; %bb.417:
	s_andn2_b64 vcc, exec, s[6:7]
	s_cbranch_vccnz .LBB58_419
; %bb.418:
	scratch_load_dwordx2 v[122:123], v13, off
	ds_read_b64 v[124:125], v1
	s_waitcnt vmcnt(0) lgkmcnt(0)
	v_mul_f64 v[122:123], v[122:123], v[124:125]
	s_cbranch_execz .LBB58_420
	s_branch .LBB58_421
.LBB58_419:
                                        ; implicit-def: $vgpr122_vgpr123
.LBB58_420:
	ds_read_b64 v[122:123], v1
.LBB58_421:
	s_and_saveexec_b64 s[8:9], s[0:1]
	s_cbranch_execz .LBB58_425
; %bb.422:
	v_add_u32_e32 v124, -16, v0
	s_movk_i32 s18, 0x260
	s_mov_b64 s[0:1], 0
.LBB58_423:                             ; =>This Inner Loop Header: Depth=1
	scratch_load_dwordx2 v[126:127], off, s17
	v_mov_b32_e32 v125, s18
	ds_read_b64 v[128:129], v125
	v_add_u32_e32 v124, -1, v124
	s_add_i32 s18, s18, 8
	s_add_i32 s17, s17, 8
	v_cmp_eq_u32_e32 vcc, 0, v124
	s_or_b64 s[0:1], vcc, s[0:1]
	s_waitcnt vmcnt(0) lgkmcnt(0)
	v_fmac_f64_e32 v[122:123], v[126:127], v[128:129]
	s_andn2_b64 exec, exec, s[0:1]
	s_cbranch_execnz .LBB58_423
; %bb.424:
	s_or_b64 exec, exec, s[0:1]
.LBB58_425:
	s_or_b64 exec, exec, s[8:9]
	v_mov_b32_e32 v124, 0
	ds_read_b64 v[124:125], v124 offset:120
	s_waitcnt lgkmcnt(0)
	v_mul_f64 v[122:123], v[122:123], v[124:125]
	scratch_store_dwordx2 off, v[122:123], off offset:120
.LBB58_426:
	s_or_b64 exec, exec, s[4:5]
	scratch_load_dwordx2 v[122:123], off, off offset:112
	v_cmp_lt_u32_e64 s[0:1], 14, v0
	s_waitcnt vmcnt(0)
	ds_write_b64 v1, v[122:123]
	s_waitcnt lgkmcnt(0)
	; wave barrier
	s_and_saveexec_b64 s[4:5], s[0:1]
	s_cbranch_execz .LBB58_436
; %bb.427:
	s_andn2_b64 vcc, exec, s[6:7]
	s_cbranch_vccnz .LBB58_429
; %bb.428:
	scratch_load_dwordx2 v[122:123], v13, off
	ds_read_b64 v[124:125], v1
	s_waitcnt vmcnt(0) lgkmcnt(0)
	v_mul_f64 v[122:123], v[122:123], v[124:125]
	s_cbranch_execz .LBB58_430
	s_branch .LBB58_431
.LBB58_429:
                                        ; implicit-def: $vgpr122_vgpr123
.LBB58_430:
	ds_read_b64 v[122:123], v1
.LBB58_431:
	s_and_saveexec_b64 s[8:9], s[2:3]
	s_cbranch_execz .LBB58_435
; %bb.432:
	s_movk_i32 s17, 0x78
	v_add_u32_e32 v124, -15, v0
	s_movk_i32 s18, 0x258
	s_mov_b64 s[2:3], 0
.LBB58_433:                             ; =>This Inner Loop Header: Depth=1
	scratch_load_dwordx2 v[126:127], off, s17
	v_mov_b32_e32 v125, s18
	ds_read_b64 v[128:129], v125
	v_add_u32_e32 v124, -1, v124
	s_add_i32 s18, s18, 8
	s_add_i32 s17, s17, 8
	v_cmp_eq_u32_e32 vcc, 0, v124
	s_or_b64 s[2:3], vcc, s[2:3]
	s_waitcnt vmcnt(0) lgkmcnt(0)
	v_fmac_f64_e32 v[122:123], v[126:127], v[128:129]
	s_andn2_b64 exec, exec, s[2:3]
	s_cbranch_execnz .LBB58_433
; %bb.434:
	s_or_b64 exec, exec, s[2:3]
.LBB58_435:
	s_or_b64 exec, exec, s[8:9]
	v_mov_b32_e32 v124, 0
	ds_read_b64 v[124:125], v124 offset:112
	s_waitcnt lgkmcnt(0)
	v_mul_f64 v[122:123], v[122:123], v[124:125]
	scratch_store_dwordx2 off, v[122:123], off offset:112
.LBB58_436:
	s_or_b64 exec, exec, s[4:5]
	scratch_load_dwordx2 v[122:123], off, off offset:104
	v_cmp_lt_u32_e64 s[2:3], 13, v0
	s_waitcnt vmcnt(0)
	ds_write_b64 v1, v[122:123]
	s_waitcnt lgkmcnt(0)
	; wave barrier
	s_and_saveexec_b64 s[4:5], s[2:3]
	s_cbranch_execz .LBB58_446
; %bb.437:
	s_andn2_b64 vcc, exec, s[6:7]
	s_cbranch_vccnz .LBB58_439
; %bb.438:
	scratch_load_dwordx2 v[122:123], v13, off
	ds_read_b64 v[124:125], v1
	s_waitcnt vmcnt(0) lgkmcnt(0)
	v_mul_f64 v[122:123], v[122:123], v[124:125]
	s_cbranch_execz .LBB58_440
	s_branch .LBB58_441
.LBB58_439:
                                        ; implicit-def: $vgpr122_vgpr123
.LBB58_440:
	ds_read_b64 v[122:123], v1
.LBB58_441:
	s_and_saveexec_b64 s[8:9], s[0:1]
	s_cbranch_execz .LBB58_445
; %bb.442:
	v_add_u32_e32 v124, -14, v0
	s_movk_i32 s17, 0x250
	s_mov_b64 s[0:1], 0
.LBB58_443:                             ; =>This Inner Loop Header: Depth=1
	scratch_load_dwordx2 v[126:127], off, s16
	v_mov_b32_e32 v125, s17
	ds_read_b64 v[128:129], v125
	v_add_u32_e32 v124, -1, v124
	s_add_i32 s17, s17, 8
	s_add_i32 s16, s16, 8
	v_cmp_eq_u32_e32 vcc, 0, v124
	s_or_b64 s[0:1], vcc, s[0:1]
	s_waitcnt vmcnt(0) lgkmcnt(0)
	v_fmac_f64_e32 v[122:123], v[126:127], v[128:129]
	s_andn2_b64 exec, exec, s[0:1]
	s_cbranch_execnz .LBB58_443
; %bb.444:
	s_or_b64 exec, exec, s[0:1]
.LBB58_445:
	s_or_b64 exec, exec, s[8:9]
	v_mov_b32_e32 v124, 0
	ds_read_b64 v[124:125], v124 offset:104
	s_waitcnt lgkmcnt(0)
	v_mul_f64 v[122:123], v[122:123], v[124:125]
	scratch_store_dwordx2 off, v[122:123], off offset:104
.LBB58_446:
	s_or_b64 exec, exec, s[4:5]
	scratch_load_dwordx2 v[122:123], off, off offset:96
	v_cmp_lt_u32_e64 s[0:1], 12, v0
	s_waitcnt vmcnt(0)
	ds_write_b64 v1, v[122:123]
	s_waitcnt lgkmcnt(0)
	; wave barrier
	s_and_saveexec_b64 s[4:5], s[0:1]
	s_cbranch_execz .LBB58_456
; %bb.447:
	s_andn2_b64 vcc, exec, s[6:7]
	s_cbranch_vccnz .LBB58_449
; %bb.448:
	scratch_load_dwordx2 v[122:123], v13, off
	ds_read_b64 v[124:125], v1
	s_waitcnt vmcnt(0) lgkmcnt(0)
	v_mul_f64 v[122:123], v[122:123], v[124:125]
	s_cbranch_execz .LBB58_450
	s_branch .LBB58_451
.LBB58_449:
                                        ; implicit-def: $vgpr122_vgpr123
.LBB58_450:
	ds_read_b64 v[122:123], v1
.LBB58_451:
	s_and_saveexec_b64 s[8:9], s[2:3]
	s_cbranch_execz .LBB58_455
; %bb.452:
	s_movk_i32 s16, 0x68
	v_add_u32_e32 v124, -13, v0
	s_movk_i32 s17, 0x248
	s_mov_b64 s[2:3], 0
.LBB58_453:                             ; =>This Inner Loop Header: Depth=1
	scratch_load_dwordx2 v[126:127], off, s16
	v_mov_b32_e32 v125, s17
	ds_read_b64 v[128:129], v125
	v_add_u32_e32 v124, -1, v124
	s_add_i32 s17, s17, 8
	s_add_i32 s16, s16, 8
	v_cmp_eq_u32_e32 vcc, 0, v124
	s_or_b64 s[2:3], vcc, s[2:3]
	s_waitcnt vmcnt(0) lgkmcnt(0)
	v_fmac_f64_e32 v[122:123], v[126:127], v[128:129]
	s_andn2_b64 exec, exec, s[2:3]
	s_cbranch_execnz .LBB58_453
; %bb.454:
	s_or_b64 exec, exec, s[2:3]
.LBB58_455:
	s_or_b64 exec, exec, s[8:9]
	v_mov_b32_e32 v124, 0
	ds_read_b64 v[124:125], v124 offset:96
	s_waitcnt lgkmcnt(0)
	v_mul_f64 v[122:123], v[122:123], v[124:125]
	scratch_store_dwordx2 off, v[122:123], off offset:96
.LBB58_456:
	s_or_b64 exec, exec, s[4:5]
	scratch_load_dwordx2 v[122:123], off, off offset:88
	v_cmp_lt_u32_e64 s[2:3], 11, v0
	s_waitcnt vmcnt(0)
	ds_write_b64 v1, v[122:123]
	s_waitcnt lgkmcnt(0)
	; wave barrier
	s_and_saveexec_b64 s[4:5], s[2:3]
	s_cbranch_execz .LBB58_466
; %bb.457:
	s_andn2_b64 vcc, exec, s[6:7]
	s_cbranch_vccnz .LBB58_459
; %bb.458:
	scratch_load_dwordx2 v[122:123], v13, off
	ds_read_b64 v[124:125], v1
	s_waitcnt vmcnt(0) lgkmcnt(0)
	v_mul_f64 v[122:123], v[122:123], v[124:125]
	s_cbranch_execz .LBB58_460
	s_branch .LBB58_461
.LBB58_459:
                                        ; implicit-def: $vgpr122_vgpr123
.LBB58_460:
	ds_read_b64 v[122:123], v1
.LBB58_461:
	s_and_saveexec_b64 s[8:9], s[0:1]
	s_cbranch_execz .LBB58_465
; %bb.462:
	v_add_u32_e32 v124, -12, v0
	s_movk_i32 s16, 0x240
	s_mov_b64 s[0:1], 0
.LBB58_463:                             ; =>This Inner Loop Header: Depth=1
	scratch_load_dwordx2 v[126:127], off, s15
	v_mov_b32_e32 v125, s16
	ds_read_b64 v[128:129], v125
	v_add_u32_e32 v124, -1, v124
	s_add_i32 s16, s16, 8
	s_add_i32 s15, s15, 8
	v_cmp_eq_u32_e32 vcc, 0, v124
	s_or_b64 s[0:1], vcc, s[0:1]
	s_waitcnt vmcnt(0) lgkmcnt(0)
	v_fmac_f64_e32 v[122:123], v[126:127], v[128:129]
	s_andn2_b64 exec, exec, s[0:1]
	s_cbranch_execnz .LBB58_463
; %bb.464:
	s_or_b64 exec, exec, s[0:1]
.LBB58_465:
	s_or_b64 exec, exec, s[8:9]
	v_mov_b32_e32 v124, 0
	ds_read_b64 v[124:125], v124 offset:88
	s_waitcnt lgkmcnt(0)
	v_mul_f64 v[122:123], v[122:123], v[124:125]
	scratch_store_dwordx2 off, v[122:123], off offset:88
.LBB58_466:
	s_or_b64 exec, exec, s[4:5]
	scratch_load_dwordx2 v[122:123], off, off offset:80
	v_cmp_lt_u32_e64 s[0:1], 10, v0
	s_waitcnt vmcnt(0)
	ds_write_b64 v1, v[122:123]
	s_waitcnt lgkmcnt(0)
	; wave barrier
	s_and_saveexec_b64 s[4:5], s[0:1]
	s_cbranch_execz .LBB58_476
; %bb.467:
	s_andn2_b64 vcc, exec, s[6:7]
	s_cbranch_vccnz .LBB58_469
; %bb.468:
	scratch_load_dwordx2 v[122:123], v13, off
	ds_read_b64 v[124:125], v1
	s_waitcnt vmcnt(0) lgkmcnt(0)
	v_mul_f64 v[122:123], v[122:123], v[124:125]
	s_cbranch_execz .LBB58_470
	s_branch .LBB58_471
.LBB58_469:
                                        ; implicit-def: $vgpr122_vgpr123
.LBB58_470:
	ds_read_b64 v[122:123], v1
.LBB58_471:
	s_and_saveexec_b64 s[8:9], s[2:3]
	s_cbranch_execz .LBB58_475
; %bb.472:
	s_movk_i32 s15, 0x58
	v_add_u32_e32 v124, -11, v0
	s_movk_i32 s16, 0x238
	s_mov_b64 s[2:3], 0
.LBB58_473:                             ; =>This Inner Loop Header: Depth=1
	scratch_load_dwordx2 v[126:127], off, s15
	v_mov_b32_e32 v125, s16
	ds_read_b64 v[128:129], v125
	v_add_u32_e32 v124, -1, v124
	s_add_i32 s16, s16, 8
	s_add_i32 s15, s15, 8
	v_cmp_eq_u32_e32 vcc, 0, v124
	s_or_b64 s[2:3], vcc, s[2:3]
	s_waitcnt vmcnt(0) lgkmcnt(0)
	v_fmac_f64_e32 v[122:123], v[126:127], v[128:129]
	s_andn2_b64 exec, exec, s[2:3]
	s_cbranch_execnz .LBB58_473
; %bb.474:
	s_or_b64 exec, exec, s[2:3]
.LBB58_475:
	s_or_b64 exec, exec, s[8:9]
	v_mov_b32_e32 v124, 0
	ds_read_b64 v[124:125], v124 offset:80
	s_waitcnt lgkmcnt(0)
	v_mul_f64 v[122:123], v[122:123], v[124:125]
	scratch_store_dwordx2 off, v[122:123], off offset:80
.LBB58_476:
	s_or_b64 exec, exec, s[4:5]
	scratch_load_dwordx2 v[122:123], off, off offset:72
	v_cmp_lt_u32_e64 s[2:3], 9, v0
	s_waitcnt vmcnt(0)
	ds_write_b64 v1, v[122:123]
	s_waitcnt lgkmcnt(0)
	; wave barrier
	s_and_saveexec_b64 s[4:5], s[2:3]
	s_cbranch_execz .LBB58_486
; %bb.477:
	s_andn2_b64 vcc, exec, s[6:7]
	s_cbranch_vccnz .LBB58_479
; %bb.478:
	scratch_load_dwordx2 v[122:123], v13, off
	ds_read_b64 v[124:125], v1
	s_waitcnt vmcnt(0) lgkmcnt(0)
	v_mul_f64 v[122:123], v[122:123], v[124:125]
	s_cbranch_execz .LBB58_480
	s_branch .LBB58_481
.LBB58_479:
                                        ; implicit-def: $vgpr122_vgpr123
.LBB58_480:
	ds_read_b64 v[122:123], v1
.LBB58_481:
	s_and_saveexec_b64 s[8:9], s[0:1]
	s_cbranch_execz .LBB58_485
; %bb.482:
	v_add_u32_e32 v124, -10, v0
	s_movk_i32 s15, 0x230
	s_mov_b64 s[0:1], 0
.LBB58_483:                             ; =>This Inner Loop Header: Depth=1
	scratch_load_dwordx2 v[126:127], off, s14
	v_mov_b32_e32 v125, s15
	ds_read_b64 v[128:129], v125
	v_add_u32_e32 v124, -1, v124
	s_add_i32 s15, s15, 8
	s_add_i32 s14, s14, 8
	v_cmp_eq_u32_e32 vcc, 0, v124
	s_or_b64 s[0:1], vcc, s[0:1]
	s_waitcnt vmcnt(0) lgkmcnt(0)
	v_fmac_f64_e32 v[122:123], v[126:127], v[128:129]
	s_andn2_b64 exec, exec, s[0:1]
	s_cbranch_execnz .LBB58_483
; %bb.484:
	s_or_b64 exec, exec, s[0:1]
.LBB58_485:
	s_or_b64 exec, exec, s[8:9]
	v_mov_b32_e32 v124, 0
	ds_read_b64 v[124:125], v124 offset:72
	s_waitcnt lgkmcnt(0)
	v_mul_f64 v[122:123], v[122:123], v[124:125]
	scratch_store_dwordx2 off, v[122:123], off offset:72
.LBB58_486:
	s_or_b64 exec, exec, s[4:5]
	scratch_load_dwordx2 v[122:123], off, off offset:64
	v_cmp_lt_u32_e64 s[0:1], 8, v0
	s_waitcnt vmcnt(0)
	ds_write_b64 v1, v[122:123]
	s_waitcnt lgkmcnt(0)
	; wave barrier
	s_and_saveexec_b64 s[4:5], s[0:1]
	s_cbranch_execz .LBB58_496
; %bb.487:
	s_andn2_b64 vcc, exec, s[6:7]
	s_cbranch_vccnz .LBB58_489
; %bb.488:
	scratch_load_dwordx2 v[122:123], v13, off
	ds_read_b64 v[124:125], v1
	s_waitcnt vmcnt(0) lgkmcnt(0)
	v_mul_f64 v[122:123], v[122:123], v[124:125]
	s_cbranch_execz .LBB58_490
	s_branch .LBB58_491
.LBB58_489:
                                        ; implicit-def: $vgpr122_vgpr123
.LBB58_490:
	ds_read_b64 v[122:123], v1
.LBB58_491:
	s_and_saveexec_b64 s[8:9], s[2:3]
	s_cbranch_execz .LBB58_495
; %bb.492:
	s_movk_i32 s14, 0x48
	v_add_u32_e32 v124, -9, v0
	s_movk_i32 s15, 0x228
	s_mov_b64 s[2:3], 0
.LBB58_493:                             ; =>This Inner Loop Header: Depth=1
	scratch_load_dwordx2 v[126:127], off, s14
	v_mov_b32_e32 v125, s15
	ds_read_b64 v[128:129], v125
	v_add_u32_e32 v124, -1, v124
	s_add_i32 s15, s15, 8
	s_add_i32 s14, s14, 8
	v_cmp_eq_u32_e32 vcc, 0, v124
	s_or_b64 s[2:3], vcc, s[2:3]
	s_waitcnt vmcnt(0) lgkmcnt(0)
	v_fmac_f64_e32 v[122:123], v[126:127], v[128:129]
	s_andn2_b64 exec, exec, s[2:3]
	s_cbranch_execnz .LBB58_493
; %bb.494:
	s_or_b64 exec, exec, s[2:3]
.LBB58_495:
	s_or_b64 exec, exec, s[8:9]
	v_mov_b32_e32 v124, 0
	ds_read_b64 v[124:125], v124 offset:64
	s_waitcnt lgkmcnt(0)
	v_mul_f64 v[122:123], v[122:123], v[124:125]
	scratch_store_dwordx2 off, v[122:123], off offset:64
.LBB58_496:
	s_or_b64 exec, exec, s[4:5]
	scratch_load_dwordx2 v[122:123], off, off offset:56
	v_cmp_lt_u32_e64 s[2:3], 7, v0
	s_waitcnt vmcnt(0)
	ds_write_b64 v1, v[122:123]
	s_waitcnt lgkmcnt(0)
	; wave barrier
	s_and_saveexec_b64 s[4:5], s[2:3]
	s_cbranch_execz .LBB58_506
; %bb.497:
	s_andn2_b64 vcc, exec, s[6:7]
	s_cbranch_vccnz .LBB58_499
; %bb.498:
	scratch_load_dwordx2 v[122:123], v13, off
	ds_read_b64 v[124:125], v1
	s_waitcnt vmcnt(0) lgkmcnt(0)
	v_mul_f64 v[122:123], v[122:123], v[124:125]
	s_cbranch_execz .LBB58_500
	s_branch .LBB58_501
.LBB58_499:
                                        ; implicit-def: $vgpr122_vgpr123
.LBB58_500:
	ds_read_b64 v[122:123], v1
.LBB58_501:
	s_and_saveexec_b64 s[8:9], s[0:1]
	s_cbranch_execz .LBB58_505
; %bb.502:
	v_add_u32_e32 v124, -8, v0
	s_movk_i32 s14, 0x220
	s_mov_b64 s[0:1], 0
.LBB58_503:                             ; =>This Inner Loop Header: Depth=1
	scratch_load_dwordx2 v[126:127], off, s13
	v_mov_b32_e32 v125, s14
	ds_read_b64 v[128:129], v125
	v_add_u32_e32 v124, -1, v124
	s_add_i32 s14, s14, 8
	s_add_i32 s13, s13, 8
	v_cmp_eq_u32_e32 vcc, 0, v124
	s_or_b64 s[0:1], vcc, s[0:1]
	s_waitcnt vmcnt(0) lgkmcnt(0)
	v_fmac_f64_e32 v[122:123], v[126:127], v[128:129]
	s_andn2_b64 exec, exec, s[0:1]
	s_cbranch_execnz .LBB58_503
; %bb.504:
	s_or_b64 exec, exec, s[0:1]
.LBB58_505:
	s_or_b64 exec, exec, s[8:9]
	v_mov_b32_e32 v124, 0
	ds_read_b64 v[124:125], v124 offset:56
	s_waitcnt lgkmcnt(0)
	v_mul_f64 v[122:123], v[122:123], v[124:125]
	scratch_store_dwordx2 off, v[122:123], off offset:56
.LBB58_506:
	s_or_b64 exec, exec, s[4:5]
	scratch_load_dwordx2 v[122:123], off, off offset:48
	v_cmp_lt_u32_e64 s[0:1], 6, v0
	s_waitcnt vmcnt(0)
	ds_write_b64 v1, v[122:123]
	s_waitcnt lgkmcnt(0)
	; wave barrier
	s_and_saveexec_b64 s[4:5], s[0:1]
	s_cbranch_execz .LBB58_516
; %bb.507:
	s_andn2_b64 vcc, exec, s[6:7]
	s_cbranch_vccnz .LBB58_509
; %bb.508:
	scratch_load_dwordx2 v[122:123], v13, off
	ds_read_b64 v[124:125], v1
	s_waitcnt vmcnt(0) lgkmcnt(0)
	v_mul_f64 v[122:123], v[122:123], v[124:125]
	s_cbranch_execz .LBB58_510
	s_branch .LBB58_511
.LBB58_509:
                                        ; implicit-def: $vgpr122_vgpr123
.LBB58_510:
	ds_read_b64 v[122:123], v1
.LBB58_511:
	s_and_saveexec_b64 s[8:9], s[2:3]
	s_cbranch_execz .LBB58_515
; %bb.512:
	s_mov_b32 s13, 56
	v_add_u32_e32 v124, -7, v0
	s_movk_i32 s14, 0x218
	s_mov_b64 s[2:3], 0
.LBB58_513:                             ; =>This Inner Loop Header: Depth=1
	scratch_load_dwordx2 v[126:127], off, s13
	v_mov_b32_e32 v125, s14
	ds_read_b64 v[128:129], v125
	v_add_u32_e32 v124, -1, v124
	s_add_i32 s14, s14, 8
	s_add_i32 s13, s13, 8
	v_cmp_eq_u32_e32 vcc, 0, v124
	s_or_b64 s[2:3], vcc, s[2:3]
	s_waitcnt vmcnt(0) lgkmcnt(0)
	v_fmac_f64_e32 v[122:123], v[126:127], v[128:129]
	s_andn2_b64 exec, exec, s[2:3]
	s_cbranch_execnz .LBB58_513
; %bb.514:
	s_or_b64 exec, exec, s[2:3]
.LBB58_515:
	s_or_b64 exec, exec, s[8:9]
	v_mov_b32_e32 v124, 0
	ds_read_b64 v[124:125], v124 offset:48
	s_waitcnt lgkmcnt(0)
	v_mul_f64 v[122:123], v[122:123], v[124:125]
	scratch_store_dwordx2 off, v[122:123], off offset:48
.LBB58_516:
	s_or_b64 exec, exec, s[4:5]
	scratch_load_dwordx2 v[122:123], off, off offset:40
	v_cmp_lt_u32_e64 s[2:3], 5, v0
	s_waitcnt vmcnt(0)
	ds_write_b64 v1, v[122:123]
	s_waitcnt lgkmcnt(0)
	; wave barrier
	s_and_saveexec_b64 s[4:5], s[2:3]
	s_cbranch_execz .LBB58_526
; %bb.517:
	s_andn2_b64 vcc, exec, s[6:7]
	s_cbranch_vccnz .LBB58_519
; %bb.518:
	scratch_load_dwordx2 v[122:123], v13, off
	ds_read_b64 v[124:125], v1
	s_waitcnt vmcnt(0) lgkmcnt(0)
	v_mul_f64 v[122:123], v[122:123], v[124:125]
	s_cbranch_execz .LBB58_520
	s_branch .LBB58_521
.LBB58_519:
                                        ; implicit-def: $vgpr122_vgpr123
.LBB58_520:
	ds_read_b64 v[122:123], v1
.LBB58_521:
	s_and_saveexec_b64 s[8:9], s[0:1]
	s_cbranch_execz .LBB58_525
; %bb.522:
	v_add_u32_e32 v124, -6, v0
	s_movk_i32 s13, 0x210
	s_mov_b64 s[0:1], 0
.LBB58_523:                             ; =>This Inner Loop Header: Depth=1
	scratch_load_dwordx2 v[126:127], off, s12
	v_mov_b32_e32 v125, s13
	ds_read_b64 v[128:129], v125
	v_add_u32_e32 v124, -1, v124
	s_add_i32 s13, s13, 8
	s_add_i32 s12, s12, 8
	v_cmp_eq_u32_e32 vcc, 0, v124
	s_or_b64 s[0:1], vcc, s[0:1]
	s_waitcnt vmcnt(0) lgkmcnt(0)
	v_fmac_f64_e32 v[122:123], v[126:127], v[128:129]
	s_andn2_b64 exec, exec, s[0:1]
	s_cbranch_execnz .LBB58_523
; %bb.524:
	s_or_b64 exec, exec, s[0:1]
.LBB58_525:
	s_or_b64 exec, exec, s[8:9]
	v_mov_b32_e32 v124, 0
	ds_read_b64 v[124:125], v124 offset:40
	s_waitcnt lgkmcnt(0)
	v_mul_f64 v[122:123], v[122:123], v[124:125]
	scratch_store_dwordx2 off, v[122:123], off offset:40
.LBB58_526:
	s_or_b64 exec, exec, s[4:5]
	scratch_load_dwordx2 v[122:123], off, off offset:32
	v_cmp_lt_u32_e64 s[0:1], 4, v0
	s_waitcnt vmcnt(0)
	ds_write_b64 v1, v[122:123]
	s_waitcnt lgkmcnt(0)
	; wave barrier
	s_and_saveexec_b64 s[4:5], s[0:1]
	s_cbranch_execz .LBB58_536
; %bb.527:
	s_andn2_b64 vcc, exec, s[6:7]
	s_cbranch_vccnz .LBB58_529
; %bb.528:
	scratch_load_dwordx2 v[122:123], v13, off
	ds_read_b64 v[124:125], v1
	s_waitcnt vmcnt(0) lgkmcnt(0)
	v_mul_f64 v[122:123], v[122:123], v[124:125]
	s_cbranch_execz .LBB58_530
	s_branch .LBB58_531
.LBB58_529:
                                        ; implicit-def: $vgpr122_vgpr123
.LBB58_530:
	ds_read_b64 v[122:123], v1
.LBB58_531:
	s_and_saveexec_b64 s[8:9], s[2:3]
	s_cbranch_execz .LBB58_535
; %bb.532:
	s_mov_b32 s12, 40
	v_add_u32_e32 v124, -5, v0
	s_movk_i32 s13, 0x208
	s_mov_b64 s[2:3], 0
.LBB58_533:                             ; =>This Inner Loop Header: Depth=1
	scratch_load_dwordx2 v[126:127], off, s12
	v_mov_b32_e32 v125, s13
	ds_read_b64 v[128:129], v125
	v_add_u32_e32 v124, -1, v124
	s_add_i32 s13, s13, 8
	s_add_i32 s12, s12, 8
	v_cmp_eq_u32_e32 vcc, 0, v124
	s_or_b64 s[2:3], vcc, s[2:3]
	s_waitcnt vmcnt(0) lgkmcnt(0)
	v_fmac_f64_e32 v[122:123], v[126:127], v[128:129]
	s_andn2_b64 exec, exec, s[2:3]
	s_cbranch_execnz .LBB58_533
; %bb.534:
	s_or_b64 exec, exec, s[2:3]
.LBB58_535:
	s_or_b64 exec, exec, s[8:9]
	v_mov_b32_e32 v124, 0
	ds_read_b64 v[124:125], v124 offset:32
	s_waitcnt lgkmcnt(0)
	v_mul_f64 v[122:123], v[122:123], v[124:125]
	scratch_store_dwordx2 off, v[122:123], off offset:32
.LBB58_536:
	s_or_b64 exec, exec, s[4:5]
	scratch_load_dwordx2 v[122:123], off, off offset:24
	v_cmp_lt_u32_e64 s[2:3], 3, v0
	s_waitcnt vmcnt(0)
	ds_write_b64 v1, v[122:123]
	s_waitcnt lgkmcnt(0)
	; wave barrier
	s_and_saveexec_b64 s[4:5], s[2:3]
	s_cbranch_execz .LBB58_546
; %bb.537:
	s_andn2_b64 vcc, exec, s[6:7]
	s_cbranch_vccnz .LBB58_539
; %bb.538:
	scratch_load_dwordx2 v[122:123], v13, off
	ds_read_b64 v[124:125], v1
	s_waitcnt vmcnt(0) lgkmcnt(0)
	v_mul_f64 v[122:123], v[122:123], v[124:125]
	s_cbranch_execz .LBB58_540
	s_branch .LBB58_541
.LBB58_539:
                                        ; implicit-def: $vgpr122_vgpr123
.LBB58_540:
	ds_read_b64 v[122:123], v1
.LBB58_541:
	s_and_saveexec_b64 s[8:9], s[0:1]
	s_cbranch_execz .LBB58_545
; %bb.542:
	v_add_u32_e32 v124, -4, v0
	s_movk_i32 s12, 0x200
	s_mov_b64 s[0:1], 0
.LBB58_543:                             ; =>This Inner Loop Header: Depth=1
	scratch_load_dwordx2 v[126:127], off, s11
	v_mov_b32_e32 v125, s12
	ds_read_b64 v[128:129], v125
	v_add_u32_e32 v124, -1, v124
	s_add_i32 s12, s12, 8
	s_add_i32 s11, s11, 8
	v_cmp_eq_u32_e32 vcc, 0, v124
	s_or_b64 s[0:1], vcc, s[0:1]
	s_waitcnt vmcnt(0) lgkmcnt(0)
	v_fmac_f64_e32 v[122:123], v[126:127], v[128:129]
	s_andn2_b64 exec, exec, s[0:1]
	s_cbranch_execnz .LBB58_543
; %bb.544:
	s_or_b64 exec, exec, s[0:1]
.LBB58_545:
	s_or_b64 exec, exec, s[8:9]
	v_mov_b32_e32 v124, 0
	ds_read_b64 v[124:125], v124 offset:24
	s_waitcnt lgkmcnt(0)
	v_mul_f64 v[122:123], v[122:123], v[124:125]
	scratch_store_dwordx2 off, v[122:123], off offset:24
.LBB58_546:
	s_or_b64 exec, exec, s[4:5]
	scratch_load_dwordx2 v[122:123], off, off offset:16
	v_cmp_lt_u32_e64 s[0:1], 2, v0
	s_waitcnt vmcnt(0)
	ds_write_b64 v1, v[122:123]
	s_waitcnt lgkmcnt(0)
	; wave barrier
	s_and_saveexec_b64 s[4:5], s[0:1]
	s_cbranch_execz .LBB58_556
; %bb.547:
	s_andn2_b64 vcc, exec, s[6:7]
	s_cbranch_vccnz .LBB58_549
; %bb.548:
	scratch_load_dwordx2 v[122:123], v13, off
	ds_read_b64 v[124:125], v1
	s_waitcnt vmcnt(0) lgkmcnt(0)
	v_mul_f64 v[122:123], v[122:123], v[124:125]
	s_cbranch_execz .LBB58_550
	s_branch .LBB58_551
.LBB58_549:
                                        ; implicit-def: $vgpr122_vgpr123
.LBB58_550:
	ds_read_b64 v[122:123], v1
.LBB58_551:
	s_and_saveexec_b64 s[8:9], s[2:3]
	s_cbranch_execz .LBB58_555
; %bb.552:
	s_mov_b32 s11, 24
	v_add_u32_e32 v124, -3, v0
	s_movk_i32 s12, 0x1f8
	s_mov_b64 s[2:3], 0
.LBB58_553:                             ; =>This Inner Loop Header: Depth=1
	scratch_load_dwordx2 v[126:127], off, s11
	v_mov_b32_e32 v125, s12
	ds_read_b64 v[128:129], v125
	v_add_u32_e32 v124, -1, v124
	s_add_i32 s12, s12, 8
	s_add_i32 s11, s11, 8
	v_cmp_eq_u32_e32 vcc, 0, v124
	s_or_b64 s[2:3], vcc, s[2:3]
	s_waitcnt vmcnt(0) lgkmcnt(0)
	v_fmac_f64_e32 v[122:123], v[126:127], v[128:129]
	s_andn2_b64 exec, exec, s[2:3]
	s_cbranch_execnz .LBB58_553
; %bb.554:
	s_or_b64 exec, exec, s[2:3]
.LBB58_555:
	s_or_b64 exec, exec, s[8:9]
	v_mov_b32_e32 v124, 0
	ds_read_b64 v[124:125], v124 offset:16
	s_waitcnt lgkmcnt(0)
	v_mul_f64 v[122:123], v[122:123], v[124:125]
	scratch_store_dwordx2 off, v[122:123], off offset:16
.LBB58_556:
	s_or_b64 exec, exec, s[4:5]
	scratch_load_dwordx2 v[122:123], off, off offset:8
	v_cmp_lt_u32_e64 s[2:3], 1, v0
	s_waitcnt vmcnt(0)
	ds_write_b64 v1, v[122:123]
	s_waitcnt lgkmcnt(0)
	; wave barrier
	s_and_saveexec_b64 s[4:5], s[2:3]
	s_cbranch_execz .LBB58_566
; %bb.557:
	s_andn2_b64 vcc, exec, s[6:7]
	s_cbranch_vccnz .LBB58_559
; %bb.558:
	scratch_load_dwordx2 v[122:123], v13, off
	ds_read_b64 v[124:125], v1
	s_waitcnt vmcnt(0) lgkmcnt(0)
	v_mul_f64 v[122:123], v[122:123], v[124:125]
	s_cbranch_execz .LBB58_560
	s_branch .LBB58_561
.LBB58_559:
                                        ; implicit-def: $vgpr122_vgpr123
.LBB58_560:
	ds_read_b64 v[122:123], v1
.LBB58_561:
	s_and_saveexec_b64 s[8:9], s[0:1]
	s_cbranch_execz .LBB58_565
; %bb.562:
	v_add_u32_e32 v124, -2, v0
	s_movk_i32 s11, 0x1f0
	s_mov_b64 s[0:1], 0
.LBB58_563:                             ; =>This Inner Loop Header: Depth=1
	scratch_load_dwordx2 v[126:127], off, s10
	v_mov_b32_e32 v125, s11
	ds_read_b64 v[128:129], v125
	v_add_u32_e32 v124, -1, v124
	s_add_i32 s11, s11, 8
	s_add_i32 s10, s10, 8
	v_cmp_eq_u32_e32 vcc, 0, v124
	s_or_b64 s[0:1], vcc, s[0:1]
	s_waitcnt vmcnt(0) lgkmcnt(0)
	v_fmac_f64_e32 v[122:123], v[126:127], v[128:129]
	s_andn2_b64 exec, exec, s[0:1]
	s_cbranch_execnz .LBB58_563
; %bb.564:
	s_or_b64 exec, exec, s[0:1]
.LBB58_565:
	s_or_b64 exec, exec, s[8:9]
	v_mov_b32_e32 v124, 0
	ds_read_b64 v[124:125], v124 offset:8
	s_waitcnt lgkmcnt(0)
	v_mul_f64 v[122:123], v[122:123], v[124:125]
	scratch_store_dwordx2 off, v[122:123], off offset:8
.LBB58_566:
	s_or_b64 exec, exec, s[4:5]
	scratch_load_dwordx2 v[122:123], off, off
	v_cmp_ne_u32_e32 vcc, 0, v0
	s_waitcnt vmcnt(0)
	ds_write_b64 v1, v[122:123]
	s_waitcnt lgkmcnt(0)
	; wave barrier
	s_and_saveexec_b64 s[0:1], vcc
	s_cbranch_execz .LBB58_576
; %bb.567:
	s_andn2_b64 vcc, exec, s[6:7]
	s_cbranch_vccnz .LBB58_569
; %bb.568:
	scratch_load_dwordx2 v[122:123], v13, off
	ds_read_b64 v[124:125], v1
	s_waitcnt vmcnt(0) lgkmcnt(0)
	v_mul_f64 v[122:123], v[122:123], v[124:125]
	s_cbranch_execz .LBB58_570
	s_branch .LBB58_571
.LBB58_569:
                                        ; implicit-def: $vgpr122_vgpr123
.LBB58_570:
	ds_read_b64 v[122:123], v1
.LBB58_571:
	s_and_saveexec_b64 s[4:5], s[2:3]
	s_cbranch_execz .LBB58_575
; %bb.572:
	s_or_b32 s8, 0, 8
	v_add_u32_e32 v124, -1, v0
	s_movk_i32 s9, 0x1e8
	s_mov_b64 s[2:3], 0
.LBB58_573:                             ; =>This Inner Loop Header: Depth=1
	scratch_load_dwordx2 v[126:127], off, s8
	v_mov_b32_e32 v125, s9
	ds_read_b64 v[128:129], v125
	v_add_u32_e32 v124, -1, v124
	s_add_i32 s9, s9, 8
	s_add_i32 s8, s8, 8
	v_cmp_eq_u32_e32 vcc, 0, v124
	s_or_b64 s[2:3], vcc, s[2:3]
	s_waitcnt vmcnt(0) lgkmcnt(0)
	v_fmac_f64_e32 v[122:123], v[126:127], v[128:129]
	s_andn2_b64 exec, exec, s[2:3]
	s_cbranch_execnz .LBB58_573
; %bb.574:
	s_or_b64 exec, exec, s[2:3]
.LBB58_575:
	s_or_b64 exec, exec, s[4:5]
	v_mov_b32_e32 v124, 0
	ds_read_b64 v[124:125], v124
	s_waitcnt lgkmcnt(0)
	v_mul_f64 v[122:123], v[122:123], v[124:125]
	scratch_store_dwordx2 off, v[122:123], off
.LBB58_576:
	s_or_b64 exec, exec, s[0:1]
	s_mov_b64 s[0:1], 0
.LBB58_577:
	s_and_b64 vcc, exec, s[0:1]
	s_cbranch_vccz .LBB58_1149
; %bb.578:
	scratch_load_dwordx2 v[122:123], off, off offset:8
	v_cmp_eq_u32_e64 s[2:3], 0, v0
	s_waitcnt vmcnt(0)
	ds_write_b64 v1, v[122:123]
	s_waitcnt lgkmcnt(0)
	; wave barrier
	s_and_saveexec_b64 s[0:1], s[2:3]
	s_cbranch_execz .LBB58_584
; %bb.579:
	s_and_b64 vcc, exec, s[6:7]
	s_cbranch_vccz .LBB58_581
; %bb.580:
	scratch_load_dwordx2 v[122:123], v13, off
	ds_read_b64 v[124:125], v1
	s_waitcnt vmcnt(0) lgkmcnt(0)
	v_mul_f64 v[122:123], v[122:123], v[124:125]
	s_cbranch_execz .LBB58_582
	s_branch .LBB58_583
.LBB58_581:
                                        ; implicit-def: $vgpr122_vgpr123
.LBB58_582:
	ds_read_b64 v[122:123], v1
.LBB58_583:
	v_mov_b32_e32 v124, 0
	ds_read_b64 v[124:125], v124 offset:8
	s_waitcnt lgkmcnt(0)
	v_mul_f64 v[122:123], v[122:123], v[124:125]
	scratch_store_dwordx2 off, v[122:123], off offset:8
.LBB58_584:
	s_or_b64 exec, exec, s[0:1]
	scratch_load_dwordx2 v[122:123], off, off offset:16
	v_cndmask_b32_e64 v124, 0, 1, s[6:7]
	v_cmp_gt_u32_e32 vcc, 2, v0
	v_cmp_ne_u32_e64 s[0:1], 1, v124
	s_waitcnt vmcnt(0)
	ds_write_b64 v1, v[122:123]
	s_waitcnt lgkmcnt(0)
	; wave barrier
	s_and_saveexec_b64 s[4:5], vcc
	s_cbranch_execz .LBB58_590
; %bb.585:
	s_and_b64 vcc, exec, s[0:1]
	s_cbranch_vccnz .LBB58_587
; %bb.586:
	scratch_load_dwordx2 v[122:123], v13, off
	ds_read_b64 v[124:125], v1
	s_waitcnt vmcnt(0) lgkmcnt(0)
	v_mul_f64 v[122:123], v[122:123], v[124:125]
	s_cbranch_execz .LBB58_588
	s_branch .LBB58_589
.LBB58_587:
                                        ; implicit-def: $vgpr122_vgpr123
.LBB58_588:
	ds_read_b64 v[122:123], v1
.LBB58_589:
	scratch_load_dwordx2 v[128:129], off, off offset:8
	v_mov_b32_e32 v124, 0
	ds_read2_b64 v[124:127], v124 offset0:2 offset1:61
	s_waitcnt vmcnt(0) lgkmcnt(0)
	v_fma_f64 v[126:127], v[128:129], v[126:127], v[122:123]
	v_cndmask_b32_e64 v123, v123, v127, s[2:3]
	v_cndmask_b32_e64 v122, v122, v126, s[2:3]
	v_mul_f64 v[122:123], v[122:123], v[124:125]
	scratch_store_dwordx2 off, v[122:123], off offset:16
.LBB58_590:
	s_or_b64 exec, exec, s[4:5]
	scratch_load_dwordx2 v[122:123], off, off offset:24
	v_cmp_gt_u32_e32 vcc, 3, v0
	s_waitcnt vmcnt(0)
	ds_write_b64 v1, v[122:123]
	s_waitcnt lgkmcnt(0)
	; wave barrier
	s_and_saveexec_b64 s[4:5], vcc
	s_cbranch_execz .LBB58_598
; %bb.591:
	s_and_b64 vcc, exec, s[0:1]
	s_cbranch_vccnz .LBB58_593
; %bb.592:
	scratch_load_dwordx2 v[122:123], v13, off
	ds_read_b64 v[124:125], v1
	s_waitcnt vmcnt(0) lgkmcnt(0)
	v_mul_f64 v[122:123], v[122:123], v[124:125]
	s_cbranch_execz .LBB58_594
	s_branch .LBB58_595
.LBB58_593:
                                        ; implicit-def: $vgpr122_vgpr123
.LBB58_594:
	ds_read_b64 v[122:123], v1
.LBB58_595:
	v_cmp_ne_u32_e32 vcc, 2, v0
	s_and_saveexec_b64 s[6:7], vcc
	s_cbranch_execz .LBB58_597
; %bb.596:
	scratch_load_dwordx2 v[124:125], v13, off offset:8
	scratch_load_dwordx2 v[126:127], off, off offset:16
	ds_read_b64 v[128:129], v1 offset:8
	v_mov_b32_e32 v130, 0
	ds_read_b64 v[130:131], v130 offset:496
	s_waitcnt vmcnt(1) lgkmcnt(1)
	v_fmac_f64_e32 v[122:123], v[124:125], v[128:129]
	s_waitcnt vmcnt(0) lgkmcnt(0)
	v_fma_f64 v[124:125], v[126:127], v[130:131], v[122:123]
	v_cndmask_b32_e64 v123, v123, v125, s[2:3]
	v_cndmask_b32_e64 v122, v122, v124, s[2:3]
.LBB58_597:
	s_or_b64 exec, exec, s[6:7]
	v_mov_b32_e32 v124, 0
	ds_read_b64 v[124:125], v124 offset:24
	s_waitcnt lgkmcnt(0)
	v_mul_f64 v[122:123], v[122:123], v[124:125]
	scratch_store_dwordx2 off, v[122:123], off offset:24
.LBB58_598:
	s_or_b64 exec, exec, s[4:5]
	scratch_load_dwordx2 v[122:123], off, off offset:32
	v_cmp_gt_u32_e32 vcc, 4, v0
	s_waitcnt vmcnt(0)
	ds_write_b64 v1, v[122:123]
	s_waitcnt lgkmcnt(0)
	; wave barrier
	s_and_saveexec_b64 s[2:3], vcc
	s_cbranch_execz .LBB58_608
; %bb.599:
	s_and_b64 vcc, exec, s[0:1]
	s_cbranch_vccnz .LBB58_601
; %bb.600:
	scratch_load_dwordx2 v[122:123], v13, off
	ds_read_b64 v[124:125], v1
	s_waitcnt vmcnt(0) lgkmcnt(0)
	v_mul_f64 v[122:123], v[122:123], v[124:125]
	s_cbranch_execz .LBB58_602
	s_branch .LBB58_603
.LBB58_601:
                                        ; implicit-def: $vgpr122_vgpr123
.LBB58_602:
	ds_read_b64 v[122:123], v1
.LBB58_603:
	v_cmp_ne_u32_e32 vcc, 3, v0
	s_and_saveexec_b64 s[4:5], vcc
	s_cbranch_execz .LBB58_607
; %bb.604:
	s_mov_b32 s6, 0
	v_add_u32_e32 v124, 0x1e8, v12
	v_add3_u32 v125, v12, s6, 8
	s_mov_b64 s[6:7], 0
	v_mov_b32_e32 v126, v0
.LBB58_605:                             ; =>This Inner Loop Header: Depth=1
	scratch_load_dwordx2 v[128:129], v125, off
	ds_read_b64 v[130:131], v124
	v_add_u32_e32 v126, 1, v126
	v_cmp_lt_u32_e32 vcc, 2, v126
	v_add_u32_e32 v124, 8, v124
	v_add_u32_e32 v125, 8, v125
	s_or_b64 s[6:7], vcc, s[6:7]
	s_waitcnt vmcnt(0) lgkmcnt(0)
	v_fmac_f64_e32 v[122:123], v[128:129], v[130:131]
	s_andn2_b64 exec, exec, s[6:7]
	s_cbranch_execnz .LBB58_605
; %bb.606:
	s_or_b64 exec, exec, s[6:7]
.LBB58_607:
	s_or_b64 exec, exec, s[4:5]
	v_mov_b32_e32 v124, 0
	ds_read_b64 v[124:125], v124 offset:32
	s_waitcnt lgkmcnt(0)
	v_mul_f64 v[122:123], v[122:123], v[124:125]
	scratch_store_dwordx2 off, v[122:123], off offset:32
.LBB58_608:
	s_or_b64 exec, exec, s[2:3]
	scratch_load_dwordx2 v[122:123], off, off offset:40
	v_cmp_gt_u32_e32 vcc, 5, v0
	s_waitcnt vmcnt(0)
	ds_write_b64 v1, v[122:123]
	s_waitcnt lgkmcnt(0)
	; wave barrier
	s_and_saveexec_b64 s[2:3], vcc
	s_cbranch_execz .LBB58_618
; %bb.609:
	s_and_b64 vcc, exec, s[0:1]
	s_cbranch_vccnz .LBB58_611
; %bb.610:
	scratch_load_dwordx2 v[122:123], v13, off
	ds_read_b64 v[124:125], v1
	s_waitcnt vmcnt(0) lgkmcnt(0)
	v_mul_f64 v[122:123], v[122:123], v[124:125]
	s_cbranch_execz .LBB58_612
	s_branch .LBB58_613
.LBB58_611:
                                        ; implicit-def: $vgpr122_vgpr123
.LBB58_612:
	ds_read_b64 v[122:123], v1
.LBB58_613:
	v_cmp_ne_u32_e32 vcc, 4, v0
	s_and_saveexec_b64 s[4:5], vcc
	s_cbranch_execz .LBB58_617
; %bb.614:
	s_mov_b32 s6, 0
	v_add_u32_e32 v124, 0x1e8, v12
	v_add3_u32 v125, v12, s6, 8
	s_mov_b64 s[6:7], 0
	v_mov_b32_e32 v126, v0
.LBB58_615:                             ; =>This Inner Loop Header: Depth=1
	scratch_load_dwordx2 v[128:129], v125, off
	ds_read_b64 v[130:131], v124
	v_add_u32_e32 v126, 1, v126
	v_cmp_lt_u32_e32 vcc, 3, v126
	v_add_u32_e32 v124, 8, v124
	v_add_u32_e32 v125, 8, v125
	s_or_b64 s[6:7], vcc, s[6:7]
	s_waitcnt vmcnt(0) lgkmcnt(0)
	v_fmac_f64_e32 v[122:123], v[128:129], v[130:131]
	s_andn2_b64 exec, exec, s[6:7]
	s_cbranch_execnz .LBB58_615
; %bb.616:
	s_or_b64 exec, exec, s[6:7]
.LBB58_617:
	s_or_b64 exec, exec, s[4:5]
	v_mov_b32_e32 v124, 0
	ds_read_b64 v[124:125], v124 offset:40
	s_waitcnt lgkmcnt(0)
	v_mul_f64 v[122:123], v[122:123], v[124:125]
	scratch_store_dwordx2 off, v[122:123], off offset:40
.LBB58_618:
	;; [unrolled: 55-line block ×40, first 2 shown]
	s_or_b64 exec, exec, s[2:3]
	scratch_load_dwordx2 v[122:123], off, off offset:352
	v_cmp_gt_u32_e32 vcc, 44, v0
	s_waitcnt vmcnt(0)
	ds_write_b64 v1, v[122:123]
	s_waitcnt lgkmcnt(0)
	; wave barrier
	s_and_saveexec_b64 s[2:3], vcc
	s_cbranch_execz .LBB58_1008
; %bb.999:
	s_and_b64 vcc, exec, s[0:1]
	s_cbranch_vccnz .LBB58_1001
; %bb.1000:
	scratch_load_dwordx2 v[122:123], v13, off
	ds_read_b64 v[124:125], v1
	s_waitcnt vmcnt(0) lgkmcnt(0)
	v_mul_f64 v[122:123], v[122:123], v[124:125]
	s_cbranch_execz .LBB58_1002
	s_branch .LBB58_1003
.LBB58_1001:
                                        ; implicit-def: $vgpr122_vgpr123
.LBB58_1002:
	ds_read_b64 v[122:123], v1
.LBB58_1003:
	v_cmp_ne_u32_e32 vcc, 43, v0
	s_and_saveexec_b64 s[4:5], vcc
	s_cbranch_execz .LBB58_1007
; %bb.1004:
	s_mov_b32 s6, 0
	v_add_u32_e32 v124, 0x1e8, v12
	v_add3_u32 v125, v12, s6, 8
	s_mov_b64 s[6:7], 0
	v_mov_b32_e32 v126, v0
.LBB58_1005:                            ; =>This Inner Loop Header: Depth=1
	scratch_load_dwordx2 v[128:129], v125, off
	ds_read_b64 v[130:131], v124
	v_add_u32_e32 v126, 1, v126
	v_cmp_lt_u32_e32 vcc, 42, v126
	v_add_u32_e32 v124, 8, v124
	v_add_u32_e32 v125, 8, v125
	s_or_b64 s[6:7], vcc, s[6:7]
	s_waitcnt vmcnt(0) lgkmcnt(0)
	v_fmac_f64_e32 v[122:123], v[128:129], v[130:131]
	s_andn2_b64 exec, exec, s[6:7]
	s_cbranch_execnz .LBB58_1005
; %bb.1006:
	s_or_b64 exec, exec, s[6:7]
.LBB58_1007:
	s_or_b64 exec, exec, s[4:5]
	v_mov_b32_e32 v124, 0
	ds_read_b64 v[124:125], v124 offset:352
	s_waitcnt lgkmcnt(0)
	v_mul_f64 v[122:123], v[122:123], v[124:125]
	scratch_store_dwordx2 off, v[122:123], off offset:352
.LBB58_1008:
	s_or_b64 exec, exec, s[2:3]
	scratch_load_dwordx2 v[122:123], off, off offset:360
	v_cmp_gt_u32_e32 vcc, 45, v0
	s_waitcnt vmcnt(0)
	ds_write_b64 v1, v[122:123]
	s_waitcnt lgkmcnt(0)
	; wave barrier
	s_and_saveexec_b64 s[2:3], vcc
	s_cbranch_execz .LBB58_1018
; %bb.1009:
	s_and_b64 vcc, exec, s[0:1]
	s_cbranch_vccnz .LBB58_1011
; %bb.1010:
	scratch_load_dwordx2 v[122:123], v13, off
	ds_read_b64 v[124:125], v1
	s_waitcnt vmcnt(0) lgkmcnt(0)
	v_mul_f64 v[122:123], v[122:123], v[124:125]
	s_cbranch_execz .LBB58_1012
	s_branch .LBB58_1013
.LBB58_1011:
                                        ; implicit-def: $vgpr122_vgpr123
.LBB58_1012:
	ds_read_b64 v[122:123], v1
.LBB58_1013:
	v_cmp_ne_u32_e32 vcc, 44, v0
	s_and_saveexec_b64 s[4:5], vcc
	s_cbranch_execz .LBB58_1017
; %bb.1014:
	s_mov_b32 s6, 0
	v_add_u32_e32 v124, 0x1e8, v12
	v_add3_u32 v125, v12, s6, 8
	s_mov_b64 s[6:7], 0
	v_mov_b32_e32 v126, v0
.LBB58_1015:                            ; =>This Inner Loop Header: Depth=1
	scratch_load_dwordx2 v[128:129], v125, off
	ds_read_b64 v[130:131], v124
	v_add_u32_e32 v126, 1, v126
	v_cmp_lt_u32_e32 vcc, 43, v126
	v_add_u32_e32 v124, 8, v124
	v_add_u32_e32 v125, 8, v125
	s_or_b64 s[6:7], vcc, s[6:7]
	s_waitcnt vmcnt(0) lgkmcnt(0)
	v_fmac_f64_e32 v[122:123], v[128:129], v[130:131]
	s_andn2_b64 exec, exec, s[6:7]
	s_cbranch_execnz .LBB58_1015
; %bb.1016:
	s_or_b64 exec, exec, s[6:7]
.LBB58_1017:
	s_or_b64 exec, exec, s[4:5]
	v_mov_b32_e32 v124, 0
	ds_read_b64 v[124:125], v124 offset:360
	s_waitcnt lgkmcnt(0)
	v_mul_f64 v[122:123], v[122:123], v[124:125]
	scratch_store_dwordx2 off, v[122:123], off offset:360
.LBB58_1018:
	;; [unrolled: 55-line block ×13, first 2 shown]
	s_or_b64 exec, exec, s[2:3]
	scratch_load_dwordx2 v[122:123], off, off offset:456
	v_cmp_gt_u32_e64 s[2:3], 57, v0
	s_waitcnt vmcnt(0)
	ds_write_b64 v1, v[122:123]
	s_waitcnt lgkmcnt(0)
	; wave barrier
	s_and_saveexec_b64 s[4:5], s[2:3]
	s_cbranch_execz .LBB58_1138
; %bb.1129:
	s_and_b64 vcc, exec, s[0:1]
	s_cbranch_vccnz .LBB58_1131
; %bb.1130:
	scratch_load_dwordx2 v[122:123], v13, off
	ds_read_b64 v[124:125], v1
	s_waitcnt vmcnt(0) lgkmcnt(0)
	v_mul_f64 v[122:123], v[122:123], v[124:125]
	s_cbranch_execz .LBB58_1132
	s_branch .LBB58_1133
.LBB58_1131:
                                        ; implicit-def: $vgpr122_vgpr123
.LBB58_1132:
	ds_read_b64 v[122:123], v1
.LBB58_1133:
	v_cmp_ne_u32_e32 vcc, 56, v0
	s_and_saveexec_b64 s[6:7], vcc
	s_cbranch_execz .LBB58_1137
; %bb.1134:
	s_mov_b32 s8, 0
	v_add_u32_e32 v124, 0x1e8, v12
	v_add3_u32 v125, v12, s8, 8
	s_mov_b64 s[8:9], 0
	v_mov_b32_e32 v126, v0
.LBB58_1135:                            ; =>This Inner Loop Header: Depth=1
	scratch_load_dwordx2 v[128:129], v125, off
	ds_read_b64 v[130:131], v124
	v_add_u32_e32 v126, 1, v126
	v_cmp_lt_u32_e32 vcc, 55, v126
	v_add_u32_e32 v124, 8, v124
	v_add_u32_e32 v125, 8, v125
	s_or_b64 s[8:9], vcc, s[8:9]
	s_waitcnt vmcnt(0) lgkmcnt(0)
	v_fmac_f64_e32 v[122:123], v[128:129], v[130:131]
	s_andn2_b64 exec, exec, s[8:9]
	s_cbranch_execnz .LBB58_1135
; %bb.1136:
	s_or_b64 exec, exec, s[8:9]
.LBB58_1137:
	s_or_b64 exec, exec, s[6:7]
	v_mov_b32_e32 v124, 0
	ds_read_b64 v[124:125], v124 offset:456
	s_waitcnt lgkmcnt(0)
	v_mul_f64 v[122:123], v[122:123], v[124:125]
	scratch_store_dwordx2 off, v[122:123], off offset:456
.LBB58_1138:
	s_or_b64 exec, exec, s[4:5]
	scratch_load_dwordx2 v[122:123], off, off offset:464
	v_cmp_ne_u32_e32 vcc, 58, v0
	s_waitcnt vmcnt(0)
	ds_write_b64 v1, v[122:123]
	s_waitcnt lgkmcnt(0)
	; wave barrier
	s_and_saveexec_b64 s[4:5], vcc
	s_cbranch_execz .LBB58_1148
; %bb.1139:
	s_and_b64 vcc, exec, s[0:1]
	s_cbranch_vccnz .LBB58_1141
; %bb.1140:
	scratch_load_dwordx2 v[122:123], v13, off
	ds_read_b64 v[124:125], v1
	s_waitcnt vmcnt(0) lgkmcnt(0)
	v_mul_f64 v[122:123], v[122:123], v[124:125]
	s_cbranch_execz .LBB58_1142
	s_branch .LBB58_1143
.LBB58_1141:
                                        ; implicit-def: $vgpr122_vgpr123
.LBB58_1142:
	ds_read_b64 v[122:123], v1
.LBB58_1143:
	s_and_saveexec_b64 s[0:1], s[2:3]
	s_cbranch_execz .LBB58_1147
; %bb.1144:
	s_mov_b32 s2, 0
	v_add_u32_e32 v1, 0x1e8, v12
	v_add3_u32 v12, v12, s2, 8
	s_mov_b64 s[2:3], 0
.LBB58_1145:                            ; =>This Inner Loop Header: Depth=1
	scratch_load_dwordx2 v[124:125], v12, off
	ds_read_b64 v[126:127], v1
	v_add_u32_e32 v0, 1, v0
	v_cmp_lt_u32_e32 vcc, 56, v0
	v_add_u32_e32 v1, 8, v1
	v_add_u32_e32 v12, 8, v12
	s_or_b64 s[2:3], vcc, s[2:3]
	s_waitcnt vmcnt(0) lgkmcnt(0)
	v_fmac_f64_e32 v[122:123], v[124:125], v[126:127]
	s_andn2_b64 exec, exec, s[2:3]
	s_cbranch_execnz .LBB58_1145
; %bb.1146:
	s_or_b64 exec, exec, s[2:3]
.LBB58_1147:
	s_or_b64 exec, exec, s[0:1]
	v_mov_b32_e32 v0, 0
	ds_read_b64 v[0:1], v0 offset:464
	s_waitcnt lgkmcnt(0)
	v_mul_f64 v[0:1], v[122:123], v[0:1]
	scratch_store_dwordx2 off, v[0:1], off offset:464
.LBB58_1148:
	s_or_b64 exec, exec, s[4:5]
.LBB58_1149:
	scratch_load_dwordx4 v[122:125], off, off
	s_waitcnt vmcnt(0)
	global_store_dwordx2 v[2:3], v[122:123], off
	global_store_dwordx2 v[4:5], v[124:125], off
	scratch_load_dwordx4 v[0:3], off, off offset:16
	s_waitcnt vmcnt(0)
	global_store_dwordx2 v[6:7], v[0:1], off
	global_store_dwordx2 v[8:9], v[2:3], off
	scratch_load_dwordx4 v[0:3], off, off offset:32
	;; [unrolled: 4-line block ×28, first 2 shown]
	s_waitcnt vmcnt(0)
	global_store_dwordx2 v[118:119], v[0:1], off
	global_store_dwordx2 v[120:121], v[2:3], off
	scratch_load_dwordx2 v[0:1], off, off offset:464
	s_waitcnt vmcnt(0)
	global_store_dwordx2 v[110:111], v[0:1], off
.LBB58_1150:
	s_endpgm
	.section	.rodata,"a",@progbits
	.p2align	6, 0x0
	.amdhsa_kernel _ZN9rocsolver6v33100L18trti2_kernel_smallILi59EdPdEEv13rocblas_fill_17rocblas_diagonal_T1_iil
		.amdhsa_group_segment_fixed_size 952
		.amdhsa_private_segment_fixed_size 480
		.amdhsa_kernarg_size 32
		.amdhsa_user_sgpr_count 2
		.amdhsa_user_sgpr_dispatch_ptr 0
		.amdhsa_user_sgpr_queue_ptr 0
		.amdhsa_user_sgpr_kernarg_segment_ptr 1
		.amdhsa_user_sgpr_dispatch_id 0
		.amdhsa_user_sgpr_kernarg_preload_length 0
		.amdhsa_user_sgpr_kernarg_preload_offset 0
		.amdhsa_user_sgpr_private_segment_size 0
		.amdhsa_uses_dynamic_stack 0
		.amdhsa_enable_private_segment 1
		.amdhsa_system_sgpr_workgroup_id_x 1
		.amdhsa_system_sgpr_workgroup_id_y 0
		.amdhsa_system_sgpr_workgroup_id_z 0
		.amdhsa_system_sgpr_workgroup_info 0
		.amdhsa_system_vgpr_workitem_id 0
		.amdhsa_next_free_vgpr 132
		.amdhsa_next_free_sgpr 40
		.amdhsa_accum_offset 132
		.amdhsa_reserve_vcc 1
		.amdhsa_float_round_mode_32 0
		.amdhsa_float_round_mode_16_64 0
		.amdhsa_float_denorm_mode_32 3
		.amdhsa_float_denorm_mode_16_64 3
		.amdhsa_dx10_clamp 1
		.amdhsa_ieee_mode 1
		.amdhsa_fp16_overflow 0
		.amdhsa_tg_split 0
		.amdhsa_exception_fp_ieee_invalid_op 0
		.amdhsa_exception_fp_denorm_src 0
		.amdhsa_exception_fp_ieee_div_zero 0
		.amdhsa_exception_fp_ieee_overflow 0
		.amdhsa_exception_fp_ieee_underflow 0
		.amdhsa_exception_fp_ieee_inexact 0
		.amdhsa_exception_int_div_zero 0
	.end_amdhsa_kernel
	.section	.text._ZN9rocsolver6v33100L18trti2_kernel_smallILi59EdPdEEv13rocblas_fill_17rocblas_diagonal_T1_iil,"axG",@progbits,_ZN9rocsolver6v33100L18trti2_kernel_smallILi59EdPdEEv13rocblas_fill_17rocblas_diagonal_T1_iil,comdat
.Lfunc_end58:
	.size	_ZN9rocsolver6v33100L18trti2_kernel_smallILi59EdPdEEv13rocblas_fill_17rocblas_diagonal_T1_iil, .Lfunc_end58-_ZN9rocsolver6v33100L18trti2_kernel_smallILi59EdPdEEv13rocblas_fill_17rocblas_diagonal_T1_iil
                                        ; -- End function
	.set _ZN9rocsolver6v33100L18trti2_kernel_smallILi59EdPdEEv13rocblas_fill_17rocblas_diagonal_T1_iil.num_vgpr, 132
	.set _ZN9rocsolver6v33100L18trti2_kernel_smallILi59EdPdEEv13rocblas_fill_17rocblas_diagonal_T1_iil.num_agpr, 0
	.set _ZN9rocsolver6v33100L18trti2_kernel_smallILi59EdPdEEv13rocblas_fill_17rocblas_diagonal_T1_iil.numbered_sgpr, 40
	.set _ZN9rocsolver6v33100L18trti2_kernel_smallILi59EdPdEEv13rocblas_fill_17rocblas_diagonal_T1_iil.num_named_barrier, 0
	.set _ZN9rocsolver6v33100L18trti2_kernel_smallILi59EdPdEEv13rocblas_fill_17rocblas_diagonal_T1_iil.private_seg_size, 480
	.set _ZN9rocsolver6v33100L18trti2_kernel_smallILi59EdPdEEv13rocblas_fill_17rocblas_diagonal_T1_iil.uses_vcc, 1
	.set _ZN9rocsolver6v33100L18trti2_kernel_smallILi59EdPdEEv13rocblas_fill_17rocblas_diagonal_T1_iil.uses_flat_scratch, 0
	.set _ZN9rocsolver6v33100L18trti2_kernel_smallILi59EdPdEEv13rocblas_fill_17rocblas_diagonal_T1_iil.has_dyn_sized_stack, 0
	.set _ZN9rocsolver6v33100L18trti2_kernel_smallILi59EdPdEEv13rocblas_fill_17rocblas_diagonal_T1_iil.has_recursion, 0
	.set _ZN9rocsolver6v33100L18trti2_kernel_smallILi59EdPdEEv13rocblas_fill_17rocblas_diagonal_T1_iil.has_indirect_call, 0
	.section	.AMDGPU.csdata,"",@progbits
; Kernel info:
; codeLenInByte = 28196
; TotalNumSgprs: 46
; NumVgprs: 132
; NumAgprs: 0
; TotalNumVgprs: 132
; ScratchSize: 480
; MemoryBound: 0
; FloatMode: 240
; IeeeMode: 1
; LDSByteSize: 952 bytes/workgroup (compile time only)
; SGPRBlocks: 5
; VGPRBlocks: 16
; NumSGPRsForWavesPerEU: 46
; NumVGPRsForWavesPerEU: 132
; AccumOffset: 132
; Occupancy: 3
; WaveLimiterHint : 0
; COMPUTE_PGM_RSRC2:SCRATCH_EN: 1
; COMPUTE_PGM_RSRC2:USER_SGPR: 2
; COMPUTE_PGM_RSRC2:TRAP_HANDLER: 0
; COMPUTE_PGM_RSRC2:TGID_X_EN: 1
; COMPUTE_PGM_RSRC2:TGID_Y_EN: 0
; COMPUTE_PGM_RSRC2:TGID_Z_EN: 0
; COMPUTE_PGM_RSRC2:TIDIG_COMP_CNT: 0
; COMPUTE_PGM_RSRC3_GFX90A:ACCUM_OFFSET: 32
; COMPUTE_PGM_RSRC3_GFX90A:TG_SPLIT: 0
	.section	.text._ZN9rocsolver6v33100L18trti2_kernel_smallILi60EdPdEEv13rocblas_fill_17rocblas_diagonal_T1_iil,"axG",@progbits,_ZN9rocsolver6v33100L18trti2_kernel_smallILi60EdPdEEv13rocblas_fill_17rocblas_diagonal_T1_iil,comdat
	.globl	_ZN9rocsolver6v33100L18trti2_kernel_smallILi60EdPdEEv13rocblas_fill_17rocblas_diagonal_T1_iil ; -- Begin function _ZN9rocsolver6v33100L18trti2_kernel_smallILi60EdPdEEv13rocblas_fill_17rocblas_diagonal_T1_iil
	.p2align	8
	.type	_ZN9rocsolver6v33100L18trti2_kernel_smallILi60EdPdEEv13rocblas_fill_17rocblas_diagonal_T1_iil,@function
_ZN9rocsolver6v33100L18trti2_kernel_smallILi60EdPdEEv13rocblas_fill_17rocblas_diagonal_T1_iil: ; @_ZN9rocsolver6v33100L18trti2_kernel_smallILi60EdPdEEv13rocblas_fill_17rocblas_diagonal_T1_iil
; %bb.0:
	v_cmp_gt_u32_e32 vcc, 60, v0
	s_and_saveexec_b64 s[4:5], vcc
	s_cbranch_execz .LBB59_1170
; %bb.1:
	s_load_dwordx8 s[4:11], s[0:1], 0x0
	s_ashr_i32 s3, s2, 31
	v_lshlrev_b32_e32 v16, 3, v0
	v_mov_b32_e32 v17, 0
	s_waitcnt lgkmcnt(0)
	s_ashr_i32 s1, s8, 31
	s_mov_b32 s0, s8
	s_mul_hi_u32 s8, s10, s2
	s_mul_i32 s3, s10, s3
	s_add_i32 s3, s8, s3
	s_mul_i32 s8, s11, s2
	s_add_i32 s3, s3, s8
	s_mul_i32 s2, s10, s2
	s_lshl_b64 s[2:3], s[2:3], 3
	s_add_u32 s2, s6, s2
	s_addc_u32 s3, s7, s3
	s_lshl_b64 s[0:1], s[0:1], 3
	s_add_u32 s0, s2, s0
	s_addc_u32 s1, s3, s1
	v_lshl_add_u64 v[2:3], s[0:1], 0, v[16:17]
	s_ashr_i32 s3, s9, 31
	s_mov_b32 s2, s9
	v_lshl_add_u64 v[4:5], s[2:3], 3, v[2:3]
	global_load_dwordx2 v[6:7], v16, s[0:1]
	global_load_dwordx2 v[8:9], v[4:5], off
	s_add_i32 s2, s9, s9
	s_cmpk_lg_i32 s5, 0x84
	s_cselect_b64 s[6:7], -1, 0
	s_cmpk_eq_i32 s5, 0x84
	s_waitcnt vmcnt(0)
	scratch_store_dwordx4 off, v[6:9], off
	s_nop 1
	v_add_u32_e32 v8, s2, v0
	v_add_u32_e32 v10, s9, v8
	v_ashrrev_i32_e32 v9, 31, v8
	v_ashrrev_i32_e32 v11, 31, v10
	v_lshl_add_u64 v[6:7], v[8:9], 3, s[0:1]
	v_lshl_add_u64 v[8:9], v[10:11], 3, s[0:1]
	global_load_dwordx2 v[12:13], v[6:7], off
	global_load_dwordx2 v[14:15], v[8:9], off
	s_waitcnt vmcnt(0)
	scratch_store_dwordx4 off, v[12:15], off offset:16
	s_nop 1
	v_add_u32_e32 v12, s9, v10
	v_add_u32_e32 v14, s9, v12
	v_ashrrev_i32_e32 v13, 31, v12
	v_ashrrev_i32_e32 v15, 31, v14
	v_lshl_add_u64 v[10:11], v[12:13], 3, s[0:1]
	v_lshl_add_u64 v[12:13], v[14:15], 3, s[0:1]
	global_load_dwordx2 v[18:19], v[10:11], off
	global_load_dwordx2 v[20:21], v[12:13], off
	s_waitcnt vmcnt(0)
	scratch_store_dwordx4 off, v[18:21], off offset:32
	;; [unrolled: 11-line block ×23, first 2 shown]
	s_nop 1
	v_add_u32_e32 v102, s9, v100
	v_ashrrev_i32_e32 v103, 31, v102
	v_lshl_add_u64 v[100:101], v[102:103], 3, s[0:1]
	v_add_u32_e32 v102, s9, v102
	v_ashrrev_i32_e32 v103, 31, v102
	v_lshl_add_u64 v[104:105], v[102:103], 3, s[0:1]
	global_load_dwordx2 v[106:107], v[100:101], off
	global_load_dwordx2 v[108:109], v[104:105], off
	v_add_u32_e32 v102, s9, v102
	v_ashrrev_i32_e32 v103, 31, v102
	s_waitcnt vmcnt(0)
	scratch_store_dwordx4 off, v[106:109], off offset:384
	s_nop 1
	v_lshl_add_u64 v[108:109], v[102:103], 3, s[0:1]
	v_add_u32_e32 v102, s9, v102
	v_ashrrev_i32_e32 v103, 31, v102
	v_lshl_add_u64 v[110:111], v[102:103], 3, s[0:1]
	global_load_dwordx2 v[112:113], v[108:109], off
	global_load_dwordx2 v[114:115], v[110:111], off
	v_add_u32_e32 v102, s9, v102
	v_ashrrev_i32_e32 v103, 31, v102
	s_waitcnt vmcnt(0)
	scratch_store_dwordx4 off, v[112:115], off offset:400
	s_nop 1
	;; [unrolled: 11-line block ×4, first 2 shown]
	v_lshl_add_u64 v[120:121], v[102:103], 3, s[0:1]
	v_add_u32_e32 v102, s9, v102
	v_ashrrev_i32_e32 v103, 31, v102
	v_lshl_add_u64 v[122:123], v[102:103], 3, s[0:1]
	global_load_dwordx2 v[124:125], v[120:121], off
	global_load_dwordx2 v[126:127], v[122:123], off
	v_add_u32_e32 v106, s9, v102
	v_ashrrev_i32_e32 v107, 31, v106
	v_lshl_add_u64 v[102:103], v[106:107], 3, s[0:1]
	v_add_u32_e32 v106, s9, v106
	v_ashrrev_i32_e32 v107, 31, v106
	v_lshl_add_u64 v[106:107], v[106:107], 3, s[0:1]
	s_waitcnt vmcnt(0)
	scratch_store_dwordx4 off, v[124:127], off offset:448
	global_load_dwordx2 v[124:125], v[102:103], off
	s_nop 0
	global_load_dwordx2 v[126:127], v[106:107], off
	s_waitcnt vmcnt(0)
	scratch_store_dwordx4 off, v[124:127], off offset:464
	s_nop 1
	v_mov_b64_e32 v[124:125], -1.0
	s_cbranch_scc1 .LBB59_3
; %bb.2:
	scratch_load_dwordx2 v[124:125], v16, off
	s_waitcnt vmcnt(0)
	v_div_scale_f64 v[126:127], s[0:1], v[124:125], v[124:125], 1.0
	v_rcp_f64_e32 v[128:129], v[126:127]
	v_div_scale_f64 v[130:131], vcc, 1.0, v[124:125], 1.0
	v_fma_f64 v[132:133], -v[126:127], v[128:129], 1.0
	v_fmac_f64_e32 v[128:129], v[128:129], v[132:133]
	v_fma_f64 v[132:133], -v[126:127], v[128:129], 1.0
	v_fmac_f64_e32 v[128:129], v[128:129], v[132:133]
	v_mul_f64 v[132:133], v[130:131], v[128:129]
	v_fma_f64 v[126:127], -v[126:127], v[132:133], v[130:131]
	v_div_fmas_f64 v[126:127], v[126:127], v[128:129], v[132:133]
	v_div_fixup_f64 v[124:125], v[126:127], v[124:125], 1.0
	scratch_store_dwordx2 v16, v[124:125], off
	v_xor_b32_e32 v125, 0x80000000, v125
.LBB59_3:
	s_cmpk_eq_i32 s4, 0x79
	v_add_u32_e32 v1, 0x1e0, v16
	v_mov_b32_e32 v17, v16
	s_mov_b64 s[0:1], -1
	ds_write_b64 v16, v[124:125]
	s_cbranch_scc1 .LBB59_587
; %bb.4:
	scratch_load_dwordx2 v[124:125], off, off offset:464
	s_movk_i32 s8, 0x50
	s_movk_i32 s9, 0x60
	;; [unrolled: 1-line block ×24, first 2 shown]
	v_cmp_eq_u32_e64 s[0:1], 59, v0
	s_waitcnt vmcnt(0)
	ds_write_b64 v1, v[124:125]
	s_waitcnt lgkmcnt(0)
	; wave barrier
	s_and_saveexec_b64 s[2:3], s[0:1]
	s_cbranch_execz .LBB59_10
; %bb.5:
	s_and_b64 vcc, exec, s[6:7]
	s_cbranch_vccz .LBB59_7
; %bb.6:
	scratch_load_dwordx2 v[124:125], v17, off
	ds_read_b64 v[126:127], v1
	s_waitcnt vmcnt(0) lgkmcnt(0)
	v_mul_f64 v[124:125], v[124:125], v[126:127]
	s_cbranch_execz .LBB59_8
	s_branch .LBB59_9
.LBB59_7:
                                        ; implicit-def: $vgpr124_vgpr125
.LBB59_8:
	ds_read_b64 v[124:125], v1
.LBB59_9:
	v_mov_b32_e32 v126, 0
	ds_read_b64 v[126:127], v126 offset:464
	s_waitcnt lgkmcnt(0)
	v_mul_f64 v[124:125], v[124:125], v[126:127]
	scratch_store_dwordx2 off, v[124:125], off offset:464
.LBB59_10:
	s_or_b64 exec, exec, s[2:3]
	scratch_load_dwordx2 v[124:125], off, off offset:456
	s_mov_b32 s10, 16
	s_mov_b32 s11, 32
	;; [unrolled: 1-line block ×6, first 2 shown]
	v_cmp_lt_u32_e64 s[2:3], 57, v0
	s_waitcnt vmcnt(0)
	ds_write_b64 v1, v[124:125]
	s_waitcnt lgkmcnt(0)
	; wave barrier
	s_and_saveexec_b64 s[4:5], s[2:3]
	s_cbranch_execz .LBB59_16
; %bb.11:
	s_andn2_b64 vcc, exec, s[6:7]
	s_cbranch_vccnz .LBB59_13
; %bb.12:
	scratch_load_dwordx2 v[124:125], v17, off
	ds_read_b64 v[126:127], v1
	s_waitcnt vmcnt(0) lgkmcnt(0)
	v_mul_f64 v[124:125], v[124:125], v[126:127]
	s_cbranch_execz .LBB59_14
	s_branch .LBB59_15
.LBB59_13:
                                        ; implicit-def: $vgpr124_vgpr125
.LBB59_14:
	ds_read_b64 v[124:125], v1
.LBB59_15:
	scratch_load_dwordx2 v[130:131], off, off offset:464
	v_mov_b32_e32 v126, 0
	ds_read2_b64 v[126:129], v126 offset0:57 offset1:118
	s_waitcnt vmcnt(0) lgkmcnt(0)
	v_fma_f64 v[128:129], v[130:131], v[128:129], v[124:125]
	v_cndmask_b32_e64 v125, v125, v129, s[0:1]
	v_cndmask_b32_e64 v124, v124, v128, s[0:1]
	v_mul_f64 v[124:125], v[124:125], v[126:127]
	scratch_store_dwordx2 off, v[124:125], off offset:456
.LBB59_16:
	s_or_b64 exec, exec, s[4:5]
	scratch_load_dwordx2 v[124:125], off, off offset:448
	v_cmp_lt_u32_e64 s[0:1], 56, v0
	s_waitcnt vmcnt(0)
	ds_write_b64 v1, v[124:125]
	s_waitcnt lgkmcnt(0)
	; wave barrier
	s_and_saveexec_b64 s[4:5], s[0:1]
	s_cbranch_execz .LBB59_26
; %bb.17:
	s_andn2_b64 vcc, exec, s[6:7]
	s_cbranch_vccnz .LBB59_19
; %bb.18:
	scratch_load_dwordx2 v[124:125], v17, off
	ds_read_b64 v[126:127], v1
	s_waitcnt vmcnt(0) lgkmcnt(0)
	v_mul_f64 v[124:125], v[124:125], v[126:127]
	s_cbranch_execz .LBB59_20
	s_branch .LBB59_21
.LBB59_19:
                                        ; implicit-def: $vgpr124_vgpr125
.LBB59_20:
	ds_read_b64 v[124:125], v1
.LBB59_21:
	s_and_saveexec_b64 s[8:9], s[2:3]
	s_cbranch_execz .LBB59_25
; %bb.22:
	s_movk_i32 s39, 0x1c8
	v_subrev_u32_e32 v126, 57, v0
	s_movk_i32 s40, 0x3a8
	s_mov_b64 s[2:3], 0
.LBB59_23:                              ; =>This Inner Loop Header: Depth=1
	scratch_load_dwordx2 v[128:129], off, s39
	v_mov_b32_e32 v127, s40
	ds_read_b64 v[130:131], v127
	v_add_u32_e32 v126, -1, v126
	s_add_i32 s40, s40, 8
	s_add_i32 s39, s39, 8
	v_cmp_eq_u32_e32 vcc, 0, v126
	s_or_b64 s[2:3], vcc, s[2:3]
	s_waitcnt vmcnt(0) lgkmcnt(0)
	v_fmac_f64_e32 v[124:125], v[128:129], v[130:131]
	s_andn2_b64 exec, exec, s[2:3]
	s_cbranch_execnz .LBB59_23
; %bb.24:
	s_or_b64 exec, exec, s[2:3]
.LBB59_25:
	s_or_b64 exec, exec, s[8:9]
	v_mov_b32_e32 v126, 0
	ds_read_b64 v[126:127], v126 offset:448
	s_waitcnt lgkmcnt(0)
	v_mul_f64 v[124:125], v[124:125], v[126:127]
	scratch_store_dwordx2 off, v[124:125], off offset:448
.LBB59_26:
	s_or_b64 exec, exec, s[4:5]
	scratch_load_dwordx2 v[124:125], off, off offset:440
	v_cmp_lt_u32_e64 s[2:3], 55, v0
	s_waitcnt vmcnt(0)
	ds_write_b64 v1, v[124:125]
	s_waitcnt lgkmcnt(0)
	; wave barrier
	s_and_saveexec_b64 s[4:5], s[2:3]
	s_cbranch_execz .LBB59_36
; %bb.27:
	s_andn2_b64 vcc, exec, s[6:7]
	s_cbranch_vccnz .LBB59_29
; %bb.28:
	scratch_load_dwordx2 v[124:125], v17, off
	ds_read_b64 v[126:127], v1
	s_waitcnt vmcnt(0) lgkmcnt(0)
	v_mul_f64 v[124:125], v[124:125], v[126:127]
	s_cbranch_execz .LBB59_30
	s_branch .LBB59_31
.LBB59_29:
                                        ; implicit-def: $vgpr124_vgpr125
.LBB59_30:
	ds_read_b64 v[124:125], v1
.LBB59_31:
	s_and_saveexec_b64 s[8:9], s[0:1]
	s_cbranch_execz .LBB59_35
; %bb.32:
	v_subrev_u32_e32 v126, 56, v0
	s_movk_i32 s39, 0x3a0
	s_mov_b64 s[0:1], 0
.LBB59_33:                              ; =>This Inner Loop Header: Depth=1
	scratch_load_dwordx2 v[128:129], off, s38
	v_mov_b32_e32 v127, s39
	ds_read_b64 v[130:131], v127
	v_add_u32_e32 v126, -1, v126
	s_add_i32 s39, s39, 8
	s_add_i32 s38, s38, 8
	v_cmp_eq_u32_e32 vcc, 0, v126
	s_or_b64 s[0:1], vcc, s[0:1]
	s_waitcnt vmcnt(0) lgkmcnt(0)
	v_fmac_f64_e32 v[124:125], v[128:129], v[130:131]
	s_andn2_b64 exec, exec, s[0:1]
	s_cbranch_execnz .LBB59_33
; %bb.34:
	s_or_b64 exec, exec, s[0:1]
.LBB59_35:
	s_or_b64 exec, exec, s[8:9]
	v_mov_b32_e32 v126, 0
	ds_read_b64 v[126:127], v126 offset:440
	s_waitcnt lgkmcnt(0)
	v_mul_f64 v[124:125], v[124:125], v[126:127]
	scratch_store_dwordx2 off, v[124:125], off offset:440
.LBB59_36:
	s_or_b64 exec, exec, s[4:5]
	scratch_load_dwordx2 v[124:125], off, off offset:432
	v_cmp_lt_u32_e64 s[0:1], 54, v0
	s_waitcnt vmcnt(0)
	ds_write_b64 v1, v[124:125]
	s_waitcnt lgkmcnt(0)
	; wave barrier
	s_and_saveexec_b64 s[4:5], s[0:1]
	s_cbranch_execz .LBB59_46
; %bb.37:
	s_andn2_b64 vcc, exec, s[6:7]
	s_cbranch_vccnz .LBB59_39
; %bb.38:
	scratch_load_dwordx2 v[124:125], v17, off
	ds_read_b64 v[126:127], v1
	s_waitcnt vmcnt(0) lgkmcnt(0)
	v_mul_f64 v[124:125], v[124:125], v[126:127]
	s_cbranch_execz .LBB59_40
	s_branch .LBB59_41
.LBB59_39:
                                        ; implicit-def: $vgpr124_vgpr125
.LBB59_40:
	ds_read_b64 v[124:125], v1
.LBB59_41:
	s_and_saveexec_b64 s[8:9], s[2:3]
	s_cbranch_execz .LBB59_45
; %bb.42:
	s_movk_i32 s38, 0x1b8
	v_subrev_u32_e32 v126, 55, v0
	s_movk_i32 s39, 0x398
	s_mov_b64 s[2:3], 0
.LBB59_43:                              ; =>This Inner Loop Header: Depth=1
	scratch_load_dwordx2 v[128:129], off, s38
	v_mov_b32_e32 v127, s39
	ds_read_b64 v[130:131], v127
	v_add_u32_e32 v126, -1, v126
	s_add_i32 s39, s39, 8
	s_add_i32 s38, s38, 8
	v_cmp_eq_u32_e32 vcc, 0, v126
	s_or_b64 s[2:3], vcc, s[2:3]
	s_waitcnt vmcnt(0) lgkmcnt(0)
	v_fmac_f64_e32 v[124:125], v[128:129], v[130:131]
	s_andn2_b64 exec, exec, s[2:3]
	s_cbranch_execnz .LBB59_43
; %bb.44:
	s_or_b64 exec, exec, s[2:3]
.LBB59_45:
	s_or_b64 exec, exec, s[8:9]
	v_mov_b32_e32 v126, 0
	ds_read_b64 v[126:127], v126 offset:432
	s_waitcnt lgkmcnt(0)
	v_mul_f64 v[124:125], v[124:125], v[126:127]
	scratch_store_dwordx2 off, v[124:125], off offset:432
.LBB59_46:
	s_or_b64 exec, exec, s[4:5]
	scratch_load_dwordx2 v[124:125], off, off offset:424
	v_cmp_lt_u32_e64 s[2:3], 53, v0
	s_waitcnt vmcnt(0)
	ds_write_b64 v1, v[124:125]
	s_waitcnt lgkmcnt(0)
	; wave barrier
	s_and_saveexec_b64 s[4:5], s[2:3]
	s_cbranch_execz .LBB59_56
; %bb.47:
	s_andn2_b64 vcc, exec, s[6:7]
	s_cbranch_vccnz .LBB59_49
; %bb.48:
	scratch_load_dwordx2 v[124:125], v17, off
	ds_read_b64 v[126:127], v1
	s_waitcnt vmcnt(0) lgkmcnt(0)
	v_mul_f64 v[124:125], v[124:125], v[126:127]
	s_cbranch_execz .LBB59_50
	s_branch .LBB59_51
.LBB59_49:
                                        ; implicit-def: $vgpr124_vgpr125
.LBB59_50:
	ds_read_b64 v[124:125], v1
.LBB59_51:
	s_and_saveexec_b64 s[8:9], s[0:1]
	s_cbranch_execz .LBB59_55
; %bb.52:
	v_subrev_u32_e32 v126, 54, v0
	s_movk_i32 s38, 0x390
	s_mov_b64 s[0:1], 0
.LBB59_53:                              ; =>This Inner Loop Header: Depth=1
	scratch_load_dwordx2 v[128:129], off, s37
	v_mov_b32_e32 v127, s38
	ds_read_b64 v[130:131], v127
	v_add_u32_e32 v126, -1, v126
	s_add_i32 s38, s38, 8
	s_add_i32 s37, s37, 8
	v_cmp_eq_u32_e32 vcc, 0, v126
	s_or_b64 s[0:1], vcc, s[0:1]
	s_waitcnt vmcnt(0) lgkmcnt(0)
	v_fmac_f64_e32 v[124:125], v[128:129], v[130:131]
	s_andn2_b64 exec, exec, s[0:1]
	s_cbranch_execnz .LBB59_53
; %bb.54:
	s_or_b64 exec, exec, s[0:1]
.LBB59_55:
	s_or_b64 exec, exec, s[8:9]
	v_mov_b32_e32 v126, 0
	ds_read_b64 v[126:127], v126 offset:424
	s_waitcnt lgkmcnt(0)
	v_mul_f64 v[124:125], v[124:125], v[126:127]
	scratch_store_dwordx2 off, v[124:125], off offset:424
.LBB59_56:
	s_or_b64 exec, exec, s[4:5]
	scratch_load_dwordx2 v[124:125], off, off offset:416
	v_cmp_lt_u32_e64 s[0:1], 52, v0
	s_waitcnt vmcnt(0)
	ds_write_b64 v1, v[124:125]
	s_waitcnt lgkmcnt(0)
	; wave barrier
	s_and_saveexec_b64 s[4:5], s[0:1]
	s_cbranch_execz .LBB59_66
; %bb.57:
	s_andn2_b64 vcc, exec, s[6:7]
	s_cbranch_vccnz .LBB59_59
; %bb.58:
	scratch_load_dwordx2 v[124:125], v17, off
	ds_read_b64 v[126:127], v1
	s_waitcnt vmcnt(0) lgkmcnt(0)
	v_mul_f64 v[124:125], v[124:125], v[126:127]
	s_cbranch_execz .LBB59_60
	s_branch .LBB59_61
.LBB59_59:
                                        ; implicit-def: $vgpr124_vgpr125
.LBB59_60:
	ds_read_b64 v[124:125], v1
.LBB59_61:
	s_and_saveexec_b64 s[8:9], s[2:3]
	s_cbranch_execz .LBB59_65
; %bb.62:
	s_movk_i32 s37, 0x1a8
	v_subrev_u32_e32 v126, 53, v0
	s_movk_i32 s38, 0x388
	s_mov_b64 s[2:3], 0
.LBB59_63:                              ; =>This Inner Loop Header: Depth=1
	scratch_load_dwordx2 v[128:129], off, s37
	v_mov_b32_e32 v127, s38
	ds_read_b64 v[130:131], v127
	v_add_u32_e32 v126, -1, v126
	s_add_i32 s38, s38, 8
	s_add_i32 s37, s37, 8
	v_cmp_eq_u32_e32 vcc, 0, v126
	s_or_b64 s[2:3], vcc, s[2:3]
	s_waitcnt vmcnt(0) lgkmcnt(0)
	v_fmac_f64_e32 v[124:125], v[128:129], v[130:131]
	s_andn2_b64 exec, exec, s[2:3]
	s_cbranch_execnz .LBB59_63
; %bb.64:
	s_or_b64 exec, exec, s[2:3]
.LBB59_65:
	s_or_b64 exec, exec, s[8:9]
	v_mov_b32_e32 v126, 0
	ds_read_b64 v[126:127], v126 offset:416
	s_waitcnt lgkmcnt(0)
	v_mul_f64 v[124:125], v[124:125], v[126:127]
	scratch_store_dwordx2 off, v[124:125], off offset:416
.LBB59_66:
	s_or_b64 exec, exec, s[4:5]
	scratch_load_dwordx2 v[124:125], off, off offset:408
	v_cmp_lt_u32_e64 s[2:3], 51, v0
	s_waitcnt vmcnt(0)
	ds_write_b64 v1, v[124:125]
	s_waitcnt lgkmcnt(0)
	; wave barrier
	s_and_saveexec_b64 s[4:5], s[2:3]
	s_cbranch_execz .LBB59_76
; %bb.67:
	s_andn2_b64 vcc, exec, s[6:7]
	s_cbranch_vccnz .LBB59_69
; %bb.68:
	scratch_load_dwordx2 v[124:125], v17, off
	ds_read_b64 v[126:127], v1
	s_waitcnt vmcnt(0) lgkmcnt(0)
	v_mul_f64 v[124:125], v[124:125], v[126:127]
	s_cbranch_execz .LBB59_70
	s_branch .LBB59_71
.LBB59_69:
                                        ; implicit-def: $vgpr124_vgpr125
.LBB59_70:
	ds_read_b64 v[124:125], v1
.LBB59_71:
	s_and_saveexec_b64 s[8:9], s[0:1]
	s_cbranch_execz .LBB59_75
; %bb.72:
	v_subrev_u32_e32 v126, 52, v0
	s_movk_i32 s37, 0x380
	s_mov_b64 s[0:1], 0
.LBB59_73:                              ; =>This Inner Loop Header: Depth=1
	scratch_load_dwordx2 v[128:129], off, s36
	v_mov_b32_e32 v127, s37
	ds_read_b64 v[130:131], v127
	v_add_u32_e32 v126, -1, v126
	s_add_i32 s37, s37, 8
	s_add_i32 s36, s36, 8
	v_cmp_eq_u32_e32 vcc, 0, v126
	s_or_b64 s[0:1], vcc, s[0:1]
	s_waitcnt vmcnt(0) lgkmcnt(0)
	v_fmac_f64_e32 v[124:125], v[128:129], v[130:131]
	s_andn2_b64 exec, exec, s[0:1]
	s_cbranch_execnz .LBB59_73
; %bb.74:
	s_or_b64 exec, exec, s[0:1]
.LBB59_75:
	s_or_b64 exec, exec, s[8:9]
	v_mov_b32_e32 v126, 0
	ds_read_b64 v[126:127], v126 offset:408
	s_waitcnt lgkmcnt(0)
	v_mul_f64 v[124:125], v[124:125], v[126:127]
	scratch_store_dwordx2 off, v[124:125], off offset:408
.LBB59_76:
	s_or_b64 exec, exec, s[4:5]
	scratch_load_dwordx2 v[124:125], off, off offset:400
	v_cmp_lt_u32_e64 s[0:1], 50, v0
	s_waitcnt vmcnt(0)
	ds_write_b64 v1, v[124:125]
	s_waitcnt lgkmcnt(0)
	; wave barrier
	s_and_saveexec_b64 s[4:5], s[0:1]
	s_cbranch_execz .LBB59_86
; %bb.77:
	s_andn2_b64 vcc, exec, s[6:7]
	s_cbranch_vccnz .LBB59_79
; %bb.78:
	scratch_load_dwordx2 v[124:125], v17, off
	ds_read_b64 v[126:127], v1
	s_waitcnt vmcnt(0) lgkmcnt(0)
	v_mul_f64 v[124:125], v[124:125], v[126:127]
	s_cbranch_execz .LBB59_80
	s_branch .LBB59_81
.LBB59_79:
                                        ; implicit-def: $vgpr124_vgpr125
.LBB59_80:
	ds_read_b64 v[124:125], v1
.LBB59_81:
	s_and_saveexec_b64 s[8:9], s[2:3]
	s_cbranch_execz .LBB59_85
; %bb.82:
	s_movk_i32 s36, 0x198
	v_subrev_u32_e32 v126, 51, v0
	s_movk_i32 s37, 0x378
	s_mov_b64 s[2:3], 0
.LBB59_83:                              ; =>This Inner Loop Header: Depth=1
	scratch_load_dwordx2 v[128:129], off, s36
	v_mov_b32_e32 v127, s37
	ds_read_b64 v[130:131], v127
	v_add_u32_e32 v126, -1, v126
	s_add_i32 s37, s37, 8
	s_add_i32 s36, s36, 8
	v_cmp_eq_u32_e32 vcc, 0, v126
	s_or_b64 s[2:3], vcc, s[2:3]
	s_waitcnt vmcnt(0) lgkmcnt(0)
	v_fmac_f64_e32 v[124:125], v[128:129], v[130:131]
	s_andn2_b64 exec, exec, s[2:3]
	s_cbranch_execnz .LBB59_83
; %bb.84:
	s_or_b64 exec, exec, s[2:3]
.LBB59_85:
	s_or_b64 exec, exec, s[8:9]
	v_mov_b32_e32 v126, 0
	ds_read_b64 v[126:127], v126 offset:400
	s_waitcnt lgkmcnt(0)
	v_mul_f64 v[124:125], v[124:125], v[126:127]
	scratch_store_dwordx2 off, v[124:125], off offset:400
.LBB59_86:
	s_or_b64 exec, exec, s[4:5]
	scratch_load_dwordx2 v[124:125], off, off offset:392
	v_cmp_lt_u32_e64 s[2:3], 49, v0
	s_waitcnt vmcnt(0)
	ds_write_b64 v1, v[124:125]
	s_waitcnt lgkmcnt(0)
	; wave barrier
	s_and_saveexec_b64 s[4:5], s[2:3]
	s_cbranch_execz .LBB59_96
; %bb.87:
	s_andn2_b64 vcc, exec, s[6:7]
	s_cbranch_vccnz .LBB59_89
; %bb.88:
	scratch_load_dwordx2 v[124:125], v17, off
	ds_read_b64 v[126:127], v1
	s_waitcnt vmcnt(0) lgkmcnt(0)
	v_mul_f64 v[124:125], v[124:125], v[126:127]
	s_cbranch_execz .LBB59_90
	s_branch .LBB59_91
.LBB59_89:
                                        ; implicit-def: $vgpr124_vgpr125
.LBB59_90:
	ds_read_b64 v[124:125], v1
.LBB59_91:
	s_and_saveexec_b64 s[8:9], s[0:1]
	s_cbranch_execz .LBB59_95
; %bb.92:
	v_subrev_u32_e32 v126, 50, v0
	s_movk_i32 s36, 0x370
	s_mov_b64 s[0:1], 0
.LBB59_93:                              ; =>This Inner Loop Header: Depth=1
	scratch_load_dwordx2 v[128:129], off, s35
	v_mov_b32_e32 v127, s36
	ds_read_b64 v[130:131], v127
	v_add_u32_e32 v126, -1, v126
	s_add_i32 s36, s36, 8
	s_add_i32 s35, s35, 8
	v_cmp_eq_u32_e32 vcc, 0, v126
	s_or_b64 s[0:1], vcc, s[0:1]
	s_waitcnt vmcnt(0) lgkmcnt(0)
	v_fmac_f64_e32 v[124:125], v[128:129], v[130:131]
	s_andn2_b64 exec, exec, s[0:1]
	s_cbranch_execnz .LBB59_93
; %bb.94:
	s_or_b64 exec, exec, s[0:1]
.LBB59_95:
	s_or_b64 exec, exec, s[8:9]
	v_mov_b32_e32 v126, 0
	ds_read_b64 v[126:127], v126 offset:392
	s_waitcnt lgkmcnt(0)
	v_mul_f64 v[124:125], v[124:125], v[126:127]
	scratch_store_dwordx2 off, v[124:125], off offset:392
.LBB59_96:
	s_or_b64 exec, exec, s[4:5]
	scratch_load_dwordx2 v[124:125], off, off offset:384
	v_cmp_lt_u32_e64 s[0:1], 48, v0
	s_waitcnt vmcnt(0)
	ds_write_b64 v1, v[124:125]
	s_waitcnt lgkmcnt(0)
	; wave barrier
	s_and_saveexec_b64 s[4:5], s[0:1]
	s_cbranch_execz .LBB59_106
; %bb.97:
	s_andn2_b64 vcc, exec, s[6:7]
	s_cbranch_vccnz .LBB59_99
; %bb.98:
	scratch_load_dwordx2 v[124:125], v17, off
	ds_read_b64 v[126:127], v1
	s_waitcnt vmcnt(0) lgkmcnt(0)
	v_mul_f64 v[124:125], v[124:125], v[126:127]
	s_cbranch_execz .LBB59_100
	s_branch .LBB59_101
.LBB59_99:
                                        ; implicit-def: $vgpr124_vgpr125
.LBB59_100:
	ds_read_b64 v[124:125], v1
.LBB59_101:
	s_and_saveexec_b64 s[8:9], s[2:3]
	s_cbranch_execz .LBB59_105
; %bb.102:
	s_movk_i32 s35, 0x188
	v_subrev_u32_e32 v126, 49, v0
	s_movk_i32 s36, 0x368
	s_mov_b64 s[2:3], 0
.LBB59_103:                             ; =>This Inner Loop Header: Depth=1
	scratch_load_dwordx2 v[128:129], off, s35
	v_mov_b32_e32 v127, s36
	ds_read_b64 v[130:131], v127
	v_add_u32_e32 v126, -1, v126
	s_add_i32 s36, s36, 8
	s_add_i32 s35, s35, 8
	v_cmp_eq_u32_e32 vcc, 0, v126
	s_or_b64 s[2:3], vcc, s[2:3]
	s_waitcnt vmcnt(0) lgkmcnt(0)
	v_fmac_f64_e32 v[124:125], v[128:129], v[130:131]
	s_andn2_b64 exec, exec, s[2:3]
	s_cbranch_execnz .LBB59_103
; %bb.104:
	s_or_b64 exec, exec, s[2:3]
.LBB59_105:
	s_or_b64 exec, exec, s[8:9]
	v_mov_b32_e32 v126, 0
	ds_read_b64 v[126:127], v126 offset:384
	s_waitcnt lgkmcnt(0)
	v_mul_f64 v[124:125], v[124:125], v[126:127]
	scratch_store_dwordx2 off, v[124:125], off offset:384
.LBB59_106:
	s_or_b64 exec, exec, s[4:5]
	scratch_load_dwordx2 v[124:125], off, off offset:376
	v_cmp_lt_u32_e64 s[2:3], 47, v0
	s_waitcnt vmcnt(0)
	ds_write_b64 v1, v[124:125]
	s_waitcnt lgkmcnt(0)
	; wave barrier
	s_and_saveexec_b64 s[4:5], s[2:3]
	s_cbranch_execz .LBB59_116
; %bb.107:
	s_andn2_b64 vcc, exec, s[6:7]
	s_cbranch_vccnz .LBB59_109
; %bb.108:
	scratch_load_dwordx2 v[124:125], v17, off
	ds_read_b64 v[126:127], v1
	s_waitcnt vmcnt(0) lgkmcnt(0)
	v_mul_f64 v[124:125], v[124:125], v[126:127]
	s_cbranch_execz .LBB59_110
	s_branch .LBB59_111
.LBB59_109:
                                        ; implicit-def: $vgpr124_vgpr125
.LBB59_110:
	ds_read_b64 v[124:125], v1
.LBB59_111:
	s_and_saveexec_b64 s[8:9], s[0:1]
	s_cbranch_execz .LBB59_115
; %bb.112:
	v_subrev_u32_e32 v126, 48, v0
	s_movk_i32 s35, 0x360
	s_mov_b64 s[0:1], 0
.LBB59_113:                             ; =>This Inner Loop Header: Depth=1
	scratch_load_dwordx2 v[128:129], off, s34
	v_mov_b32_e32 v127, s35
	ds_read_b64 v[130:131], v127
	v_add_u32_e32 v126, -1, v126
	s_add_i32 s35, s35, 8
	s_add_i32 s34, s34, 8
	v_cmp_eq_u32_e32 vcc, 0, v126
	s_or_b64 s[0:1], vcc, s[0:1]
	s_waitcnt vmcnt(0) lgkmcnt(0)
	v_fmac_f64_e32 v[124:125], v[128:129], v[130:131]
	s_andn2_b64 exec, exec, s[0:1]
	s_cbranch_execnz .LBB59_113
; %bb.114:
	s_or_b64 exec, exec, s[0:1]
.LBB59_115:
	s_or_b64 exec, exec, s[8:9]
	v_mov_b32_e32 v126, 0
	ds_read_b64 v[126:127], v126 offset:376
	s_waitcnt lgkmcnt(0)
	v_mul_f64 v[124:125], v[124:125], v[126:127]
	scratch_store_dwordx2 off, v[124:125], off offset:376
.LBB59_116:
	s_or_b64 exec, exec, s[4:5]
	scratch_load_dwordx2 v[124:125], off, off offset:368
	v_cmp_lt_u32_e64 s[0:1], 46, v0
	s_waitcnt vmcnt(0)
	ds_write_b64 v1, v[124:125]
	s_waitcnt lgkmcnt(0)
	; wave barrier
	s_and_saveexec_b64 s[4:5], s[0:1]
	s_cbranch_execz .LBB59_126
; %bb.117:
	s_andn2_b64 vcc, exec, s[6:7]
	s_cbranch_vccnz .LBB59_119
; %bb.118:
	scratch_load_dwordx2 v[124:125], v17, off
	ds_read_b64 v[126:127], v1
	s_waitcnt vmcnt(0) lgkmcnt(0)
	v_mul_f64 v[124:125], v[124:125], v[126:127]
	s_cbranch_execz .LBB59_120
	s_branch .LBB59_121
.LBB59_119:
                                        ; implicit-def: $vgpr124_vgpr125
.LBB59_120:
	ds_read_b64 v[124:125], v1
.LBB59_121:
	s_and_saveexec_b64 s[8:9], s[2:3]
	s_cbranch_execz .LBB59_125
; %bb.122:
	s_movk_i32 s34, 0x178
	v_subrev_u32_e32 v126, 47, v0
	s_movk_i32 s35, 0x358
	s_mov_b64 s[2:3], 0
.LBB59_123:                             ; =>This Inner Loop Header: Depth=1
	scratch_load_dwordx2 v[128:129], off, s34
	v_mov_b32_e32 v127, s35
	ds_read_b64 v[130:131], v127
	v_add_u32_e32 v126, -1, v126
	s_add_i32 s35, s35, 8
	s_add_i32 s34, s34, 8
	v_cmp_eq_u32_e32 vcc, 0, v126
	s_or_b64 s[2:3], vcc, s[2:3]
	s_waitcnt vmcnt(0) lgkmcnt(0)
	v_fmac_f64_e32 v[124:125], v[128:129], v[130:131]
	s_andn2_b64 exec, exec, s[2:3]
	s_cbranch_execnz .LBB59_123
; %bb.124:
	s_or_b64 exec, exec, s[2:3]
.LBB59_125:
	s_or_b64 exec, exec, s[8:9]
	v_mov_b32_e32 v126, 0
	ds_read_b64 v[126:127], v126 offset:368
	s_waitcnt lgkmcnt(0)
	v_mul_f64 v[124:125], v[124:125], v[126:127]
	scratch_store_dwordx2 off, v[124:125], off offset:368
.LBB59_126:
	s_or_b64 exec, exec, s[4:5]
	scratch_load_dwordx2 v[124:125], off, off offset:360
	v_cmp_lt_u32_e64 s[2:3], 45, v0
	s_waitcnt vmcnt(0)
	ds_write_b64 v1, v[124:125]
	s_waitcnt lgkmcnt(0)
	; wave barrier
	s_and_saveexec_b64 s[4:5], s[2:3]
	s_cbranch_execz .LBB59_136
; %bb.127:
	s_andn2_b64 vcc, exec, s[6:7]
	s_cbranch_vccnz .LBB59_129
; %bb.128:
	scratch_load_dwordx2 v[124:125], v17, off
	ds_read_b64 v[126:127], v1
	s_waitcnt vmcnt(0) lgkmcnt(0)
	v_mul_f64 v[124:125], v[124:125], v[126:127]
	s_cbranch_execz .LBB59_130
	s_branch .LBB59_131
.LBB59_129:
                                        ; implicit-def: $vgpr124_vgpr125
.LBB59_130:
	ds_read_b64 v[124:125], v1
.LBB59_131:
	s_and_saveexec_b64 s[8:9], s[0:1]
	s_cbranch_execz .LBB59_135
; %bb.132:
	v_subrev_u32_e32 v126, 46, v0
	s_movk_i32 s34, 0x350
	s_mov_b64 s[0:1], 0
.LBB59_133:                             ; =>This Inner Loop Header: Depth=1
	scratch_load_dwordx2 v[128:129], off, s33
	v_mov_b32_e32 v127, s34
	ds_read_b64 v[130:131], v127
	v_add_u32_e32 v126, -1, v126
	s_add_i32 s34, s34, 8
	s_add_i32 s33, s33, 8
	v_cmp_eq_u32_e32 vcc, 0, v126
	s_or_b64 s[0:1], vcc, s[0:1]
	s_waitcnt vmcnt(0) lgkmcnt(0)
	v_fmac_f64_e32 v[124:125], v[128:129], v[130:131]
	s_andn2_b64 exec, exec, s[0:1]
	s_cbranch_execnz .LBB59_133
; %bb.134:
	s_or_b64 exec, exec, s[0:1]
.LBB59_135:
	s_or_b64 exec, exec, s[8:9]
	v_mov_b32_e32 v126, 0
	ds_read_b64 v[126:127], v126 offset:360
	s_waitcnt lgkmcnt(0)
	v_mul_f64 v[124:125], v[124:125], v[126:127]
	scratch_store_dwordx2 off, v[124:125], off offset:360
.LBB59_136:
	s_or_b64 exec, exec, s[4:5]
	scratch_load_dwordx2 v[124:125], off, off offset:352
	v_cmp_lt_u32_e64 s[0:1], 44, v0
	s_waitcnt vmcnt(0)
	ds_write_b64 v1, v[124:125]
	s_waitcnt lgkmcnt(0)
	; wave barrier
	s_and_saveexec_b64 s[4:5], s[0:1]
	s_cbranch_execz .LBB59_146
; %bb.137:
	s_andn2_b64 vcc, exec, s[6:7]
	s_cbranch_vccnz .LBB59_139
; %bb.138:
	scratch_load_dwordx2 v[124:125], v17, off
	ds_read_b64 v[126:127], v1
	s_waitcnt vmcnt(0) lgkmcnt(0)
	v_mul_f64 v[124:125], v[124:125], v[126:127]
	s_cbranch_execz .LBB59_140
	s_branch .LBB59_141
.LBB59_139:
                                        ; implicit-def: $vgpr124_vgpr125
.LBB59_140:
	ds_read_b64 v[124:125], v1
.LBB59_141:
	s_and_saveexec_b64 s[8:9], s[2:3]
	s_cbranch_execz .LBB59_145
; %bb.142:
	s_movk_i32 s33, 0x168
	v_subrev_u32_e32 v126, 45, v0
	s_movk_i32 s34, 0x348
	s_mov_b64 s[2:3], 0
.LBB59_143:                             ; =>This Inner Loop Header: Depth=1
	scratch_load_dwordx2 v[128:129], off, s33
	v_mov_b32_e32 v127, s34
	ds_read_b64 v[130:131], v127
	v_add_u32_e32 v126, -1, v126
	s_add_i32 s34, s34, 8
	s_add_i32 s33, s33, 8
	v_cmp_eq_u32_e32 vcc, 0, v126
	s_or_b64 s[2:3], vcc, s[2:3]
	s_waitcnt vmcnt(0) lgkmcnt(0)
	v_fmac_f64_e32 v[124:125], v[128:129], v[130:131]
	s_andn2_b64 exec, exec, s[2:3]
	s_cbranch_execnz .LBB59_143
; %bb.144:
	s_or_b64 exec, exec, s[2:3]
.LBB59_145:
	s_or_b64 exec, exec, s[8:9]
	v_mov_b32_e32 v126, 0
	ds_read_b64 v[126:127], v126 offset:352
	s_waitcnt lgkmcnt(0)
	v_mul_f64 v[124:125], v[124:125], v[126:127]
	scratch_store_dwordx2 off, v[124:125], off offset:352
.LBB59_146:
	s_or_b64 exec, exec, s[4:5]
	scratch_load_dwordx2 v[124:125], off, off offset:344
	v_cmp_lt_u32_e64 s[2:3], 43, v0
	s_waitcnt vmcnt(0)
	ds_write_b64 v1, v[124:125]
	s_waitcnt lgkmcnt(0)
	; wave barrier
	s_and_saveexec_b64 s[4:5], s[2:3]
	s_cbranch_execz .LBB59_156
; %bb.147:
	s_andn2_b64 vcc, exec, s[6:7]
	s_cbranch_vccnz .LBB59_149
; %bb.148:
	scratch_load_dwordx2 v[124:125], v17, off
	ds_read_b64 v[126:127], v1
	s_waitcnt vmcnt(0) lgkmcnt(0)
	v_mul_f64 v[124:125], v[124:125], v[126:127]
	s_cbranch_execz .LBB59_150
	s_branch .LBB59_151
.LBB59_149:
                                        ; implicit-def: $vgpr124_vgpr125
.LBB59_150:
	ds_read_b64 v[124:125], v1
.LBB59_151:
	s_and_saveexec_b64 s[8:9], s[0:1]
	s_cbranch_execz .LBB59_155
; %bb.152:
	v_subrev_u32_e32 v126, 44, v0
	s_movk_i32 s33, 0x340
	s_mov_b64 s[0:1], 0
.LBB59_153:                             ; =>This Inner Loop Header: Depth=1
	scratch_load_dwordx2 v[128:129], off, s31
	v_mov_b32_e32 v127, s33
	ds_read_b64 v[130:131], v127
	v_add_u32_e32 v126, -1, v126
	s_add_i32 s33, s33, 8
	s_add_i32 s31, s31, 8
	v_cmp_eq_u32_e32 vcc, 0, v126
	s_or_b64 s[0:1], vcc, s[0:1]
	s_waitcnt vmcnt(0) lgkmcnt(0)
	v_fmac_f64_e32 v[124:125], v[128:129], v[130:131]
	s_andn2_b64 exec, exec, s[0:1]
	s_cbranch_execnz .LBB59_153
; %bb.154:
	s_or_b64 exec, exec, s[0:1]
.LBB59_155:
	s_or_b64 exec, exec, s[8:9]
	v_mov_b32_e32 v126, 0
	ds_read_b64 v[126:127], v126 offset:344
	s_waitcnt lgkmcnt(0)
	v_mul_f64 v[124:125], v[124:125], v[126:127]
	scratch_store_dwordx2 off, v[124:125], off offset:344
.LBB59_156:
	s_or_b64 exec, exec, s[4:5]
	scratch_load_dwordx2 v[124:125], off, off offset:336
	v_cmp_lt_u32_e64 s[0:1], 42, v0
	s_waitcnt vmcnt(0)
	ds_write_b64 v1, v[124:125]
	s_waitcnt lgkmcnt(0)
	; wave barrier
	s_and_saveexec_b64 s[4:5], s[0:1]
	s_cbranch_execz .LBB59_166
; %bb.157:
	s_andn2_b64 vcc, exec, s[6:7]
	s_cbranch_vccnz .LBB59_159
; %bb.158:
	scratch_load_dwordx2 v[124:125], v17, off
	ds_read_b64 v[126:127], v1
	s_waitcnt vmcnt(0) lgkmcnt(0)
	v_mul_f64 v[124:125], v[124:125], v[126:127]
	s_cbranch_execz .LBB59_160
	s_branch .LBB59_161
.LBB59_159:
                                        ; implicit-def: $vgpr124_vgpr125
.LBB59_160:
	ds_read_b64 v[124:125], v1
.LBB59_161:
	s_and_saveexec_b64 s[8:9], s[2:3]
	s_cbranch_execz .LBB59_165
; %bb.162:
	s_movk_i32 s31, 0x158
	v_subrev_u32_e32 v126, 43, v0
	s_movk_i32 s33, 0x338
	s_mov_b64 s[2:3], 0
.LBB59_163:                             ; =>This Inner Loop Header: Depth=1
	scratch_load_dwordx2 v[128:129], off, s31
	v_mov_b32_e32 v127, s33
	ds_read_b64 v[130:131], v127
	v_add_u32_e32 v126, -1, v126
	s_add_i32 s33, s33, 8
	s_add_i32 s31, s31, 8
	v_cmp_eq_u32_e32 vcc, 0, v126
	s_or_b64 s[2:3], vcc, s[2:3]
	s_waitcnt vmcnt(0) lgkmcnt(0)
	v_fmac_f64_e32 v[124:125], v[128:129], v[130:131]
	s_andn2_b64 exec, exec, s[2:3]
	s_cbranch_execnz .LBB59_163
; %bb.164:
	s_or_b64 exec, exec, s[2:3]
.LBB59_165:
	s_or_b64 exec, exec, s[8:9]
	v_mov_b32_e32 v126, 0
	ds_read_b64 v[126:127], v126 offset:336
	s_waitcnt lgkmcnt(0)
	v_mul_f64 v[124:125], v[124:125], v[126:127]
	scratch_store_dwordx2 off, v[124:125], off offset:336
.LBB59_166:
	s_or_b64 exec, exec, s[4:5]
	scratch_load_dwordx2 v[124:125], off, off offset:328
	v_cmp_lt_u32_e64 s[2:3], 41, v0
	s_waitcnt vmcnt(0)
	ds_write_b64 v1, v[124:125]
	s_waitcnt lgkmcnt(0)
	; wave barrier
	s_and_saveexec_b64 s[4:5], s[2:3]
	s_cbranch_execz .LBB59_176
; %bb.167:
	s_andn2_b64 vcc, exec, s[6:7]
	s_cbranch_vccnz .LBB59_169
; %bb.168:
	scratch_load_dwordx2 v[124:125], v17, off
	ds_read_b64 v[126:127], v1
	s_waitcnt vmcnt(0) lgkmcnt(0)
	v_mul_f64 v[124:125], v[124:125], v[126:127]
	s_cbranch_execz .LBB59_170
	s_branch .LBB59_171
.LBB59_169:
                                        ; implicit-def: $vgpr124_vgpr125
.LBB59_170:
	ds_read_b64 v[124:125], v1
.LBB59_171:
	s_and_saveexec_b64 s[8:9], s[0:1]
	s_cbranch_execz .LBB59_175
; %bb.172:
	v_subrev_u32_e32 v126, 42, v0
	s_movk_i32 s31, 0x330
	s_mov_b64 s[0:1], 0
.LBB59_173:                             ; =>This Inner Loop Header: Depth=1
	scratch_load_dwordx2 v[128:129], off, s30
	v_mov_b32_e32 v127, s31
	ds_read_b64 v[130:131], v127
	v_add_u32_e32 v126, -1, v126
	s_add_i32 s31, s31, 8
	s_add_i32 s30, s30, 8
	v_cmp_eq_u32_e32 vcc, 0, v126
	s_or_b64 s[0:1], vcc, s[0:1]
	s_waitcnt vmcnt(0) lgkmcnt(0)
	v_fmac_f64_e32 v[124:125], v[128:129], v[130:131]
	s_andn2_b64 exec, exec, s[0:1]
	s_cbranch_execnz .LBB59_173
; %bb.174:
	s_or_b64 exec, exec, s[0:1]
.LBB59_175:
	s_or_b64 exec, exec, s[8:9]
	v_mov_b32_e32 v126, 0
	ds_read_b64 v[126:127], v126 offset:328
	s_waitcnt lgkmcnt(0)
	v_mul_f64 v[124:125], v[124:125], v[126:127]
	scratch_store_dwordx2 off, v[124:125], off offset:328
.LBB59_176:
	s_or_b64 exec, exec, s[4:5]
	scratch_load_dwordx2 v[124:125], off, off offset:320
	v_cmp_lt_u32_e64 s[0:1], 40, v0
	s_waitcnt vmcnt(0)
	ds_write_b64 v1, v[124:125]
	s_waitcnt lgkmcnt(0)
	; wave barrier
	s_and_saveexec_b64 s[4:5], s[0:1]
	s_cbranch_execz .LBB59_186
; %bb.177:
	s_andn2_b64 vcc, exec, s[6:7]
	s_cbranch_vccnz .LBB59_179
; %bb.178:
	scratch_load_dwordx2 v[124:125], v17, off
	ds_read_b64 v[126:127], v1
	s_waitcnt vmcnt(0) lgkmcnt(0)
	v_mul_f64 v[124:125], v[124:125], v[126:127]
	s_cbranch_execz .LBB59_180
	s_branch .LBB59_181
.LBB59_179:
                                        ; implicit-def: $vgpr124_vgpr125
.LBB59_180:
	ds_read_b64 v[124:125], v1
.LBB59_181:
	s_and_saveexec_b64 s[8:9], s[2:3]
	s_cbranch_execz .LBB59_185
; %bb.182:
	s_movk_i32 s30, 0x148
	v_subrev_u32_e32 v126, 41, v0
	s_movk_i32 s31, 0x328
	s_mov_b64 s[2:3], 0
.LBB59_183:                             ; =>This Inner Loop Header: Depth=1
	scratch_load_dwordx2 v[128:129], off, s30
	v_mov_b32_e32 v127, s31
	ds_read_b64 v[130:131], v127
	v_add_u32_e32 v126, -1, v126
	s_add_i32 s31, s31, 8
	s_add_i32 s30, s30, 8
	v_cmp_eq_u32_e32 vcc, 0, v126
	s_or_b64 s[2:3], vcc, s[2:3]
	s_waitcnt vmcnt(0) lgkmcnt(0)
	v_fmac_f64_e32 v[124:125], v[128:129], v[130:131]
	s_andn2_b64 exec, exec, s[2:3]
	s_cbranch_execnz .LBB59_183
; %bb.184:
	s_or_b64 exec, exec, s[2:3]
.LBB59_185:
	s_or_b64 exec, exec, s[8:9]
	v_mov_b32_e32 v126, 0
	ds_read_b64 v[126:127], v126 offset:320
	s_waitcnt lgkmcnt(0)
	v_mul_f64 v[124:125], v[124:125], v[126:127]
	scratch_store_dwordx2 off, v[124:125], off offset:320
.LBB59_186:
	s_or_b64 exec, exec, s[4:5]
	scratch_load_dwordx2 v[124:125], off, off offset:312
	v_cmp_lt_u32_e64 s[2:3], 39, v0
	s_waitcnt vmcnt(0)
	ds_write_b64 v1, v[124:125]
	s_waitcnt lgkmcnt(0)
	; wave barrier
	s_and_saveexec_b64 s[4:5], s[2:3]
	s_cbranch_execz .LBB59_196
; %bb.187:
	s_andn2_b64 vcc, exec, s[6:7]
	s_cbranch_vccnz .LBB59_189
; %bb.188:
	scratch_load_dwordx2 v[124:125], v17, off
	ds_read_b64 v[126:127], v1
	s_waitcnt vmcnt(0) lgkmcnt(0)
	v_mul_f64 v[124:125], v[124:125], v[126:127]
	s_cbranch_execz .LBB59_190
	s_branch .LBB59_191
.LBB59_189:
                                        ; implicit-def: $vgpr124_vgpr125
.LBB59_190:
	ds_read_b64 v[124:125], v1
.LBB59_191:
	s_and_saveexec_b64 s[8:9], s[0:1]
	s_cbranch_execz .LBB59_195
; %bb.192:
	v_subrev_u32_e32 v126, 40, v0
	s_movk_i32 s30, 0x320
	s_mov_b64 s[0:1], 0
.LBB59_193:                             ; =>This Inner Loop Header: Depth=1
	scratch_load_dwordx2 v[128:129], off, s29
	v_mov_b32_e32 v127, s30
	ds_read_b64 v[130:131], v127
	v_add_u32_e32 v126, -1, v126
	s_add_i32 s30, s30, 8
	s_add_i32 s29, s29, 8
	v_cmp_eq_u32_e32 vcc, 0, v126
	s_or_b64 s[0:1], vcc, s[0:1]
	s_waitcnt vmcnt(0) lgkmcnt(0)
	v_fmac_f64_e32 v[124:125], v[128:129], v[130:131]
	s_andn2_b64 exec, exec, s[0:1]
	s_cbranch_execnz .LBB59_193
; %bb.194:
	s_or_b64 exec, exec, s[0:1]
.LBB59_195:
	s_or_b64 exec, exec, s[8:9]
	v_mov_b32_e32 v126, 0
	ds_read_b64 v[126:127], v126 offset:312
	s_waitcnt lgkmcnt(0)
	v_mul_f64 v[124:125], v[124:125], v[126:127]
	scratch_store_dwordx2 off, v[124:125], off offset:312
.LBB59_196:
	s_or_b64 exec, exec, s[4:5]
	scratch_load_dwordx2 v[124:125], off, off offset:304
	v_cmp_lt_u32_e64 s[0:1], 38, v0
	s_waitcnt vmcnt(0)
	ds_write_b64 v1, v[124:125]
	s_waitcnt lgkmcnt(0)
	; wave barrier
	s_and_saveexec_b64 s[4:5], s[0:1]
	s_cbranch_execz .LBB59_206
; %bb.197:
	s_andn2_b64 vcc, exec, s[6:7]
	s_cbranch_vccnz .LBB59_199
; %bb.198:
	scratch_load_dwordx2 v[124:125], v17, off
	ds_read_b64 v[126:127], v1
	s_waitcnt vmcnt(0) lgkmcnt(0)
	v_mul_f64 v[124:125], v[124:125], v[126:127]
	s_cbranch_execz .LBB59_200
	s_branch .LBB59_201
.LBB59_199:
                                        ; implicit-def: $vgpr124_vgpr125
.LBB59_200:
	ds_read_b64 v[124:125], v1
.LBB59_201:
	s_and_saveexec_b64 s[8:9], s[2:3]
	s_cbranch_execz .LBB59_205
; %bb.202:
	s_movk_i32 s29, 0x138
	v_subrev_u32_e32 v126, 39, v0
	s_movk_i32 s30, 0x318
	s_mov_b64 s[2:3], 0
.LBB59_203:                             ; =>This Inner Loop Header: Depth=1
	scratch_load_dwordx2 v[128:129], off, s29
	v_mov_b32_e32 v127, s30
	ds_read_b64 v[130:131], v127
	v_add_u32_e32 v126, -1, v126
	s_add_i32 s30, s30, 8
	s_add_i32 s29, s29, 8
	v_cmp_eq_u32_e32 vcc, 0, v126
	s_or_b64 s[2:3], vcc, s[2:3]
	s_waitcnt vmcnt(0) lgkmcnt(0)
	v_fmac_f64_e32 v[124:125], v[128:129], v[130:131]
	s_andn2_b64 exec, exec, s[2:3]
	s_cbranch_execnz .LBB59_203
; %bb.204:
	s_or_b64 exec, exec, s[2:3]
.LBB59_205:
	s_or_b64 exec, exec, s[8:9]
	v_mov_b32_e32 v126, 0
	ds_read_b64 v[126:127], v126 offset:304
	s_waitcnt lgkmcnt(0)
	v_mul_f64 v[124:125], v[124:125], v[126:127]
	scratch_store_dwordx2 off, v[124:125], off offset:304
.LBB59_206:
	s_or_b64 exec, exec, s[4:5]
	scratch_load_dwordx2 v[124:125], off, off offset:296
	v_cmp_lt_u32_e64 s[2:3], 37, v0
	s_waitcnt vmcnt(0)
	ds_write_b64 v1, v[124:125]
	s_waitcnt lgkmcnt(0)
	; wave barrier
	s_and_saveexec_b64 s[4:5], s[2:3]
	s_cbranch_execz .LBB59_216
; %bb.207:
	s_andn2_b64 vcc, exec, s[6:7]
	s_cbranch_vccnz .LBB59_209
; %bb.208:
	scratch_load_dwordx2 v[124:125], v17, off
	ds_read_b64 v[126:127], v1
	s_waitcnt vmcnt(0) lgkmcnt(0)
	v_mul_f64 v[124:125], v[124:125], v[126:127]
	s_cbranch_execz .LBB59_210
	s_branch .LBB59_211
.LBB59_209:
                                        ; implicit-def: $vgpr124_vgpr125
.LBB59_210:
	ds_read_b64 v[124:125], v1
.LBB59_211:
	s_and_saveexec_b64 s[8:9], s[0:1]
	s_cbranch_execz .LBB59_215
; %bb.212:
	v_subrev_u32_e32 v126, 38, v0
	s_movk_i32 s29, 0x310
	s_mov_b64 s[0:1], 0
.LBB59_213:                             ; =>This Inner Loop Header: Depth=1
	scratch_load_dwordx2 v[128:129], off, s28
	v_mov_b32_e32 v127, s29
	ds_read_b64 v[130:131], v127
	v_add_u32_e32 v126, -1, v126
	s_add_i32 s29, s29, 8
	s_add_i32 s28, s28, 8
	v_cmp_eq_u32_e32 vcc, 0, v126
	s_or_b64 s[0:1], vcc, s[0:1]
	s_waitcnt vmcnt(0) lgkmcnt(0)
	v_fmac_f64_e32 v[124:125], v[128:129], v[130:131]
	s_andn2_b64 exec, exec, s[0:1]
	s_cbranch_execnz .LBB59_213
; %bb.214:
	s_or_b64 exec, exec, s[0:1]
.LBB59_215:
	s_or_b64 exec, exec, s[8:9]
	v_mov_b32_e32 v126, 0
	ds_read_b64 v[126:127], v126 offset:296
	s_waitcnt lgkmcnt(0)
	v_mul_f64 v[124:125], v[124:125], v[126:127]
	scratch_store_dwordx2 off, v[124:125], off offset:296
.LBB59_216:
	s_or_b64 exec, exec, s[4:5]
	scratch_load_dwordx2 v[124:125], off, off offset:288
	v_cmp_lt_u32_e64 s[0:1], 36, v0
	s_waitcnt vmcnt(0)
	ds_write_b64 v1, v[124:125]
	s_waitcnt lgkmcnt(0)
	; wave barrier
	s_and_saveexec_b64 s[4:5], s[0:1]
	s_cbranch_execz .LBB59_226
; %bb.217:
	s_andn2_b64 vcc, exec, s[6:7]
	s_cbranch_vccnz .LBB59_219
; %bb.218:
	scratch_load_dwordx2 v[124:125], v17, off
	ds_read_b64 v[126:127], v1
	s_waitcnt vmcnt(0) lgkmcnt(0)
	v_mul_f64 v[124:125], v[124:125], v[126:127]
	s_cbranch_execz .LBB59_220
	s_branch .LBB59_221
.LBB59_219:
                                        ; implicit-def: $vgpr124_vgpr125
.LBB59_220:
	ds_read_b64 v[124:125], v1
.LBB59_221:
	s_and_saveexec_b64 s[8:9], s[2:3]
	s_cbranch_execz .LBB59_225
; %bb.222:
	s_movk_i32 s28, 0x128
	v_subrev_u32_e32 v126, 37, v0
	s_movk_i32 s29, 0x308
	s_mov_b64 s[2:3], 0
.LBB59_223:                             ; =>This Inner Loop Header: Depth=1
	scratch_load_dwordx2 v[128:129], off, s28
	v_mov_b32_e32 v127, s29
	ds_read_b64 v[130:131], v127
	v_add_u32_e32 v126, -1, v126
	s_add_i32 s29, s29, 8
	s_add_i32 s28, s28, 8
	v_cmp_eq_u32_e32 vcc, 0, v126
	s_or_b64 s[2:3], vcc, s[2:3]
	s_waitcnt vmcnt(0) lgkmcnt(0)
	v_fmac_f64_e32 v[124:125], v[128:129], v[130:131]
	s_andn2_b64 exec, exec, s[2:3]
	s_cbranch_execnz .LBB59_223
; %bb.224:
	s_or_b64 exec, exec, s[2:3]
.LBB59_225:
	s_or_b64 exec, exec, s[8:9]
	v_mov_b32_e32 v126, 0
	ds_read_b64 v[126:127], v126 offset:288
	s_waitcnt lgkmcnt(0)
	v_mul_f64 v[124:125], v[124:125], v[126:127]
	scratch_store_dwordx2 off, v[124:125], off offset:288
.LBB59_226:
	s_or_b64 exec, exec, s[4:5]
	scratch_load_dwordx2 v[124:125], off, off offset:280
	v_cmp_lt_u32_e64 s[2:3], 35, v0
	s_waitcnt vmcnt(0)
	ds_write_b64 v1, v[124:125]
	s_waitcnt lgkmcnt(0)
	; wave barrier
	s_and_saveexec_b64 s[4:5], s[2:3]
	s_cbranch_execz .LBB59_236
; %bb.227:
	s_andn2_b64 vcc, exec, s[6:7]
	s_cbranch_vccnz .LBB59_229
; %bb.228:
	scratch_load_dwordx2 v[124:125], v17, off
	ds_read_b64 v[126:127], v1
	s_waitcnt vmcnt(0) lgkmcnt(0)
	v_mul_f64 v[124:125], v[124:125], v[126:127]
	s_cbranch_execz .LBB59_230
	s_branch .LBB59_231
.LBB59_229:
                                        ; implicit-def: $vgpr124_vgpr125
.LBB59_230:
	ds_read_b64 v[124:125], v1
.LBB59_231:
	s_and_saveexec_b64 s[8:9], s[0:1]
	s_cbranch_execz .LBB59_235
; %bb.232:
	v_subrev_u32_e32 v126, 36, v0
	s_movk_i32 s28, 0x300
	s_mov_b64 s[0:1], 0
.LBB59_233:                             ; =>This Inner Loop Header: Depth=1
	scratch_load_dwordx2 v[128:129], off, s27
	v_mov_b32_e32 v127, s28
	ds_read_b64 v[130:131], v127
	v_add_u32_e32 v126, -1, v126
	s_add_i32 s28, s28, 8
	s_add_i32 s27, s27, 8
	v_cmp_eq_u32_e32 vcc, 0, v126
	s_or_b64 s[0:1], vcc, s[0:1]
	s_waitcnt vmcnt(0) lgkmcnt(0)
	v_fmac_f64_e32 v[124:125], v[128:129], v[130:131]
	s_andn2_b64 exec, exec, s[0:1]
	s_cbranch_execnz .LBB59_233
; %bb.234:
	s_or_b64 exec, exec, s[0:1]
.LBB59_235:
	s_or_b64 exec, exec, s[8:9]
	v_mov_b32_e32 v126, 0
	ds_read_b64 v[126:127], v126 offset:280
	s_waitcnt lgkmcnt(0)
	v_mul_f64 v[124:125], v[124:125], v[126:127]
	scratch_store_dwordx2 off, v[124:125], off offset:280
.LBB59_236:
	s_or_b64 exec, exec, s[4:5]
	scratch_load_dwordx2 v[124:125], off, off offset:272
	v_cmp_lt_u32_e64 s[0:1], 34, v0
	s_waitcnt vmcnt(0)
	ds_write_b64 v1, v[124:125]
	s_waitcnt lgkmcnt(0)
	; wave barrier
	s_and_saveexec_b64 s[4:5], s[0:1]
	s_cbranch_execz .LBB59_246
; %bb.237:
	s_andn2_b64 vcc, exec, s[6:7]
	s_cbranch_vccnz .LBB59_239
; %bb.238:
	scratch_load_dwordx2 v[124:125], v17, off
	ds_read_b64 v[126:127], v1
	s_waitcnt vmcnt(0) lgkmcnt(0)
	v_mul_f64 v[124:125], v[124:125], v[126:127]
	s_cbranch_execz .LBB59_240
	s_branch .LBB59_241
.LBB59_239:
                                        ; implicit-def: $vgpr124_vgpr125
.LBB59_240:
	ds_read_b64 v[124:125], v1
.LBB59_241:
	s_and_saveexec_b64 s[8:9], s[2:3]
	s_cbranch_execz .LBB59_245
; %bb.242:
	s_movk_i32 s27, 0x118
	v_subrev_u32_e32 v126, 35, v0
	s_movk_i32 s28, 0x2f8
	s_mov_b64 s[2:3], 0
.LBB59_243:                             ; =>This Inner Loop Header: Depth=1
	scratch_load_dwordx2 v[128:129], off, s27
	v_mov_b32_e32 v127, s28
	ds_read_b64 v[130:131], v127
	v_add_u32_e32 v126, -1, v126
	s_add_i32 s28, s28, 8
	s_add_i32 s27, s27, 8
	v_cmp_eq_u32_e32 vcc, 0, v126
	s_or_b64 s[2:3], vcc, s[2:3]
	s_waitcnt vmcnt(0) lgkmcnt(0)
	v_fmac_f64_e32 v[124:125], v[128:129], v[130:131]
	s_andn2_b64 exec, exec, s[2:3]
	s_cbranch_execnz .LBB59_243
; %bb.244:
	s_or_b64 exec, exec, s[2:3]
.LBB59_245:
	s_or_b64 exec, exec, s[8:9]
	v_mov_b32_e32 v126, 0
	ds_read_b64 v[126:127], v126 offset:272
	s_waitcnt lgkmcnt(0)
	v_mul_f64 v[124:125], v[124:125], v[126:127]
	scratch_store_dwordx2 off, v[124:125], off offset:272
.LBB59_246:
	s_or_b64 exec, exec, s[4:5]
	scratch_load_dwordx2 v[124:125], off, off offset:264
	v_cmp_lt_u32_e64 s[2:3], 33, v0
	s_waitcnt vmcnt(0)
	ds_write_b64 v1, v[124:125]
	s_waitcnt lgkmcnt(0)
	; wave barrier
	s_and_saveexec_b64 s[4:5], s[2:3]
	s_cbranch_execz .LBB59_256
; %bb.247:
	s_andn2_b64 vcc, exec, s[6:7]
	s_cbranch_vccnz .LBB59_249
; %bb.248:
	scratch_load_dwordx2 v[124:125], v17, off
	ds_read_b64 v[126:127], v1
	s_waitcnt vmcnt(0) lgkmcnt(0)
	v_mul_f64 v[124:125], v[124:125], v[126:127]
	s_cbranch_execz .LBB59_250
	s_branch .LBB59_251
.LBB59_249:
                                        ; implicit-def: $vgpr124_vgpr125
.LBB59_250:
	ds_read_b64 v[124:125], v1
.LBB59_251:
	s_and_saveexec_b64 s[8:9], s[0:1]
	s_cbranch_execz .LBB59_255
; %bb.252:
	v_subrev_u32_e32 v126, 34, v0
	s_movk_i32 s27, 0x2f0
	s_mov_b64 s[0:1], 0
.LBB59_253:                             ; =>This Inner Loop Header: Depth=1
	scratch_load_dwordx2 v[128:129], off, s26
	v_mov_b32_e32 v127, s27
	ds_read_b64 v[130:131], v127
	v_add_u32_e32 v126, -1, v126
	s_add_i32 s27, s27, 8
	s_add_i32 s26, s26, 8
	v_cmp_eq_u32_e32 vcc, 0, v126
	s_or_b64 s[0:1], vcc, s[0:1]
	s_waitcnt vmcnt(0) lgkmcnt(0)
	v_fmac_f64_e32 v[124:125], v[128:129], v[130:131]
	s_andn2_b64 exec, exec, s[0:1]
	s_cbranch_execnz .LBB59_253
; %bb.254:
	s_or_b64 exec, exec, s[0:1]
.LBB59_255:
	s_or_b64 exec, exec, s[8:9]
	v_mov_b32_e32 v126, 0
	ds_read_b64 v[126:127], v126 offset:264
	s_waitcnt lgkmcnt(0)
	v_mul_f64 v[124:125], v[124:125], v[126:127]
	scratch_store_dwordx2 off, v[124:125], off offset:264
.LBB59_256:
	s_or_b64 exec, exec, s[4:5]
	scratch_load_dwordx2 v[124:125], off, off offset:256
	v_cmp_lt_u32_e64 s[0:1], 32, v0
	s_waitcnt vmcnt(0)
	ds_write_b64 v1, v[124:125]
	s_waitcnt lgkmcnt(0)
	; wave barrier
	s_and_saveexec_b64 s[4:5], s[0:1]
	s_cbranch_execz .LBB59_266
; %bb.257:
	s_andn2_b64 vcc, exec, s[6:7]
	s_cbranch_vccnz .LBB59_259
; %bb.258:
	scratch_load_dwordx2 v[124:125], v17, off
	ds_read_b64 v[126:127], v1
	s_waitcnt vmcnt(0) lgkmcnt(0)
	v_mul_f64 v[124:125], v[124:125], v[126:127]
	s_cbranch_execz .LBB59_260
	s_branch .LBB59_261
.LBB59_259:
                                        ; implicit-def: $vgpr124_vgpr125
.LBB59_260:
	ds_read_b64 v[124:125], v1
.LBB59_261:
	s_and_saveexec_b64 s[8:9], s[2:3]
	s_cbranch_execz .LBB59_265
; %bb.262:
	s_movk_i32 s26, 0x108
	v_subrev_u32_e32 v126, 33, v0
	s_movk_i32 s27, 0x2e8
	s_mov_b64 s[2:3], 0
.LBB59_263:                             ; =>This Inner Loop Header: Depth=1
	scratch_load_dwordx2 v[128:129], off, s26
	v_mov_b32_e32 v127, s27
	ds_read_b64 v[130:131], v127
	v_add_u32_e32 v126, -1, v126
	s_add_i32 s27, s27, 8
	s_add_i32 s26, s26, 8
	v_cmp_eq_u32_e32 vcc, 0, v126
	s_or_b64 s[2:3], vcc, s[2:3]
	s_waitcnt vmcnt(0) lgkmcnt(0)
	v_fmac_f64_e32 v[124:125], v[128:129], v[130:131]
	s_andn2_b64 exec, exec, s[2:3]
	s_cbranch_execnz .LBB59_263
; %bb.264:
	s_or_b64 exec, exec, s[2:3]
.LBB59_265:
	s_or_b64 exec, exec, s[8:9]
	v_mov_b32_e32 v126, 0
	ds_read_b64 v[126:127], v126 offset:256
	s_waitcnt lgkmcnt(0)
	v_mul_f64 v[124:125], v[124:125], v[126:127]
	scratch_store_dwordx2 off, v[124:125], off offset:256
.LBB59_266:
	s_or_b64 exec, exec, s[4:5]
	scratch_load_dwordx2 v[124:125], off, off offset:248
	v_cmp_lt_u32_e64 s[2:3], 31, v0
	s_waitcnt vmcnt(0)
	ds_write_b64 v1, v[124:125]
	s_waitcnt lgkmcnt(0)
	; wave barrier
	s_and_saveexec_b64 s[4:5], s[2:3]
	s_cbranch_execz .LBB59_276
; %bb.267:
	s_andn2_b64 vcc, exec, s[6:7]
	s_cbranch_vccnz .LBB59_269
; %bb.268:
	scratch_load_dwordx2 v[124:125], v17, off
	ds_read_b64 v[126:127], v1
	s_waitcnt vmcnt(0) lgkmcnt(0)
	v_mul_f64 v[124:125], v[124:125], v[126:127]
	s_cbranch_execz .LBB59_270
	s_branch .LBB59_271
.LBB59_269:
                                        ; implicit-def: $vgpr124_vgpr125
.LBB59_270:
	ds_read_b64 v[124:125], v1
.LBB59_271:
	s_and_saveexec_b64 s[8:9], s[0:1]
	s_cbranch_execz .LBB59_275
; %bb.272:
	v_subrev_u32_e32 v126, 32, v0
	s_movk_i32 s26, 0x2e0
	s_mov_b64 s[0:1], 0
.LBB59_273:                             ; =>This Inner Loop Header: Depth=1
	scratch_load_dwordx2 v[128:129], off, s25
	v_mov_b32_e32 v127, s26
	ds_read_b64 v[130:131], v127
	v_add_u32_e32 v126, -1, v126
	s_add_i32 s26, s26, 8
	s_add_i32 s25, s25, 8
	v_cmp_eq_u32_e32 vcc, 0, v126
	s_or_b64 s[0:1], vcc, s[0:1]
	s_waitcnt vmcnt(0) lgkmcnt(0)
	v_fmac_f64_e32 v[124:125], v[128:129], v[130:131]
	s_andn2_b64 exec, exec, s[0:1]
	s_cbranch_execnz .LBB59_273
; %bb.274:
	s_or_b64 exec, exec, s[0:1]
.LBB59_275:
	s_or_b64 exec, exec, s[8:9]
	v_mov_b32_e32 v126, 0
	ds_read_b64 v[126:127], v126 offset:248
	s_waitcnt lgkmcnt(0)
	v_mul_f64 v[124:125], v[124:125], v[126:127]
	scratch_store_dwordx2 off, v[124:125], off offset:248
.LBB59_276:
	s_or_b64 exec, exec, s[4:5]
	scratch_load_dwordx2 v[124:125], off, off offset:240
	v_cmp_lt_u32_e64 s[0:1], 30, v0
	s_waitcnt vmcnt(0)
	ds_write_b64 v1, v[124:125]
	s_waitcnt lgkmcnt(0)
	; wave barrier
	s_and_saveexec_b64 s[4:5], s[0:1]
	s_cbranch_execz .LBB59_286
; %bb.277:
	s_andn2_b64 vcc, exec, s[6:7]
	s_cbranch_vccnz .LBB59_279
; %bb.278:
	scratch_load_dwordx2 v[124:125], v17, off
	ds_read_b64 v[126:127], v1
	s_waitcnt vmcnt(0) lgkmcnt(0)
	v_mul_f64 v[124:125], v[124:125], v[126:127]
	s_cbranch_execz .LBB59_280
	s_branch .LBB59_281
.LBB59_279:
                                        ; implicit-def: $vgpr124_vgpr125
.LBB59_280:
	ds_read_b64 v[124:125], v1
.LBB59_281:
	s_and_saveexec_b64 s[8:9], s[2:3]
	s_cbranch_execz .LBB59_285
; %bb.282:
	s_movk_i32 s25, 0xf8
	v_subrev_u32_e32 v126, 31, v0
	s_movk_i32 s26, 0x2d8
	s_mov_b64 s[2:3], 0
.LBB59_283:                             ; =>This Inner Loop Header: Depth=1
	scratch_load_dwordx2 v[128:129], off, s25
	v_mov_b32_e32 v127, s26
	ds_read_b64 v[130:131], v127
	v_add_u32_e32 v126, -1, v126
	s_add_i32 s26, s26, 8
	s_add_i32 s25, s25, 8
	v_cmp_eq_u32_e32 vcc, 0, v126
	s_or_b64 s[2:3], vcc, s[2:3]
	s_waitcnt vmcnt(0) lgkmcnt(0)
	v_fmac_f64_e32 v[124:125], v[128:129], v[130:131]
	s_andn2_b64 exec, exec, s[2:3]
	s_cbranch_execnz .LBB59_283
; %bb.284:
	s_or_b64 exec, exec, s[2:3]
.LBB59_285:
	s_or_b64 exec, exec, s[8:9]
	v_mov_b32_e32 v126, 0
	ds_read_b64 v[126:127], v126 offset:240
	s_waitcnt lgkmcnt(0)
	v_mul_f64 v[124:125], v[124:125], v[126:127]
	scratch_store_dwordx2 off, v[124:125], off offset:240
.LBB59_286:
	s_or_b64 exec, exec, s[4:5]
	scratch_load_dwordx2 v[124:125], off, off offset:232
	v_cmp_lt_u32_e64 s[2:3], 29, v0
	s_waitcnt vmcnt(0)
	ds_write_b64 v1, v[124:125]
	s_waitcnt lgkmcnt(0)
	; wave barrier
	s_and_saveexec_b64 s[4:5], s[2:3]
	s_cbranch_execz .LBB59_296
; %bb.287:
	s_andn2_b64 vcc, exec, s[6:7]
	s_cbranch_vccnz .LBB59_289
; %bb.288:
	scratch_load_dwordx2 v[124:125], v17, off
	ds_read_b64 v[126:127], v1
	s_waitcnt vmcnt(0) lgkmcnt(0)
	v_mul_f64 v[124:125], v[124:125], v[126:127]
	s_cbranch_execz .LBB59_290
	s_branch .LBB59_291
.LBB59_289:
                                        ; implicit-def: $vgpr124_vgpr125
.LBB59_290:
	ds_read_b64 v[124:125], v1
.LBB59_291:
	s_and_saveexec_b64 s[8:9], s[0:1]
	s_cbranch_execz .LBB59_295
; %bb.292:
	v_subrev_u32_e32 v126, 30, v0
	s_movk_i32 s25, 0x2d0
	s_mov_b64 s[0:1], 0
.LBB59_293:                             ; =>This Inner Loop Header: Depth=1
	scratch_load_dwordx2 v[128:129], off, s24
	v_mov_b32_e32 v127, s25
	ds_read_b64 v[130:131], v127
	v_add_u32_e32 v126, -1, v126
	s_add_i32 s25, s25, 8
	s_add_i32 s24, s24, 8
	v_cmp_eq_u32_e32 vcc, 0, v126
	s_or_b64 s[0:1], vcc, s[0:1]
	s_waitcnt vmcnt(0) lgkmcnt(0)
	v_fmac_f64_e32 v[124:125], v[128:129], v[130:131]
	s_andn2_b64 exec, exec, s[0:1]
	s_cbranch_execnz .LBB59_293
; %bb.294:
	s_or_b64 exec, exec, s[0:1]
.LBB59_295:
	s_or_b64 exec, exec, s[8:9]
	v_mov_b32_e32 v126, 0
	ds_read_b64 v[126:127], v126 offset:232
	s_waitcnt lgkmcnt(0)
	v_mul_f64 v[124:125], v[124:125], v[126:127]
	scratch_store_dwordx2 off, v[124:125], off offset:232
.LBB59_296:
	s_or_b64 exec, exec, s[4:5]
	scratch_load_dwordx2 v[124:125], off, off offset:224
	v_cmp_lt_u32_e64 s[0:1], 28, v0
	s_waitcnt vmcnt(0)
	ds_write_b64 v1, v[124:125]
	s_waitcnt lgkmcnt(0)
	; wave barrier
	s_and_saveexec_b64 s[4:5], s[0:1]
	s_cbranch_execz .LBB59_306
; %bb.297:
	s_andn2_b64 vcc, exec, s[6:7]
	s_cbranch_vccnz .LBB59_299
; %bb.298:
	scratch_load_dwordx2 v[124:125], v17, off
	ds_read_b64 v[126:127], v1
	s_waitcnt vmcnt(0) lgkmcnt(0)
	v_mul_f64 v[124:125], v[124:125], v[126:127]
	s_cbranch_execz .LBB59_300
	s_branch .LBB59_301
.LBB59_299:
                                        ; implicit-def: $vgpr124_vgpr125
.LBB59_300:
	ds_read_b64 v[124:125], v1
.LBB59_301:
	s_and_saveexec_b64 s[8:9], s[2:3]
	s_cbranch_execz .LBB59_305
; %bb.302:
	s_movk_i32 s24, 0xe8
	v_subrev_u32_e32 v126, 29, v0
	s_movk_i32 s25, 0x2c8
	s_mov_b64 s[2:3], 0
.LBB59_303:                             ; =>This Inner Loop Header: Depth=1
	scratch_load_dwordx2 v[128:129], off, s24
	v_mov_b32_e32 v127, s25
	ds_read_b64 v[130:131], v127
	v_add_u32_e32 v126, -1, v126
	s_add_i32 s25, s25, 8
	s_add_i32 s24, s24, 8
	v_cmp_eq_u32_e32 vcc, 0, v126
	s_or_b64 s[2:3], vcc, s[2:3]
	s_waitcnt vmcnt(0) lgkmcnt(0)
	v_fmac_f64_e32 v[124:125], v[128:129], v[130:131]
	s_andn2_b64 exec, exec, s[2:3]
	s_cbranch_execnz .LBB59_303
; %bb.304:
	s_or_b64 exec, exec, s[2:3]
.LBB59_305:
	s_or_b64 exec, exec, s[8:9]
	v_mov_b32_e32 v126, 0
	ds_read_b64 v[126:127], v126 offset:224
	s_waitcnt lgkmcnt(0)
	v_mul_f64 v[124:125], v[124:125], v[126:127]
	scratch_store_dwordx2 off, v[124:125], off offset:224
.LBB59_306:
	s_or_b64 exec, exec, s[4:5]
	scratch_load_dwordx2 v[124:125], off, off offset:216
	v_cmp_lt_u32_e64 s[2:3], 27, v0
	s_waitcnt vmcnt(0)
	ds_write_b64 v1, v[124:125]
	s_waitcnt lgkmcnt(0)
	; wave barrier
	s_and_saveexec_b64 s[4:5], s[2:3]
	s_cbranch_execz .LBB59_316
; %bb.307:
	s_andn2_b64 vcc, exec, s[6:7]
	s_cbranch_vccnz .LBB59_309
; %bb.308:
	scratch_load_dwordx2 v[124:125], v17, off
	ds_read_b64 v[126:127], v1
	s_waitcnt vmcnt(0) lgkmcnt(0)
	v_mul_f64 v[124:125], v[124:125], v[126:127]
	s_cbranch_execz .LBB59_310
	s_branch .LBB59_311
.LBB59_309:
                                        ; implicit-def: $vgpr124_vgpr125
.LBB59_310:
	ds_read_b64 v[124:125], v1
.LBB59_311:
	s_and_saveexec_b64 s[8:9], s[0:1]
	s_cbranch_execz .LBB59_315
; %bb.312:
	v_subrev_u32_e32 v126, 28, v0
	s_movk_i32 s24, 0x2c0
	s_mov_b64 s[0:1], 0
.LBB59_313:                             ; =>This Inner Loop Header: Depth=1
	scratch_load_dwordx2 v[128:129], off, s23
	v_mov_b32_e32 v127, s24
	ds_read_b64 v[130:131], v127
	v_add_u32_e32 v126, -1, v126
	s_add_i32 s24, s24, 8
	s_add_i32 s23, s23, 8
	v_cmp_eq_u32_e32 vcc, 0, v126
	s_or_b64 s[0:1], vcc, s[0:1]
	s_waitcnt vmcnt(0) lgkmcnt(0)
	v_fmac_f64_e32 v[124:125], v[128:129], v[130:131]
	s_andn2_b64 exec, exec, s[0:1]
	s_cbranch_execnz .LBB59_313
; %bb.314:
	s_or_b64 exec, exec, s[0:1]
.LBB59_315:
	s_or_b64 exec, exec, s[8:9]
	v_mov_b32_e32 v126, 0
	ds_read_b64 v[126:127], v126 offset:216
	s_waitcnt lgkmcnt(0)
	v_mul_f64 v[124:125], v[124:125], v[126:127]
	scratch_store_dwordx2 off, v[124:125], off offset:216
.LBB59_316:
	s_or_b64 exec, exec, s[4:5]
	scratch_load_dwordx2 v[124:125], off, off offset:208
	v_cmp_lt_u32_e64 s[0:1], 26, v0
	s_waitcnt vmcnt(0)
	ds_write_b64 v1, v[124:125]
	s_waitcnt lgkmcnt(0)
	; wave barrier
	s_and_saveexec_b64 s[4:5], s[0:1]
	s_cbranch_execz .LBB59_326
; %bb.317:
	s_andn2_b64 vcc, exec, s[6:7]
	s_cbranch_vccnz .LBB59_319
; %bb.318:
	scratch_load_dwordx2 v[124:125], v17, off
	ds_read_b64 v[126:127], v1
	s_waitcnt vmcnt(0) lgkmcnt(0)
	v_mul_f64 v[124:125], v[124:125], v[126:127]
	s_cbranch_execz .LBB59_320
	s_branch .LBB59_321
.LBB59_319:
                                        ; implicit-def: $vgpr124_vgpr125
.LBB59_320:
	ds_read_b64 v[124:125], v1
.LBB59_321:
	s_and_saveexec_b64 s[8:9], s[2:3]
	s_cbranch_execz .LBB59_325
; %bb.322:
	s_movk_i32 s23, 0xd8
	v_subrev_u32_e32 v126, 27, v0
	s_movk_i32 s24, 0x2b8
	s_mov_b64 s[2:3], 0
.LBB59_323:                             ; =>This Inner Loop Header: Depth=1
	scratch_load_dwordx2 v[128:129], off, s23
	v_mov_b32_e32 v127, s24
	ds_read_b64 v[130:131], v127
	v_add_u32_e32 v126, -1, v126
	s_add_i32 s24, s24, 8
	s_add_i32 s23, s23, 8
	v_cmp_eq_u32_e32 vcc, 0, v126
	s_or_b64 s[2:3], vcc, s[2:3]
	s_waitcnt vmcnt(0) lgkmcnt(0)
	v_fmac_f64_e32 v[124:125], v[128:129], v[130:131]
	s_andn2_b64 exec, exec, s[2:3]
	s_cbranch_execnz .LBB59_323
; %bb.324:
	s_or_b64 exec, exec, s[2:3]
.LBB59_325:
	s_or_b64 exec, exec, s[8:9]
	v_mov_b32_e32 v126, 0
	ds_read_b64 v[126:127], v126 offset:208
	s_waitcnt lgkmcnt(0)
	v_mul_f64 v[124:125], v[124:125], v[126:127]
	scratch_store_dwordx2 off, v[124:125], off offset:208
.LBB59_326:
	s_or_b64 exec, exec, s[4:5]
	scratch_load_dwordx2 v[124:125], off, off offset:200
	v_cmp_lt_u32_e64 s[2:3], 25, v0
	s_waitcnt vmcnt(0)
	ds_write_b64 v1, v[124:125]
	s_waitcnt lgkmcnt(0)
	; wave barrier
	s_and_saveexec_b64 s[4:5], s[2:3]
	s_cbranch_execz .LBB59_336
; %bb.327:
	s_andn2_b64 vcc, exec, s[6:7]
	s_cbranch_vccnz .LBB59_329
; %bb.328:
	scratch_load_dwordx2 v[124:125], v17, off
	ds_read_b64 v[126:127], v1
	s_waitcnt vmcnt(0) lgkmcnt(0)
	v_mul_f64 v[124:125], v[124:125], v[126:127]
	s_cbranch_execz .LBB59_330
	s_branch .LBB59_331
.LBB59_329:
                                        ; implicit-def: $vgpr124_vgpr125
.LBB59_330:
	ds_read_b64 v[124:125], v1
.LBB59_331:
	s_and_saveexec_b64 s[8:9], s[0:1]
	s_cbranch_execz .LBB59_335
; %bb.332:
	v_subrev_u32_e32 v126, 26, v0
	s_movk_i32 s23, 0x2b0
	s_mov_b64 s[0:1], 0
.LBB59_333:                             ; =>This Inner Loop Header: Depth=1
	scratch_load_dwordx2 v[128:129], off, s22
	v_mov_b32_e32 v127, s23
	ds_read_b64 v[130:131], v127
	v_add_u32_e32 v126, -1, v126
	s_add_i32 s23, s23, 8
	s_add_i32 s22, s22, 8
	v_cmp_eq_u32_e32 vcc, 0, v126
	s_or_b64 s[0:1], vcc, s[0:1]
	s_waitcnt vmcnt(0) lgkmcnt(0)
	v_fmac_f64_e32 v[124:125], v[128:129], v[130:131]
	s_andn2_b64 exec, exec, s[0:1]
	s_cbranch_execnz .LBB59_333
; %bb.334:
	s_or_b64 exec, exec, s[0:1]
.LBB59_335:
	s_or_b64 exec, exec, s[8:9]
	v_mov_b32_e32 v126, 0
	ds_read_b64 v[126:127], v126 offset:200
	s_waitcnt lgkmcnt(0)
	v_mul_f64 v[124:125], v[124:125], v[126:127]
	scratch_store_dwordx2 off, v[124:125], off offset:200
.LBB59_336:
	s_or_b64 exec, exec, s[4:5]
	scratch_load_dwordx2 v[124:125], off, off offset:192
	v_cmp_lt_u32_e64 s[0:1], 24, v0
	s_waitcnt vmcnt(0)
	ds_write_b64 v1, v[124:125]
	s_waitcnt lgkmcnt(0)
	; wave barrier
	s_and_saveexec_b64 s[4:5], s[0:1]
	s_cbranch_execz .LBB59_346
; %bb.337:
	s_andn2_b64 vcc, exec, s[6:7]
	s_cbranch_vccnz .LBB59_339
; %bb.338:
	scratch_load_dwordx2 v[124:125], v17, off
	ds_read_b64 v[126:127], v1
	s_waitcnt vmcnt(0) lgkmcnt(0)
	v_mul_f64 v[124:125], v[124:125], v[126:127]
	s_cbranch_execz .LBB59_340
	s_branch .LBB59_341
.LBB59_339:
                                        ; implicit-def: $vgpr124_vgpr125
.LBB59_340:
	ds_read_b64 v[124:125], v1
.LBB59_341:
	s_and_saveexec_b64 s[8:9], s[2:3]
	s_cbranch_execz .LBB59_345
; %bb.342:
	s_movk_i32 s22, 0xc8
	v_subrev_u32_e32 v126, 25, v0
	s_movk_i32 s23, 0x2a8
	s_mov_b64 s[2:3], 0
.LBB59_343:                             ; =>This Inner Loop Header: Depth=1
	scratch_load_dwordx2 v[128:129], off, s22
	v_mov_b32_e32 v127, s23
	ds_read_b64 v[130:131], v127
	v_add_u32_e32 v126, -1, v126
	s_add_i32 s23, s23, 8
	s_add_i32 s22, s22, 8
	v_cmp_eq_u32_e32 vcc, 0, v126
	s_or_b64 s[2:3], vcc, s[2:3]
	s_waitcnt vmcnt(0) lgkmcnt(0)
	v_fmac_f64_e32 v[124:125], v[128:129], v[130:131]
	s_andn2_b64 exec, exec, s[2:3]
	s_cbranch_execnz .LBB59_343
; %bb.344:
	s_or_b64 exec, exec, s[2:3]
.LBB59_345:
	s_or_b64 exec, exec, s[8:9]
	v_mov_b32_e32 v126, 0
	ds_read_b64 v[126:127], v126 offset:192
	s_waitcnt lgkmcnt(0)
	v_mul_f64 v[124:125], v[124:125], v[126:127]
	scratch_store_dwordx2 off, v[124:125], off offset:192
.LBB59_346:
	s_or_b64 exec, exec, s[4:5]
	scratch_load_dwordx2 v[124:125], off, off offset:184
	v_cmp_lt_u32_e64 s[2:3], 23, v0
	s_waitcnt vmcnt(0)
	ds_write_b64 v1, v[124:125]
	s_waitcnt lgkmcnt(0)
	; wave barrier
	s_and_saveexec_b64 s[4:5], s[2:3]
	s_cbranch_execz .LBB59_356
; %bb.347:
	s_andn2_b64 vcc, exec, s[6:7]
	s_cbranch_vccnz .LBB59_349
; %bb.348:
	scratch_load_dwordx2 v[124:125], v17, off
	ds_read_b64 v[126:127], v1
	s_waitcnt vmcnt(0) lgkmcnt(0)
	v_mul_f64 v[124:125], v[124:125], v[126:127]
	s_cbranch_execz .LBB59_350
	s_branch .LBB59_351
.LBB59_349:
                                        ; implicit-def: $vgpr124_vgpr125
.LBB59_350:
	ds_read_b64 v[124:125], v1
.LBB59_351:
	s_and_saveexec_b64 s[8:9], s[0:1]
	s_cbranch_execz .LBB59_355
; %bb.352:
	v_subrev_u32_e32 v126, 24, v0
	s_movk_i32 s22, 0x2a0
	s_mov_b64 s[0:1], 0
.LBB59_353:                             ; =>This Inner Loop Header: Depth=1
	scratch_load_dwordx2 v[128:129], off, s21
	v_mov_b32_e32 v127, s22
	ds_read_b64 v[130:131], v127
	v_add_u32_e32 v126, -1, v126
	s_add_i32 s22, s22, 8
	s_add_i32 s21, s21, 8
	v_cmp_eq_u32_e32 vcc, 0, v126
	s_or_b64 s[0:1], vcc, s[0:1]
	s_waitcnt vmcnt(0) lgkmcnt(0)
	v_fmac_f64_e32 v[124:125], v[128:129], v[130:131]
	s_andn2_b64 exec, exec, s[0:1]
	s_cbranch_execnz .LBB59_353
; %bb.354:
	s_or_b64 exec, exec, s[0:1]
.LBB59_355:
	s_or_b64 exec, exec, s[8:9]
	v_mov_b32_e32 v126, 0
	ds_read_b64 v[126:127], v126 offset:184
	s_waitcnt lgkmcnt(0)
	v_mul_f64 v[124:125], v[124:125], v[126:127]
	scratch_store_dwordx2 off, v[124:125], off offset:184
.LBB59_356:
	s_or_b64 exec, exec, s[4:5]
	scratch_load_dwordx2 v[124:125], off, off offset:176
	v_cmp_lt_u32_e64 s[0:1], 22, v0
	s_waitcnt vmcnt(0)
	ds_write_b64 v1, v[124:125]
	s_waitcnt lgkmcnt(0)
	; wave barrier
	s_and_saveexec_b64 s[4:5], s[0:1]
	s_cbranch_execz .LBB59_366
; %bb.357:
	s_andn2_b64 vcc, exec, s[6:7]
	s_cbranch_vccnz .LBB59_359
; %bb.358:
	scratch_load_dwordx2 v[124:125], v17, off
	ds_read_b64 v[126:127], v1
	s_waitcnt vmcnt(0) lgkmcnt(0)
	v_mul_f64 v[124:125], v[124:125], v[126:127]
	s_cbranch_execz .LBB59_360
	s_branch .LBB59_361
.LBB59_359:
                                        ; implicit-def: $vgpr124_vgpr125
.LBB59_360:
	ds_read_b64 v[124:125], v1
.LBB59_361:
	s_and_saveexec_b64 s[8:9], s[2:3]
	s_cbranch_execz .LBB59_365
; %bb.362:
	s_movk_i32 s21, 0xb8
	v_subrev_u32_e32 v126, 23, v0
	s_movk_i32 s22, 0x298
	s_mov_b64 s[2:3], 0
.LBB59_363:                             ; =>This Inner Loop Header: Depth=1
	scratch_load_dwordx2 v[128:129], off, s21
	v_mov_b32_e32 v127, s22
	ds_read_b64 v[130:131], v127
	v_add_u32_e32 v126, -1, v126
	s_add_i32 s22, s22, 8
	s_add_i32 s21, s21, 8
	v_cmp_eq_u32_e32 vcc, 0, v126
	s_or_b64 s[2:3], vcc, s[2:3]
	s_waitcnt vmcnt(0) lgkmcnt(0)
	v_fmac_f64_e32 v[124:125], v[128:129], v[130:131]
	s_andn2_b64 exec, exec, s[2:3]
	s_cbranch_execnz .LBB59_363
; %bb.364:
	s_or_b64 exec, exec, s[2:3]
.LBB59_365:
	s_or_b64 exec, exec, s[8:9]
	v_mov_b32_e32 v126, 0
	ds_read_b64 v[126:127], v126 offset:176
	s_waitcnt lgkmcnt(0)
	v_mul_f64 v[124:125], v[124:125], v[126:127]
	scratch_store_dwordx2 off, v[124:125], off offset:176
.LBB59_366:
	s_or_b64 exec, exec, s[4:5]
	scratch_load_dwordx2 v[124:125], off, off offset:168
	v_cmp_lt_u32_e64 s[2:3], 21, v0
	s_waitcnt vmcnt(0)
	ds_write_b64 v1, v[124:125]
	s_waitcnt lgkmcnt(0)
	; wave barrier
	s_and_saveexec_b64 s[4:5], s[2:3]
	s_cbranch_execz .LBB59_376
; %bb.367:
	s_andn2_b64 vcc, exec, s[6:7]
	s_cbranch_vccnz .LBB59_369
; %bb.368:
	scratch_load_dwordx2 v[124:125], v17, off
	ds_read_b64 v[126:127], v1
	s_waitcnt vmcnt(0) lgkmcnt(0)
	v_mul_f64 v[124:125], v[124:125], v[126:127]
	s_cbranch_execz .LBB59_370
	s_branch .LBB59_371
.LBB59_369:
                                        ; implicit-def: $vgpr124_vgpr125
.LBB59_370:
	ds_read_b64 v[124:125], v1
.LBB59_371:
	s_and_saveexec_b64 s[8:9], s[0:1]
	s_cbranch_execz .LBB59_375
; %bb.372:
	v_subrev_u32_e32 v126, 22, v0
	s_movk_i32 s21, 0x290
	s_mov_b64 s[0:1], 0
.LBB59_373:                             ; =>This Inner Loop Header: Depth=1
	scratch_load_dwordx2 v[128:129], off, s20
	v_mov_b32_e32 v127, s21
	ds_read_b64 v[130:131], v127
	v_add_u32_e32 v126, -1, v126
	s_add_i32 s21, s21, 8
	s_add_i32 s20, s20, 8
	v_cmp_eq_u32_e32 vcc, 0, v126
	s_or_b64 s[0:1], vcc, s[0:1]
	s_waitcnt vmcnt(0) lgkmcnt(0)
	v_fmac_f64_e32 v[124:125], v[128:129], v[130:131]
	s_andn2_b64 exec, exec, s[0:1]
	s_cbranch_execnz .LBB59_373
; %bb.374:
	s_or_b64 exec, exec, s[0:1]
.LBB59_375:
	s_or_b64 exec, exec, s[8:9]
	v_mov_b32_e32 v126, 0
	ds_read_b64 v[126:127], v126 offset:168
	s_waitcnt lgkmcnt(0)
	v_mul_f64 v[124:125], v[124:125], v[126:127]
	scratch_store_dwordx2 off, v[124:125], off offset:168
.LBB59_376:
	s_or_b64 exec, exec, s[4:5]
	scratch_load_dwordx2 v[124:125], off, off offset:160
	v_cmp_lt_u32_e64 s[0:1], 20, v0
	s_waitcnt vmcnt(0)
	ds_write_b64 v1, v[124:125]
	s_waitcnt lgkmcnt(0)
	; wave barrier
	s_and_saveexec_b64 s[4:5], s[0:1]
	s_cbranch_execz .LBB59_386
; %bb.377:
	s_andn2_b64 vcc, exec, s[6:7]
	s_cbranch_vccnz .LBB59_379
; %bb.378:
	scratch_load_dwordx2 v[124:125], v17, off
	ds_read_b64 v[126:127], v1
	s_waitcnt vmcnt(0) lgkmcnt(0)
	v_mul_f64 v[124:125], v[124:125], v[126:127]
	s_cbranch_execz .LBB59_380
	s_branch .LBB59_381
.LBB59_379:
                                        ; implicit-def: $vgpr124_vgpr125
.LBB59_380:
	ds_read_b64 v[124:125], v1
.LBB59_381:
	s_and_saveexec_b64 s[8:9], s[2:3]
	s_cbranch_execz .LBB59_385
; %bb.382:
	s_movk_i32 s20, 0xa8
	v_subrev_u32_e32 v126, 21, v0
	s_movk_i32 s21, 0x288
	s_mov_b64 s[2:3], 0
.LBB59_383:                             ; =>This Inner Loop Header: Depth=1
	scratch_load_dwordx2 v[128:129], off, s20
	v_mov_b32_e32 v127, s21
	ds_read_b64 v[130:131], v127
	v_add_u32_e32 v126, -1, v126
	s_add_i32 s21, s21, 8
	s_add_i32 s20, s20, 8
	v_cmp_eq_u32_e32 vcc, 0, v126
	s_or_b64 s[2:3], vcc, s[2:3]
	s_waitcnt vmcnt(0) lgkmcnt(0)
	v_fmac_f64_e32 v[124:125], v[128:129], v[130:131]
	s_andn2_b64 exec, exec, s[2:3]
	s_cbranch_execnz .LBB59_383
; %bb.384:
	s_or_b64 exec, exec, s[2:3]
.LBB59_385:
	s_or_b64 exec, exec, s[8:9]
	v_mov_b32_e32 v126, 0
	ds_read_b64 v[126:127], v126 offset:160
	s_waitcnt lgkmcnt(0)
	v_mul_f64 v[124:125], v[124:125], v[126:127]
	scratch_store_dwordx2 off, v[124:125], off offset:160
.LBB59_386:
	s_or_b64 exec, exec, s[4:5]
	scratch_load_dwordx2 v[124:125], off, off offset:152
	v_cmp_lt_u32_e64 s[2:3], 19, v0
	s_waitcnt vmcnt(0)
	ds_write_b64 v1, v[124:125]
	s_waitcnt lgkmcnt(0)
	; wave barrier
	s_and_saveexec_b64 s[4:5], s[2:3]
	s_cbranch_execz .LBB59_396
; %bb.387:
	s_andn2_b64 vcc, exec, s[6:7]
	s_cbranch_vccnz .LBB59_389
; %bb.388:
	scratch_load_dwordx2 v[124:125], v17, off
	ds_read_b64 v[126:127], v1
	s_waitcnt vmcnt(0) lgkmcnt(0)
	v_mul_f64 v[124:125], v[124:125], v[126:127]
	s_cbranch_execz .LBB59_390
	s_branch .LBB59_391
.LBB59_389:
                                        ; implicit-def: $vgpr124_vgpr125
.LBB59_390:
	ds_read_b64 v[124:125], v1
.LBB59_391:
	s_and_saveexec_b64 s[8:9], s[0:1]
	s_cbranch_execz .LBB59_395
; %bb.392:
	v_subrev_u32_e32 v126, 20, v0
	s_movk_i32 s20, 0x280
	s_mov_b64 s[0:1], 0
.LBB59_393:                             ; =>This Inner Loop Header: Depth=1
	scratch_load_dwordx2 v[128:129], off, s19
	v_mov_b32_e32 v127, s20
	ds_read_b64 v[130:131], v127
	v_add_u32_e32 v126, -1, v126
	s_add_i32 s20, s20, 8
	s_add_i32 s19, s19, 8
	v_cmp_eq_u32_e32 vcc, 0, v126
	s_or_b64 s[0:1], vcc, s[0:1]
	s_waitcnt vmcnt(0) lgkmcnt(0)
	v_fmac_f64_e32 v[124:125], v[128:129], v[130:131]
	s_andn2_b64 exec, exec, s[0:1]
	s_cbranch_execnz .LBB59_393
; %bb.394:
	s_or_b64 exec, exec, s[0:1]
.LBB59_395:
	s_or_b64 exec, exec, s[8:9]
	v_mov_b32_e32 v126, 0
	ds_read_b64 v[126:127], v126 offset:152
	s_waitcnt lgkmcnt(0)
	v_mul_f64 v[124:125], v[124:125], v[126:127]
	scratch_store_dwordx2 off, v[124:125], off offset:152
.LBB59_396:
	s_or_b64 exec, exec, s[4:5]
	scratch_load_dwordx2 v[124:125], off, off offset:144
	v_cmp_lt_u32_e64 s[0:1], 18, v0
	s_waitcnt vmcnt(0)
	ds_write_b64 v1, v[124:125]
	s_waitcnt lgkmcnt(0)
	; wave barrier
	s_and_saveexec_b64 s[4:5], s[0:1]
	s_cbranch_execz .LBB59_406
; %bb.397:
	s_andn2_b64 vcc, exec, s[6:7]
	s_cbranch_vccnz .LBB59_399
; %bb.398:
	scratch_load_dwordx2 v[124:125], v17, off
	ds_read_b64 v[126:127], v1
	s_waitcnt vmcnt(0) lgkmcnt(0)
	v_mul_f64 v[124:125], v[124:125], v[126:127]
	s_cbranch_execz .LBB59_400
	s_branch .LBB59_401
.LBB59_399:
                                        ; implicit-def: $vgpr124_vgpr125
.LBB59_400:
	ds_read_b64 v[124:125], v1
.LBB59_401:
	s_and_saveexec_b64 s[8:9], s[2:3]
	s_cbranch_execz .LBB59_405
; %bb.402:
	s_movk_i32 s19, 0x98
	v_subrev_u32_e32 v126, 19, v0
	s_movk_i32 s20, 0x278
	s_mov_b64 s[2:3], 0
.LBB59_403:                             ; =>This Inner Loop Header: Depth=1
	scratch_load_dwordx2 v[128:129], off, s19
	v_mov_b32_e32 v127, s20
	ds_read_b64 v[130:131], v127
	v_add_u32_e32 v126, -1, v126
	s_add_i32 s20, s20, 8
	s_add_i32 s19, s19, 8
	v_cmp_eq_u32_e32 vcc, 0, v126
	s_or_b64 s[2:3], vcc, s[2:3]
	s_waitcnt vmcnt(0) lgkmcnt(0)
	v_fmac_f64_e32 v[124:125], v[128:129], v[130:131]
	s_andn2_b64 exec, exec, s[2:3]
	s_cbranch_execnz .LBB59_403
; %bb.404:
	s_or_b64 exec, exec, s[2:3]
.LBB59_405:
	s_or_b64 exec, exec, s[8:9]
	v_mov_b32_e32 v126, 0
	ds_read_b64 v[126:127], v126 offset:144
	s_waitcnt lgkmcnt(0)
	v_mul_f64 v[124:125], v[124:125], v[126:127]
	scratch_store_dwordx2 off, v[124:125], off offset:144
.LBB59_406:
	s_or_b64 exec, exec, s[4:5]
	scratch_load_dwordx2 v[124:125], off, off offset:136
	v_cmp_lt_u32_e64 s[2:3], 17, v0
	s_waitcnt vmcnt(0)
	ds_write_b64 v1, v[124:125]
	s_waitcnt lgkmcnt(0)
	; wave barrier
	s_and_saveexec_b64 s[4:5], s[2:3]
	s_cbranch_execz .LBB59_416
; %bb.407:
	s_andn2_b64 vcc, exec, s[6:7]
	s_cbranch_vccnz .LBB59_409
; %bb.408:
	scratch_load_dwordx2 v[124:125], v17, off
	ds_read_b64 v[126:127], v1
	s_waitcnt vmcnt(0) lgkmcnt(0)
	v_mul_f64 v[124:125], v[124:125], v[126:127]
	s_cbranch_execz .LBB59_410
	s_branch .LBB59_411
.LBB59_409:
                                        ; implicit-def: $vgpr124_vgpr125
.LBB59_410:
	ds_read_b64 v[124:125], v1
.LBB59_411:
	s_and_saveexec_b64 s[8:9], s[0:1]
	s_cbranch_execz .LBB59_415
; %bb.412:
	v_subrev_u32_e32 v126, 18, v0
	s_movk_i32 s19, 0x270
	s_mov_b64 s[0:1], 0
.LBB59_413:                             ; =>This Inner Loop Header: Depth=1
	scratch_load_dwordx2 v[128:129], off, s18
	v_mov_b32_e32 v127, s19
	ds_read_b64 v[130:131], v127
	v_add_u32_e32 v126, -1, v126
	s_add_i32 s19, s19, 8
	s_add_i32 s18, s18, 8
	v_cmp_eq_u32_e32 vcc, 0, v126
	s_or_b64 s[0:1], vcc, s[0:1]
	s_waitcnt vmcnt(0) lgkmcnt(0)
	v_fmac_f64_e32 v[124:125], v[128:129], v[130:131]
	s_andn2_b64 exec, exec, s[0:1]
	s_cbranch_execnz .LBB59_413
; %bb.414:
	s_or_b64 exec, exec, s[0:1]
.LBB59_415:
	s_or_b64 exec, exec, s[8:9]
	v_mov_b32_e32 v126, 0
	ds_read_b64 v[126:127], v126 offset:136
	s_waitcnt lgkmcnt(0)
	v_mul_f64 v[124:125], v[124:125], v[126:127]
	scratch_store_dwordx2 off, v[124:125], off offset:136
.LBB59_416:
	s_or_b64 exec, exec, s[4:5]
	scratch_load_dwordx2 v[124:125], off, off offset:128
	v_cmp_lt_u32_e64 s[0:1], 16, v0
	s_waitcnt vmcnt(0)
	ds_write_b64 v1, v[124:125]
	s_waitcnt lgkmcnt(0)
	; wave barrier
	s_and_saveexec_b64 s[4:5], s[0:1]
	s_cbranch_execz .LBB59_426
; %bb.417:
	s_andn2_b64 vcc, exec, s[6:7]
	s_cbranch_vccnz .LBB59_419
; %bb.418:
	scratch_load_dwordx2 v[124:125], v17, off
	ds_read_b64 v[126:127], v1
	s_waitcnt vmcnt(0) lgkmcnt(0)
	v_mul_f64 v[124:125], v[124:125], v[126:127]
	s_cbranch_execz .LBB59_420
	s_branch .LBB59_421
.LBB59_419:
                                        ; implicit-def: $vgpr124_vgpr125
.LBB59_420:
	ds_read_b64 v[124:125], v1
.LBB59_421:
	s_and_saveexec_b64 s[8:9], s[2:3]
	s_cbranch_execz .LBB59_425
; %bb.422:
	s_movk_i32 s18, 0x88
	v_subrev_u32_e32 v126, 17, v0
	s_movk_i32 s19, 0x268
	s_mov_b64 s[2:3], 0
.LBB59_423:                             ; =>This Inner Loop Header: Depth=1
	scratch_load_dwordx2 v[128:129], off, s18
	v_mov_b32_e32 v127, s19
	ds_read_b64 v[130:131], v127
	v_add_u32_e32 v126, -1, v126
	s_add_i32 s19, s19, 8
	s_add_i32 s18, s18, 8
	v_cmp_eq_u32_e32 vcc, 0, v126
	s_or_b64 s[2:3], vcc, s[2:3]
	s_waitcnt vmcnt(0) lgkmcnt(0)
	v_fmac_f64_e32 v[124:125], v[128:129], v[130:131]
	s_andn2_b64 exec, exec, s[2:3]
	s_cbranch_execnz .LBB59_423
; %bb.424:
	s_or_b64 exec, exec, s[2:3]
.LBB59_425:
	s_or_b64 exec, exec, s[8:9]
	v_mov_b32_e32 v126, 0
	ds_read_b64 v[126:127], v126 offset:128
	s_waitcnt lgkmcnt(0)
	v_mul_f64 v[124:125], v[124:125], v[126:127]
	scratch_store_dwordx2 off, v[124:125], off offset:128
.LBB59_426:
	s_or_b64 exec, exec, s[4:5]
	scratch_load_dwordx2 v[124:125], off, off offset:120
	v_cmp_lt_u32_e64 s[2:3], 15, v0
	s_waitcnt vmcnt(0)
	ds_write_b64 v1, v[124:125]
	s_waitcnt lgkmcnt(0)
	; wave barrier
	s_and_saveexec_b64 s[4:5], s[2:3]
	s_cbranch_execz .LBB59_436
; %bb.427:
	s_andn2_b64 vcc, exec, s[6:7]
	s_cbranch_vccnz .LBB59_429
; %bb.428:
	scratch_load_dwordx2 v[124:125], v17, off
	ds_read_b64 v[126:127], v1
	s_waitcnt vmcnt(0) lgkmcnt(0)
	v_mul_f64 v[124:125], v[124:125], v[126:127]
	s_cbranch_execz .LBB59_430
	s_branch .LBB59_431
.LBB59_429:
                                        ; implicit-def: $vgpr124_vgpr125
.LBB59_430:
	ds_read_b64 v[124:125], v1
.LBB59_431:
	s_and_saveexec_b64 s[8:9], s[0:1]
	s_cbranch_execz .LBB59_435
; %bb.432:
	v_add_u32_e32 v126, -16, v0
	s_movk_i32 s18, 0x260
	s_mov_b64 s[0:1], 0
.LBB59_433:                             ; =>This Inner Loop Header: Depth=1
	scratch_load_dwordx2 v[128:129], off, s17
	v_mov_b32_e32 v127, s18
	ds_read_b64 v[130:131], v127
	v_add_u32_e32 v126, -1, v126
	s_add_i32 s18, s18, 8
	s_add_i32 s17, s17, 8
	v_cmp_eq_u32_e32 vcc, 0, v126
	s_or_b64 s[0:1], vcc, s[0:1]
	s_waitcnt vmcnt(0) lgkmcnt(0)
	v_fmac_f64_e32 v[124:125], v[128:129], v[130:131]
	s_andn2_b64 exec, exec, s[0:1]
	s_cbranch_execnz .LBB59_433
; %bb.434:
	s_or_b64 exec, exec, s[0:1]
.LBB59_435:
	s_or_b64 exec, exec, s[8:9]
	v_mov_b32_e32 v126, 0
	ds_read_b64 v[126:127], v126 offset:120
	s_waitcnt lgkmcnt(0)
	v_mul_f64 v[124:125], v[124:125], v[126:127]
	scratch_store_dwordx2 off, v[124:125], off offset:120
.LBB59_436:
	s_or_b64 exec, exec, s[4:5]
	scratch_load_dwordx2 v[124:125], off, off offset:112
	v_cmp_lt_u32_e64 s[0:1], 14, v0
	s_waitcnt vmcnt(0)
	ds_write_b64 v1, v[124:125]
	s_waitcnt lgkmcnt(0)
	; wave barrier
	s_and_saveexec_b64 s[4:5], s[0:1]
	s_cbranch_execz .LBB59_446
; %bb.437:
	s_andn2_b64 vcc, exec, s[6:7]
	s_cbranch_vccnz .LBB59_439
; %bb.438:
	scratch_load_dwordx2 v[124:125], v17, off
	ds_read_b64 v[126:127], v1
	s_waitcnt vmcnt(0) lgkmcnt(0)
	v_mul_f64 v[124:125], v[124:125], v[126:127]
	s_cbranch_execz .LBB59_440
	s_branch .LBB59_441
.LBB59_439:
                                        ; implicit-def: $vgpr124_vgpr125
.LBB59_440:
	ds_read_b64 v[124:125], v1
.LBB59_441:
	s_and_saveexec_b64 s[8:9], s[2:3]
	s_cbranch_execz .LBB59_445
; %bb.442:
	s_movk_i32 s17, 0x78
	v_add_u32_e32 v126, -15, v0
	s_movk_i32 s18, 0x258
	s_mov_b64 s[2:3], 0
.LBB59_443:                             ; =>This Inner Loop Header: Depth=1
	scratch_load_dwordx2 v[128:129], off, s17
	v_mov_b32_e32 v127, s18
	ds_read_b64 v[130:131], v127
	v_add_u32_e32 v126, -1, v126
	s_add_i32 s18, s18, 8
	s_add_i32 s17, s17, 8
	v_cmp_eq_u32_e32 vcc, 0, v126
	s_or_b64 s[2:3], vcc, s[2:3]
	s_waitcnt vmcnt(0) lgkmcnt(0)
	v_fmac_f64_e32 v[124:125], v[128:129], v[130:131]
	s_andn2_b64 exec, exec, s[2:3]
	s_cbranch_execnz .LBB59_443
; %bb.444:
	s_or_b64 exec, exec, s[2:3]
.LBB59_445:
	s_or_b64 exec, exec, s[8:9]
	v_mov_b32_e32 v126, 0
	ds_read_b64 v[126:127], v126 offset:112
	s_waitcnt lgkmcnt(0)
	v_mul_f64 v[124:125], v[124:125], v[126:127]
	scratch_store_dwordx2 off, v[124:125], off offset:112
.LBB59_446:
	s_or_b64 exec, exec, s[4:5]
	scratch_load_dwordx2 v[124:125], off, off offset:104
	v_cmp_lt_u32_e64 s[2:3], 13, v0
	s_waitcnt vmcnt(0)
	ds_write_b64 v1, v[124:125]
	s_waitcnt lgkmcnt(0)
	; wave barrier
	s_and_saveexec_b64 s[4:5], s[2:3]
	s_cbranch_execz .LBB59_456
; %bb.447:
	s_andn2_b64 vcc, exec, s[6:7]
	s_cbranch_vccnz .LBB59_449
; %bb.448:
	scratch_load_dwordx2 v[124:125], v17, off
	ds_read_b64 v[126:127], v1
	s_waitcnt vmcnt(0) lgkmcnt(0)
	v_mul_f64 v[124:125], v[124:125], v[126:127]
	s_cbranch_execz .LBB59_450
	s_branch .LBB59_451
.LBB59_449:
                                        ; implicit-def: $vgpr124_vgpr125
.LBB59_450:
	ds_read_b64 v[124:125], v1
.LBB59_451:
	s_and_saveexec_b64 s[8:9], s[0:1]
	s_cbranch_execz .LBB59_455
; %bb.452:
	v_add_u32_e32 v126, -14, v0
	s_movk_i32 s17, 0x250
	s_mov_b64 s[0:1], 0
.LBB59_453:                             ; =>This Inner Loop Header: Depth=1
	scratch_load_dwordx2 v[128:129], off, s16
	v_mov_b32_e32 v127, s17
	ds_read_b64 v[130:131], v127
	v_add_u32_e32 v126, -1, v126
	s_add_i32 s17, s17, 8
	s_add_i32 s16, s16, 8
	v_cmp_eq_u32_e32 vcc, 0, v126
	s_or_b64 s[0:1], vcc, s[0:1]
	s_waitcnt vmcnt(0) lgkmcnt(0)
	v_fmac_f64_e32 v[124:125], v[128:129], v[130:131]
	s_andn2_b64 exec, exec, s[0:1]
	s_cbranch_execnz .LBB59_453
; %bb.454:
	s_or_b64 exec, exec, s[0:1]
.LBB59_455:
	s_or_b64 exec, exec, s[8:9]
	v_mov_b32_e32 v126, 0
	ds_read_b64 v[126:127], v126 offset:104
	s_waitcnt lgkmcnt(0)
	v_mul_f64 v[124:125], v[124:125], v[126:127]
	scratch_store_dwordx2 off, v[124:125], off offset:104
.LBB59_456:
	s_or_b64 exec, exec, s[4:5]
	scratch_load_dwordx2 v[124:125], off, off offset:96
	v_cmp_lt_u32_e64 s[0:1], 12, v0
	s_waitcnt vmcnt(0)
	ds_write_b64 v1, v[124:125]
	s_waitcnt lgkmcnt(0)
	; wave barrier
	s_and_saveexec_b64 s[4:5], s[0:1]
	s_cbranch_execz .LBB59_466
; %bb.457:
	s_andn2_b64 vcc, exec, s[6:7]
	s_cbranch_vccnz .LBB59_459
; %bb.458:
	scratch_load_dwordx2 v[124:125], v17, off
	ds_read_b64 v[126:127], v1
	s_waitcnt vmcnt(0) lgkmcnt(0)
	v_mul_f64 v[124:125], v[124:125], v[126:127]
	s_cbranch_execz .LBB59_460
	s_branch .LBB59_461
.LBB59_459:
                                        ; implicit-def: $vgpr124_vgpr125
.LBB59_460:
	ds_read_b64 v[124:125], v1
.LBB59_461:
	s_and_saveexec_b64 s[8:9], s[2:3]
	s_cbranch_execz .LBB59_465
; %bb.462:
	s_movk_i32 s16, 0x68
	v_add_u32_e32 v126, -13, v0
	s_movk_i32 s17, 0x248
	s_mov_b64 s[2:3], 0
.LBB59_463:                             ; =>This Inner Loop Header: Depth=1
	scratch_load_dwordx2 v[128:129], off, s16
	v_mov_b32_e32 v127, s17
	ds_read_b64 v[130:131], v127
	v_add_u32_e32 v126, -1, v126
	s_add_i32 s17, s17, 8
	s_add_i32 s16, s16, 8
	v_cmp_eq_u32_e32 vcc, 0, v126
	s_or_b64 s[2:3], vcc, s[2:3]
	s_waitcnt vmcnt(0) lgkmcnt(0)
	v_fmac_f64_e32 v[124:125], v[128:129], v[130:131]
	s_andn2_b64 exec, exec, s[2:3]
	s_cbranch_execnz .LBB59_463
; %bb.464:
	s_or_b64 exec, exec, s[2:3]
.LBB59_465:
	s_or_b64 exec, exec, s[8:9]
	v_mov_b32_e32 v126, 0
	ds_read_b64 v[126:127], v126 offset:96
	s_waitcnt lgkmcnt(0)
	v_mul_f64 v[124:125], v[124:125], v[126:127]
	scratch_store_dwordx2 off, v[124:125], off offset:96
.LBB59_466:
	s_or_b64 exec, exec, s[4:5]
	scratch_load_dwordx2 v[124:125], off, off offset:88
	v_cmp_lt_u32_e64 s[2:3], 11, v0
	s_waitcnt vmcnt(0)
	ds_write_b64 v1, v[124:125]
	s_waitcnt lgkmcnt(0)
	; wave barrier
	s_and_saveexec_b64 s[4:5], s[2:3]
	s_cbranch_execz .LBB59_476
; %bb.467:
	s_andn2_b64 vcc, exec, s[6:7]
	s_cbranch_vccnz .LBB59_469
; %bb.468:
	scratch_load_dwordx2 v[124:125], v17, off
	ds_read_b64 v[126:127], v1
	s_waitcnt vmcnt(0) lgkmcnt(0)
	v_mul_f64 v[124:125], v[124:125], v[126:127]
	s_cbranch_execz .LBB59_470
	s_branch .LBB59_471
.LBB59_469:
                                        ; implicit-def: $vgpr124_vgpr125
.LBB59_470:
	ds_read_b64 v[124:125], v1
.LBB59_471:
	s_and_saveexec_b64 s[8:9], s[0:1]
	s_cbranch_execz .LBB59_475
; %bb.472:
	v_add_u32_e32 v126, -12, v0
	s_movk_i32 s16, 0x240
	s_mov_b64 s[0:1], 0
.LBB59_473:                             ; =>This Inner Loop Header: Depth=1
	scratch_load_dwordx2 v[128:129], off, s15
	v_mov_b32_e32 v127, s16
	ds_read_b64 v[130:131], v127
	v_add_u32_e32 v126, -1, v126
	s_add_i32 s16, s16, 8
	s_add_i32 s15, s15, 8
	v_cmp_eq_u32_e32 vcc, 0, v126
	s_or_b64 s[0:1], vcc, s[0:1]
	s_waitcnt vmcnt(0) lgkmcnt(0)
	v_fmac_f64_e32 v[124:125], v[128:129], v[130:131]
	s_andn2_b64 exec, exec, s[0:1]
	s_cbranch_execnz .LBB59_473
; %bb.474:
	s_or_b64 exec, exec, s[0:1]
.LBB59_475:
	s_or_b64 exec, exec, s[8:9]
	v_mov_b32_e32 v126, 0
	ds_read_b64 v[126:127], v126 offset:88
	s_waitcnt lgkmcnt(0)
	v_mul_f64 v[124:125], v[124:125], v[126:127]
	scratch_store_dwordx2 off, v[124:125], off offset:88
.LBB59_476:
	s_or_b64 exec, exec, s[4:5]
	scratch_load_dwordx2 v[124:125], off, off offset:80
	v_cmp_lt_u32_e64 s[0:1], 10, v0
	s_waitcnt vmcnt(0)
	ds_write_b64 v1, v[124:125]
	s_waitcnt lgkmcnt(0)
	; wave barrier
	s_and_saveexec_b64 s[4:5], s[0:1]
	s_cbranch_execz .LBB59_486
; %bb.477:
	s_andn2_b64 vcc, exec, s[6:7]
	s_cbranch_vccnz .LBB59_479
; %bb.478:
	scratch_load_dwordx2 v[124:125], v17, off
	ds_read_b64 v[126:127], v1
	s_waitcnt vmcnt(0) lgkmcnt(0)
	v_mul_f64 v[124:125], v[124:125], v[126:127]
	s_cbranch_execz .LBB59_480
	s_branch .LBB59_481
.LBB59_479:
                                        ; implicit-def: $vgpr124_vgpr125
.LBB59_480:
	ds_read_b64 v[124:125], v1
.LBB59_481:
	s_and_saveexec_b64 s[8:9], s[2:3]
	s_cbranch_execz .LBB59_485
; %bb.482:
	s_movk_i32 s15, 0x58
	v_add_u32_e32 v126, -11, v0
	s_movk_i32 s16, 0x238
	s_mov_b64 s[2:3], 0
.LBB59_483:                             ; =>This Inner Loop Header: Depth=1
	scratch_load_dwordx2 v[128:129], off, s15
	v_mov_b32_e32 v127, s16
	ds_read_b64 v[130:131], v127
	v_add_u32_e32 v126, -1, v126
	s_add_i32 s16, s16, 8
	s_add_i32 s15, s15, 8
	v_cmp_eq_u32_e32 vcc, 0, v126
	s_or_b64 s[2:3], vcc, s[2:3]
	s_waitcnt vmcnt(0) lgkmcnt(0)
	v_fmac_f64_e32 v[124:125], v[128:129], v[130:131]
	s_andn2_b64 exec, exec, s[2:3]
	s_cbranch_execnz .LBB59_483
; %bb.484:
	s_or_b64 exec, exec, s[2:3]
.LBB59_485:
	s_or_b64 exec, exec, s[8:9]
	v_mov_b32_e32 v126, 0
	ds_read_b64 v[126:127], v126 offset:80
	s_waitcnt lgkmcnt(0)
	v_mul_f64 v[124:125], v[124:125], v[126:127]
	scratch_store_dwordx2 off, v[124:125], off offset:80
.LBB59_486:
	s_or_b64 exec, exec, s[4:5]
	scratch_load_dwordx2 v[124:125], off, off offset:72
	v_cmp_lt_u32_e64 s[2:3], 9, v0
	s_waitcnt vmcnt(0)
	ds_write_b64 v1, v[124:125]
	s_waitcnt lgkmcnt(0)
	; wave barrier
	s_and_saveexec_b64 s[4:5], s[2:3]
	s_cbranch_execz .LBB59_496
; %bb.487:
	s_andn2_b64 vcc, exec, s[6:7]
	s_cbranch_vccnz .LBB59_489
; %bb.488:
	scratch_load_dwordx2 v[124:125], v17, off
	ds_read_b64 v[126:127], v1
	s_waitcnt vmcnt(0) lgkmcnt(0)
	v_mul_f64 v[124:125], v[124:125], v[126:127]
	s_cbranch_execz .LBB59_490
	s_branch .LBB59_491
.LBB59_489:
                                        ; implicit-def: $vgpr124_vgpr125
.LBB59_490:
	ds_read_b64 v[124:125], v1
.LBB59_491:
	s_and_saveexec_b64 s[8:9], s[0:1]
	s_cbranch_execz .LBB59_495
; %bb.492:
	v_add_u32_e32 v126, -10, v0
	s_movk_i32 s15, 0x230
	s_mov_b64 s[0:1], 0
.LBB59_493:                             ; =>This Inner Loop Header: Depth=1
	scratch_load_dwordx2 v[128:129], off, s14
	v_mov_b32_e32 v127, s15
	ds_read_b64 v[130:131], v127
	v_add_u32_e32 v126, -1, v126
	s_add_i32 s15, s15, 8
	s_add_i32 s14, s14, 8
	v_cmp_eq_u32_e32 vcc, 0, v126
	s_or_b64 s[0:1], vcc, s[0:1]
	s_waitcnt vmcnt(0) lgkmcnt(0)
	v_fmac_f64_e32 v[124:125], v[128:129], v[130:131]
	s_andn2_b64 exec, exec, s[0:1]
	s_cbranch_execnz .LBB59_493
; %bb.494:
	s_or_b64 exec, exec, s[0:1]
.LBB59_495:
	s_or_b64 exec, exec, s[8:9]
	v_mov_b32_e32 v126, 0
	ds_read_b64 v[126:127], v126 offset:72
	s_waitcnt lgkmcnt(0)
	v_mul_f64 v[124:125], v[124:125], v[126:127]
	scratch_store_dwordx2 off, v[124:125], off offset:72
.LBB59_496:
	s_or_b64 exec, exec, s[4:5]
	scratch_load_dwordx2 v[124:125], off, off offset:64
	v_cmp_lt_u32_e64 s[0:1], 8, v0
	s_waitcnt vmcnt(0)
	ds_write_b64 v1, v[124:125]
	s_waitcnt lgkmcnt(0)
	; wave barrier
	s_and_saveexec_b64 s[4:5], s[0:1]
	s_cbranch_execz .LBB59_506
; %bb.497:
	s_andn2_b64 vcc, exec, s[6:7]
	s_cbranch_vccnz .LBB59_499
; %bb.498:
	scratch_load_dwordx2 v[124:125], v17, off
	ds_read_b64 v[126:127], v1
	s_waitcnt vmcnt(0) lgkmcnt(0)
	v_mul_f64 v[124:125], v[124:125], v[126:127]
	s_cbranch_execz .LBB59_500
	s_branch .LBB59_501
.LBB59_499:
                                        ; implicit-def: $vgpr124_vgpr125
.LBB59_500:
	ds_read_b64 v[124:125], v1
.LBB59_501:
	s_and_saveexec_b64 s[8:9], s[2:3]
	s_cbranch_execz .LBB59_505
; %bb.502:
	s_movk_i32 s14, 0x48
	v_add_u32_e32 v126, -9, v0
	s_movk_i32 s15, 0x228
	s_mov_b64 s[2:3], 0
.LBB59_503:                             ; =>This Inner Loop Header: Depth=1
	scratch_load_dwordx2 v[128:129], off, s14
	v_mov_b32_e32 v127, s15
	ds_read_b64 v[130:131], v127
	v_add_u32_e32 v126, -1, v126
	s_add_i32 s15, s15, 8
	s_add_i32 s14, s14, 8
	v_cmp_eq_u32_e32 vcc, 0, v126
	s_or_b64 s[2:3], vcc, s[2:3]
	s_waitcnt vmcnt(0) lgkmcnt(0)
	v_fmac_f64_e32 v[124:125], v[128:129], v[130:131]
	s_andn2_b64 exec, exec, s[2:3]
	s_cbranch_execnz .LBB59_503
; %bb.504:
	s_or_b64 exec, exec, s[2:3]
.LBB59_505:
	s_or_b64 exec, exec, s[8:9]
	v_mov_b32_e32 v126, 0
	ds_read_b64 v[126:127], v126 offset:64
	s_waitcnt lgkmcnt(0)
	v_mul_f64 v[124:125], v[124:125], v[126:127]
	scratch_store_dwordx2 off, v[124:125], off offset:64
.LBB59_506:
	s_or_b64 exec, exec, s[4:5]
	scratch_load_dwordx2 v[124:125], off, off offset:56
	v_cmp_lt_u32_e64 s[2:3], 7, v0
	s_waitcnt vmcnt(0)
	ds_write_b64 v1, v[124:125]
	s_waitcnt lgkmcnt(0)
	; wave barrier
	s_and_saveexec_b64 s[4:5], s[2:3]
	s_cbranch_execz .LBB59_516
; %bb.507:
	s_andn2_b64 vcc, exec, s[6:7]
	s_cbranch_vccnz .LBB59_509
; %bb.508:
	scratch_load_dwordx2 v[124:125], v17, off
	ds_read_b64 v[126:127], v1
	s_waitcnt vmcnt(0) lgkmcnt(0)
	v_mul_f64 v[124:125], v[124:125], v[126:127]
	s_cbranch_execz .LBB59_510
	s_branch .LBB59_511
.LBB59_509:
                                        ; implicit-def: $vgpr124_vgpr125
.LBB59_510:
	ds_read_b64 v[124:125], v1
.LBB59_511:
	s_and_saveexec_b64 s[8:9], s[0:1]
	s_cbranch_execz .LBB59_515
; %bb.512:
	v_add_u32_e32 v126, -8, v0
	s_movk_i32 s14, 0x220
	s_mov_b64 s[0:1], 0
.LBB59_513:                             ; =>This Inner Loop Header: Depth=1
	scratch_load_dwordx2 v[128:129], off, s13
	v_mov_b32_e32 v127, s14
	ds_read_b64 v[130:131], v127
	v_add_u32_e32 v126, -1, v126
	s_add_i32 s14, s14, 8
	s_add_i32 s13, s13, 8
	v_cmp_eq_u32_e32 vcc, 0, v126
	s_or_b64 s[0:1], vcc, s[0:1]
	s_waitcnt vmcnt(0) lgkmcnt(0)
	v_fmac_f64_e32 v[124:125], v[128:129], v[130:131]
	s_andn2_b64 exec, exec, s[0:1]
	s_cbranch_execnz .LBB59_513
; %bb.514:
	s_or_b64 exec, exec, s[0:1]
.LBB59_515:
	s_or_b64 exec, exec, s[8:9]
	v_mov_b32_e32 v126, 0
	ds_read_b64 v[126:127], v126 offset:56
	s_waitcnt lgkmcnt(0)
	v_mul_f64 v[124:125], v[124:125], v[126:127]
	scratch_store_dwordx2 off, v[124:125], off offset:56
.LBB59_516:
	s_or_b64 exec, exec, s[4:5]
	scratch_load_dwordx2 v[124:125], off, off offset:48
	v_cmp_lt_u32_e64 s[0:1], 6, v0
	s_waitcnt vmcnt(0)
	ds_write_b64 v1, v[124:125]
	s_waitcnt lgkmcnt(0)
	; wave barrier
	s_and_saveexec_b64 s[4:5], s[0:1]
	s_cbranch_execz .LBB59_526
; %bb.517:
	s_andn2_b64 vcc, exec, s[6:7]
	s_cbranch_vccnz .LBB59_519
; %bb.518:
	scratch_load_dwordx2 v[124:125], v17, off
	ds_read_b64 v[126:127], v1
	s_waitcnt vmcnt(0) lgkmcnt(0)
	v_mul_f64 v[124:125], v[124:125], v[126:127]
	s_cbranch_execz .LBB59_520
	s_branch .LBB59_521
.LBB59_519:
                                        ; implicit-def: $vgpr124_vgpr125
.LBB59_520:
	ds_read_b64 v[124:125], v1
.LBB59_521:
	s_and_saveexec_b64 s[8:9], s[2:3]
	s_cbranch_execz .LBB59_525
; %bb.522:
	s_mov_b32 s13, 56
	v_add_u32_e32 v126, -7, v0
	s_movk_i32 s14, 0x218
	s_mov_b64 s[2:3], 0
.LBB59_523:                             ; =>This Inner Loop Header: Depth=1
	scratch_load_dwordx2 v[128:129], off, s13
	v_mov_b32_e32 v127, s14
	ds_read_b64 v[130:131], v127
	v_add_u32_e32 v126, -1, v126
	s_add_i32 s14, s14, 8
	s_add_i32 s13, s13, 8
	v_cmp_eq_u32_e32 vcc, 0, v126
	s_or_b64 s[2:3], vcc, s[2:3]
	s_waitcnt vmcnt(0) lgkmcnt(0)
	v_fmac_f64_e32 v[124:125], v[128:129], v[130:131]
	s_andn2_b64 exec, exec, s[2:3]
	s_cbranch_execnz .LBB59_523
; %bb.524:
	s_or_b64 exec, exec, s[2:3]
.LBB59_525:
	s_or_b64 exec, exec, s[8:9]
	v_mov_b32_e32 v126, 0
	ds_read_b64 v[126:127], v126 offset:48
	s_waitcnt lgkmcnt(0)
	v_mul_f64 v[124:125], v[124:125], v[126:127]
	scratch_store_dwordx2 off, v[124:125], off offset:48
.LBB59_526:
	s_or_b64 exec, exec, s[4:5]
	scratch_load_dwordx2 v[124:125], off, off offset:40
	v_cmp_lt_u32_e64 s[2:3], 5, v0
	s_waitcnt vmcnt(0)
	ds_write_b64 v1, v[124:125]
	s_waitcnt lgkmcnt(0)
	; wave barrier
	s_and_saveexec_b64 s[4:5], s[2:3]
	s_cbranch_execz .LBB59_536
; %bb.527:
	s_andn2_b64 vcc, exec, s[6:7]
	s_cbranch_vccnz .LBB59_529
; %bb.528:
	scratch_load_dwordx2 v[124:125], v17, off
	ds_read_b64 v[126:127], v1
	s_waitcnt vmcnt(0) lgkmcnt(0)
	v_mul_f64 v[124:125], v[124:125], v[126:127]
	s_cbranch_execz .LBB59_530
	s_branch .LBB59_531
.LBB59_529:
                                        ; implicit-def: $vgpr124_vgpr125
.LBB59_530:
	ds_read_b64 v[124:125], v1
.LBB59_531:
	s_and_saveexec_b64 s[8:9], s[0:1]
	s_cbranch_execz .LBB59_535
; %bb.532:
	v_add_u32_e32 v126, -6, v0
	s_movk_i32 s13, 0x210
	s_mov_b64 s[0:1], 0
.LBB59_533:                             ; =>This Inner Loop Header: Depth=1
	scratch_load_dwordx2 v[128:129], off, s12
	v_mov_b32_e32 v127, s13
	ds_read_b64 v[130:131], v127
	v_add_u32_e32 v126, -1, v126
	s_add_i32 s13, s13, 8
	s_add_i32 s12, s12, 8
	v_cmp_eq_u32_e32 vcc, 0, v126
	s_or_b64 s[0:1], vcc, s[0:1]
	s_waitcnt vmcnt(0) lgkmcnt(0)
	v_fmac_f64_e32 v[124:125], v[128:129], v[130:131]
	s_andn2_b64 exec, exec, s[0:1]
	s_cbranch_execnz .LBB59_533
; %bb.534:
	s_or_b64 exec, exec, s[0:1]
.LBB59_535:
	s_or_b64 exec, exec, s[8:9]
	v_mov_b32_e32 v126, 0
	ds_read_b64 v[126:127], v126 offset:40
	s_waitcnt lgkmcnt(0)
	v_mul_f64 v[124:125], v[124:125], v[126:127]
	scratch_store_dwordx2 off, v[124:125], off offset:40
.LBB59_536:
	s_or_b64 exec, exec, s[4:5]
	scratch_load_dwordx2 v[124:125], off, off offset:32
	v_cmp_lt_u32_e64 s[0:1], 4, v0
	s_waitcnt vmcnt(0)
	ds_write_b64 v1, v[124:125]
	s_waitcnt lgkmcnt(0)
	; wave barrier
	s_and_saveexec_b64 s[4:5], s[0:1]
	s_cbranch_execz .LBB59_546
; %bb.537:
	s_andn2_b64 vcc, exec, s[6:7]
	s_cbranch_vccnz .LBB59_539
; %bb.538:
	scratch_load_dwordx2 v[124:125], v17, off
	ds_read_b64 v[126:127], v1
	s_waitcnt vmcnt(0) lgkmcnt(0)
	v_mul_f64 v[124:125], v[124:125], v[126:127]
	s_cbranch_execz .LBB59_540
	s_branch .LBB59_541
.LBB59_539:
                                        ; implicit-def: $vgpr124_vgpr125
.LBB59_540:
	ds_read_b64 v[124:125], v1
.LBB59_541:
	s_and_saveexec_b64 s[8:9], s[2:3]
	s_cbranch_execz .LBB59_545
; %bb.542:
	s_mov_b32 s12, 40
	v_add_u32_e32 v126, -5, v0
	s_movk_i32 s13, 0x208
	s_mov_b64 s[2:3], 0
.LBB59_543:                             ; =>This Inner Loop Header: Depth=1
	scratch_load_dwordx2 v[128:129], off, s12
	v_mov_b32_e32 v127, s13
	ds_read_b64 v[130:131], v127
	v_add_u32_e32 v126, -1, v126
	s_add_i32 s13, s13, 8
	s_add_i32 s12, s12, 8
	v_cmp_eq_u32_e32 vcc, 0, v126
	s_or_b64 s[2:3], vcc, s[2:3]
	s_waitcnt vmcnt(0) lgkmcnt(0)
	v_fmac_f64_e32 v[124:125], v[128:129], v[130:131]
	s_andn2_b64 exec, exec, s[2:3]
	s_cbranch_execnz .LBB59_543
; %bb.544:
	s_or_b64 exec, exec, s[2:3]
.LBB59_545:
	s_or_b64 exec, exec, s[8:9]
	v_mov_b32_e32 v126, 0
	ds_read_b64 v[126:127], v126 offset:32
	s_waitcnt lgkmcnt(0)
	v_mul_f64 v[124:125], v[124:125], v[126:127]
	scratch_store_dwordx2 off, v[124:125], off offset:32
.LBB59_546:
	s_or_b64 exec, exec, s[4:5]
	scratch_load_dwordx2 v[124:125], off, off offset:24
	v_cmp_lt_u32_e64 s[2:3], 3, v0
	s_waitcnt vmcnt(0)
	ds_write_b64 v1, v[124:125]
	s_waitcnt lgkmcnt(0)
	; wave barrier
	s_and_saveexec_b64 s[4:5], s[2:3]
	s_cbranch_execz .LBB59_556
; %bb.547:
	s_andn2_b64 vcc, exec, s[6:7]
	s_cbranch_vccnz .LBB59_549
; %bb.548:
	scratch_load_dwordx2 v[124:125], v17, off
	ds_read_b64 v[126:127], v1
	s_waitcnt vmcnt(0) lgkmcnt(0)
	v_mul_f64 v[124:125], v[124:125], v[126:127]
	s_cbranch_execz .LBB59_550
	s_branch .LBB59_551
.LBB59_549:
                                        ; implicit-def: $vgpr124_vgpr125
.LBB59_550:
	ds_read_b64 v[124:125], v1
.LBB59_551:
	s_and_saveexec_b64 s[8:9], s[0:1]
	s_cbranch_execz .LBB59_555
; %bb.552:
	v_add_u32_e32 v126, -4, v0
	s_movk_i32 s12, 0x200
	s_mov_b64 s[0:1], 0
.LBB59_553:                             ; =>This Inner Loop Header: Depth=1
	scratch_load_dwordx2 v[128:129], off, s11
	v_mov_b32_e32 v127, s12
	ds_read_b64 v[130:131], v127
	v_add_u32_e32 v126, -1, v126
	s_add_i32 s12, s12, 8
	s_add_i32 s11, s11, 8
	v_cmp_eq_u32_e32 vcc, 0, v126
	s_or_b64 s[0:1], vcc, s[0:1]
	s_waitcnt vmcnt(0) lgkmcnt(0)
	v_fmac_f64_e32 v[124:125], v[128:129], v[130:131]
	s_andn2_b64 exec, exec, s[0:1]
	s_cbranch_execnz .LBB59_553
; %bb.554:
	s_or_b64 exec, exec, s[0:1]
.LBB59_555:
	s_or_b64 exec, exec, s[8:9]
	v_mov_b32_e32 v126, 0
	ds_read_b64 v[126:127], v126 offset:24
	s_waitcnt lgkmcnt(0)
	v_mul_f64 v[124:125], v[124:125], v[126:127]
	scratch_store_dwordx2 off, v[124:125], off offset:24
.LBB59_556:
	s_or_b64 exec, exec, s[4:5]
	scratch_load_dwordx2 v[124:125], off, off offset:16
	v_cmp_lt_u32_e64 s[0:1], 2, v0
	s_waitcnt vmcnt(0)
	ds_write_b64 v1, v[124:125]
	s_waitcnt lgkmcnt(0)
	; wave barrier
	s_and_saveexec_b64 s[4:5], s[0:1]
	s_cbranch_execz .LBB59_566
; %bb.557:
	s_andn2_b64 vcc, exec, s[6:7]
	s_cbranch_vccnz .LBB59_559
; %bb.558:
	scratch_load_dwordx2 v[124:125], v17, off
	ds_read_b64 v[126:127], v1
	s_waitcnt vmcnt(0) lgkmcnt(0)
	v_mul_f64 v[124:125], v[124:125], v[126:127]
	s_cbranch_execz .LBB59_560
	s_branch .LBB59_561
.LBB59_559:
                                        ; implicit-def: $vgpr124_vgpr125
.LBB59_560:
	ds_read_b64 v[124:125], v1
.LBB59_561:
	s_and_saveexec_b64 s[8:9], s[2:3]
	s_cbranch_execz .LBB59_565
; %bb.562:
	s_mov_b32 s11, 24
	v_add_u32_e32 v126, -3, v0
	s_movk_i32 s12, 0x1f8
	s_mov_b64 s[2:3], 0
.LBB59_563:                             ; =>This Inner Loop Header: Depth=1
	scratch_load_dwordx2 v[128:129], off, s11
	v_mov_b32_e32 v127, s12
	ds_read_b64 v[130:131], v127
	v_add_u32_e32 v126, -1, v126
	s_add_i32 s12, s12, 8
	s_add_i32 s11, s11, 8
	v_cmp_eq_u32_e32 vcc, 0, v126
	s_or_b64 s[2:3], vcc, s[2:3]
	s_waitcnt vmcnt(0) lgkmcnt(0)
	v_fmac_f64_e32 v[124:125], v[128:129], v[130:131]
	s_andn2_b64 exec, exec, s[2:3]
	s_cbranch_execnz .LBB59_563
; %bb.564:
	s_or_b64 exec, exec, s[2:3]
.LBB59_565:
	s_or_b64 exec, exec, s[8:9]
	v_mov_b32_e32 v126, 0
	ds_read_b64 v[126:127], v126 offset:16
	s_waitcnt lgkmcnt(0)
	v_mul_f64 v[124:125], v[124:125], v[126:127]
	scratch_store_dwordx2 off, v[124:125], off offset:16
.LBB59_566:
	s_or_b64 exec, exec, s[4:5]
	scratch_load_dwordx2 v[124:125], off, off offset:8
	v_cmp_lt_u32_e64 s[2:3], 1, v0
	s_waitcnt vmcnt(0)
	ds_write_b64 v1, v[124:125]
	s_waitcnt lgkmcnt(0)
	; wave barrier
	s_and_saveexec_b64 s[4:5], s[2:3]
	s_cbranch_execz .LBB59_576
; %bb.567:
	s_andn2_b64 vcc, exec, s[6:7]
	s_cbranch_vccnz .LBB59_569
; %bb.568:
	scratch_load_dwordx2 v[124:125], v17, off
	ds_read_b64 v[126:127], v1
	s_waitcnt vmcnt(0) lgkmcnt(0)
	v_mul_f64 v[124:125], v[124:125], v[126:127]
	s_cbranch_execz .LBB59_570
	s_branch .LBB59_571
.LBB59_569:
                                        ; implicit-def: $vgpr124_vgpr125
.LBB59_570:
	ds_read_b64 v[124:125], v1
.LBB59_571:
	s_and_saveexec_b64 s[8:9], s[0:1]
	s_cbranch_execz .LBB59_575
; %bb.572:
	v_add_u32_e32 v126, -2, v0
	s_movk_i32 s11, 0x1f0
	s_mov_b64 s[0:1], 0
.LBB59_573:                             ; =>This Inner Loop Header: Depth=1
	scratch_load_dwordx2 v[128:129], off, s10
	v_mov_b32_e32 v127, s11
	ds_read_b64 v[130:131], v127
	v_add_u32_e32 v126, -1, v126
	s_add_i32 s11, s11, 8
	s_add_i32 s10, s10, 8
	v_cmp_eq_u32_e32 vcc, 0, v126
	s_or_b64 s[0:1], vcc, s[0:1]
	s_waitcnt vmcnt(0) lgkmcnt(0)
	v_fmac_f64_e32 v[124:125], v[128:129], v[130:131]
	s_andn2_b64 exec, exec, s[0:1]
	s_cbranch_execnz .LBB59_573
; %bb.574:
	s_or_b64 exec, exec, s[0:1]
.LBB59_575:
	s_or_b64 exec, exec, s[8:9]
	v_mov_b32_e32 v126, 0
	ds_read_b64 v[126:127], v126 offset:8
	s_waitcnt lgkmcnt(0)
	v_mul_f64 v[124:125], v[124:125], v[126:127]
	scratch_store_dwordx2 off, v[124:125], off offset:8
.LBB59_576:
	s_or_b64 exec, exec, s[4:5]
	scratch_load_dwordx2 v[124:125], off, off
	v_cmp_ne_u32_e32 vcc, 0, v0
	s_waitcnt vmcnt(0)
	ds_write_b64 v1, v[124:125]
	s_waitcnt lgkmcnt(0)
	; wave barrier
	s_and_saveexec_b64 s[0:1], vcc
	s_cbranch_execz .LBB59_586
; %bb.577:
	s_andn2_b64 vcc, exec, s[6:7]
	s_cbranch_vccnz .LBB59_579
; %bb.578:
	scratch_load_dwordx2 v[124:125], v17, off
	ds_read_b64 v[126:127], v1
	s_waitcnt vmcnt(0) lgkmcnt(0)
	v_mul_f64 v[124:125], v[124:125], v[126:127]
	s_cbranch_execz .LBB59_580
	s_branch .LBB59_581
.LBB59_579:
                                        ; implicit-def: $vgpr124_vgpr125
.LBB59_580:
	ds_read_b64 v[124:125], v1
.LBB59_581:
	s_and_saveexec_b64 s[4:5], s[2:3]
	s_cbranch_execz .LBB59_585
; %bb.582:
	s_or_b32 s8, 0, 8
	v_add_u32_e32 v126, -1, v0
	s_movk_i32 s9, 0x1e8
	s_mov_b64 s[2:3], 0
.LBB59_583:                             ; =>This Inner Loop Header: Depth=1
	scratch_load_dwordx2 v[128:129], off, s8
	v_mov_b32_e32 v127, s9
	ds_read_b64 v[130:131], v127
	v_add_u32_e32 v126, -1, v126
	s_add_i32 s9, s9, 8
	s_add_i32 s8, s8, 8
	v_cmp_eq_u32_e32 vcc, 0, v126
	s_or_b64 s[2:3], vcc, s[2:3]
	s_waitcnt vmcnt(0) lgkmcnt(0)
	v_fmac_f64_e32 v[124:125], v[128:129], v[130:131]
	s_andn2_b64 exec, exec, s[2:3]
	s_cbranch_execnz .LBB59_583
; %bb.584:
	s_or_b64 exec, exec, s[2:3]
.LBB59_585:
	s_or_b64 exec, exec, s[4:5]
	v_mov_b32_e32 v126, 0
	ds_read_b64 v[126:127], v126
	s_waitcnt lgkmcnt(0)
	v_mul_f64 v[124:125], v[124:125], v[126:127]
	scratch_store_dwordx2 off, v[124:125], off
.LBB59_586:
	s_or_b64 exec, exec, s[0:1]
	s_mov_b64 s[0:1], 0
.LBB59_587:
	s_and_b64 vcc, exec, s[0:1]
	s_cbranch_vccz .LBB59_1169
; %bb.588:
	scratch_load_dwordx2 v[124:125], off, off offset:8
	v_cmp_eq_u32_e64 s[2:3], 0, v0
	s_waitcnt vmcnt(0)
	ds_write_b64 v1, v[124:125]
	s_waitcnt lgkmcnt(0)
	; wave barrier
	s_and_saveexec_b64 s[0:1], s[2:3]
	s_cbranch_execz .LBB59_594
; %bb.589:
	s_and_b64 vcc, exec, s[6:7]
	s_cbranch_vccz .LBB59_591
; %bb.590:
	scratch_load_dwordx2 v[124:125], v17, off
	ds_read_b64 v[126:127], v1
	s_waitcnt vmcnt(0) lgkmcnt(0)
	v_mul_f64 v[124:125], v[124:125], v[126:127]
	s_cbranch_execz .LBB59_592
	s_branch .LBB59_593
.LBB59_591:
                                        ; implicit-def: $vgpr124_vgpr125
.LBB59_592:
	ds_read_b64 v[124:125], v1
.LBB59_593:
	v_mov_b32_e32 v126, 0
	ds_read_b64 v[126:127], v126 offset:8
	s_waitcnt lgkmcnt(0)
	v_mul_f64 v[124:125], v[124:125], v[126:127]
	scratch_store_dwordx2 off, v[124:125], off offset:8
.LBB59_594:
	s_or_b64 exec, exec, s[0:1]
	scratch_load_dwordx2 v[124:125], off, off offset:16
	v_cndmask_b32_e64 v126, 0, 1, s[6:7]
	v_cmp_gt_u32_e32 vcc, 2, v0
	v_cmp_ne_u32_e64 s[0:1], 1, v126
	s_waitcnt vmcnt(0)
	ds_write_b64 v1, v[124:125]
	s_waitcnt lgkmcnt(0)
	; wave barrier
	s_and_saveexec_b64 s[4:5], vcc
	s_cbranch_execz .LBB59_600
; %bb.595:
	s_and_b64 vcc, exec, s[0:1]
	s_cbranch_vccnz .LBB59_597
; %bb.596:
	scratch_load_dwordx2 v[124:125], v17, off
	ds_read_b64 v[126:127], v1
	s_waitcnt vmcnt(0) lgkmcnt(0)
	v_mul_f64 v[124:125], v[124:125], v[126:127]
	s_cbranch_execz .LBB59_598
	s_branch .LBB59_599
.LBB59_597:
                                        ; implicit-def: $vgpr124_vgpr125
.LBB59_598:
	ds_read_b64 v[124:125], v1
.LBB59_599:
	scratch_load_dwordx2 v[130:131], off, off offset:8
	v_mov_b32_e32 v126, 0
	ds_read2_b64 v[126:129], v126 offset0:2 offset1:61
	s_waitcnt vmcnt(0) lgkmcnt(0)
	v_fma_f64 v[128:129], v[130:131], v[128:129], v[124:125]
	v_cndmask_b32_e64 v125, v125, v129, s[2:3]
	v_cndmask_b32_e64 v124, v124, v128, s[2:3]
	v_mul_f64 v[124:125], v[124:125], v[126:127]
	scratch_store_dwordx2 off, v[124:125], off offset:16
.LBB59_600:
	s_or_b64 exec, exec, s[4:5]
	scratch_load_dwordx2 v[124:125], off, off offset:24
	v_cmp_gt_u32_e32 vcc, 3, v0
	s_waitcnt vmcnt(0)
	ds_write_b64 v1, v[124:125]
	s_waitcnt lgkmcnt(0)
	; wave barrier
	s_and_saveexec_b64 s[4:5], vcc
	s_cbranch_execz .LBB59_608
; %bb.601:
	s_and_b64 vcc, exec, s[0:1]
	s_cbranch_vccnz .LBB59_603
; %bb.602:
	scratch_load_dwordx2 v[124:125], v17, off
	ds_read_b64 v[126:127], v1
	s_waitcnt vmcnt(0) lgkmcnt(0)
	v_mul_f64 v[124:125], v[124:125], v[126:127]
	s_cbranch_execz .LBB59_604
	s_branch .LBB59_605
.LBB59_603:
                                        ; implicit-def: $vgpr124_vgpr125
.LBB59_604:
	ds_read_b64 v[124:125], v1
.LBB59_605:
	v_cmp_ne_u32_e32 vcc, 2, v0
	s_and_saveexec_b64 s[6:7], vcc
	s_cbranch_execz .LBB59_607
; %bb.606:
	scratch_load_dwordx2 v[126:127], v17, off offset:8
	scratch_load_dwordx2 v[128:129], off, off offset:16
	ds_read_b64 v[130:131], v1 offset:8
	v_mov_b32_e32 v132, 0
	ds_read_b64 v[132:133], v132 offset:496
	s_waitcnt vmcnt(1) lgkmcnt(1)
	v_fmac_f64_e32 v[124:125], v[126:127], v[130:131]
	s_waitcnt vmcnt(0) lgkmcnt(0)
	v_fma_f64 v[126:127], v[128:129], v[132:133], v[124:125]
	v_cndmask_b32_e64 v125, v125, v127, s[2:3]
	v_cndmask_b32_e64 v124, v124, v126, s[2:3]
.LBB59_607:
	s_or_b64 exec, exec, s[6:7]
	v_mov_b32_e32 v126, 0
	ds_read_b64 v[126:127], v126 offset:24
	s_waitcnt lgkmcnt(0)
	v_mul_f64 v[124:125], v[124:125], v[126:127]
	scratch_store_dwordx2 off, v[124:125], off offset:24
.LBB59_608:
	s_or_b64 exec, exec, s[4:5]
	scratch_load_dwordx2 v[124:125], off, off offset:32
	v_cmp_gt_u32_e32 vcc, 4, v0
	s_waitcnt vmcnt(0)
	ds_write_b64 v1, v[124:125]
	s_waitcnt lgkmcnt(0)
	; wave barrier
	s_and_saveexec_b64 s[2:3], vcc
	s_cbranch_execz .LBB59_618
; %bb.609:
	s_and_b64 vcc, exec, s[0:1]
	s_cbranch_vccnz .LBB59_611
; %bb.610:
	scratch_load_dwordx2 v[124:125], v17, off
	ds_read_b64 v[126:127], v1
	s_waitcnt vmcnt(0) lgkmcnt(0)
	v_mul_f64 v[124:125], v[124:125], v[126:127]
	s_cbranch_execz .LBB59_612
	s_branch .LBB59_613
.LBB59_611:
                                        ; implicit-def: $vgpr124_vgpr125
.LBB59_612:
	ds_read_b64 v[124:125], v1
.LBB59_613:
	v_cmp_ne_u32_e32 vcc, 3, v0
	s_and_saveexec_b64 s[4:5], vcc
	s_cbranch_execz .LBB59_617
; %bb.614:
	s_mov_b32 s6, 0
	v_add_u32_e32 v126, 0x1e8, v16
	v_add3_u32 v127, v16, s6, 8
	s_mov_b64 s[6:7], 0
	v_mov_b32_e32 v128, v0
.LBB59_615:                             ; =>This Inner Loop Header: Depth=1
	scratch_load_dwordx2 v[130:131], v127, off
	ds_read_b64 v[132:133], v126
	v_add_u32_e32 v128, 1, v128
	v_cmp_lt_u32_e32 vcc, 2, v128
	v_add_u32_e32 v126, 8, v126
	v_add_u32_e32 v127, 8, v127
	s_or_b64 s[6:7], vcc, s[6:7]
	s_waitcnt vmcnt(0) lgkmcnt(0)
	v_fmac_f64_e32 v[124:125], v[130:131], v[132:133]
	s_andn2_b64 exec, exec, s[6:7]
	s_cbranch_execnz .LBB59_615
; %bb.616:
	s_or_b64 exec, exec, s[6:7]
.LBB59_617:
	s_or_b64 exec, exec, s[4:5]
	v_mov_b32_e32 v126, 0
	ds_read_b64 v[126:127], v126 offset:32
	s_waitcnt lgkmcnt(0)
	v_mul_f64 v[124:125], v[124:125], v[126:127]
	scratch_store_dwordx2 off, v[124:125], off offset:32
.LBB59_618:
	s_or_b64 exec, exec, s[2:3]
	scratch_load_dwordx2 v[124:125], off, off offset:40
	v_cmp_gt_u32_e32 vcc, 5, v0
	s_waitcnt vmcnt(0)
	ds_write_b64 v1, v[124:125]
	s_waitcnt lgkmcnt(0)
	; wave barrier
	s_and_saveexec_b64 s[2:3], vcc
	s_cbranch_execz .LBB59_628
; %bb.619:
	s_and_b64 vcc, exec, s[0:1]
	s_cbranch_vccnz .LBB59_621
; %bb.620:
	scratch_load_dwordx2 v[124:125], v17, off
	ds_read_b64 v[126:127], v1
	s_waitcnt vmcnt(0) lgkmcnt(0)
	v_mul_f64 v[124:125], v[124:125], v[126:127]
	s_cbranch_execz .LBB59_622
	s_branch .LBB59_623
.LBB59_621:
                                        ; implicit-def: $vgpr124_vgpr125
.LBB59_622:
	ds_read_b64 v[124:125], v1
.LBB59_623:
	v_cmp_ne_u32_e32 vcc, 4, v0
	s_and_saveexec_b64 s[4:5], vcc
	s_cbranch_execz .LBB59_627
; %bb.624:
	s_mov_b32 s6, 0
	v_add_u32_e32 v126, 0x1e8, v16
	v_add3_u32 v127, v16, s6, 8
	s_mov_b64 s[6:7], 0
	v_mov_b32_e32 v128, v0
.LBB59_625:                             ; =>This Inner Loop Header: Depth=1
	scratch_load_dwordx2 v[130:131], v127, off
	ds_read_b64 v[132:133], v126
	v_add_u32_e32 v128, 1, v128
	v_cmp_lt_u32_e32 vcc, 3, v128
	v_add_u32_e32 v126, 8, v126
	v_add_u32_e32 v127, 8, v127
	s_or_b64 s[6:7], vcc, s[6:7]
	s_waitcnt vmcnt(0) lgkmcnt(0)
	v_fmac_f64_e32 v[124:125], v[130:131], v[132:133]
	s_andn2_b64 exec, exec, s[6:7]
	s_cbranch_execnz .LBB59_625
; %bb.626:
	s_or_b64 exec, exec, s[6:7]
.LBB59_627:
	s_or_b64 exec, exec, s[4:5]
	v_mov_b32_e32 v126, 0
	ds_read_b64 v[126:127], v126 offset:40
	s_waitcnt lgkmcnt(0)
	v_mul_f64 v[124:125], v[124:125], v[126:127]
	scratch_store_dwordx2 off, v[124:125], off offset:40
.LBB59_628:
	;; [unrolled: 55-line block ×39, first 2 shown]
	s_or_b64 exec, exec, s[2:3]
	scratch_load_dwordx2 v[124:125], off, off offset:344
	v_cmp_gt_u32_e32 vcc, 43, v0
	s_waitcnt vmcnt(0)
	ds_write_b64 v1, v[124:125]
	s_waitcnt lgkmcnt(0)
	; wave barrier
	s_and_saveexec_b64 s[2:3], vcc
	s_cbranch_execz .LBB59_1008
; %bb.999:
	s_and_b64 vcc, exec, s[0:1]
	s_cbranch_vccnz .LBB59_1001
; %bb.1000:
	scratch_load_dwordx2 v[124:125], v17, off
	ds_read_b64 v[126:127], v1
	s_waitcnt vmcnt(0) lgkmcnt(0)
	v_mul_f64 v[124:125], v[124:125], v[126:127]
	s_cbranch_execz .LBB59_1002
	s_branch .LBB59_1003
.LBB59_1001:
                                        ; implicit-def: $vgpr124_vgpr125
.LBB59_1002:
	ds_read_b64 v[124:125], v1
.LBB59_1003:
	v_cmp_ne_u32_e32 vcc, 42, v0
	s_and_saveexec_b64 s[4:5], vcc
	s_cbranch_execz .LBB59_1007
; %bb.1004:
	s_mov_b32 s6, 0
	v_add_u32_e32 v126, 0x1e8, v16
	v_add3_u32 v127, v16, s6, 8
	s_mov_b64 s[6:7], 0
	v_mov_b32_e32 v128, v0
.LBB59_1005:                            ; =>This Inner Loop Header: Depth=1
	scratch_load_dwordx2 v[130:131], v127, off
	ds_read_b64 v[132:133], v126
	v_add_u32_e32 v128, 1, v128
	v_cmp_lt_u32_e32 vcc, 41, v128
	v_add_u32_e32 v126, 8, v126
	v_add_u32_e32 v127, 8, v127
	s_or_b64 s[6:7], vcc, s[6:7]
	s_waitcnt vmcnt(0) lgkmcnt(0)
	v_fmac_f64_e32 v[124:125], v[130:131], v[132:133]
	s_andn2_b64 exec, exec, s[6:7]
	s_cbranch_execnz .LBB59_1005
; %bb.1006:
	s_or_b64 exec, exec, s[6:7]
.LBB59_1007:
	s_or_b64 exec, exec, s[4:5]
	v_mov_b32_e32 v126, 0
	ds_read_b64 v[126:127], v126 offset:344
	s_waitcnt lgkmcnt(0)
	v_mul_f64 v[124:125], v[124:125], v[126:127]
	scratch_store_dwordx2 off, v[124:125], off offset:344
.LBB59_1008:
	s_or_b64 exec, exec, s[2:3]
	scratch_load_dwordx2 v[124:125], off, off offset:352
	v_cmp_gt_u32_e32 vcc, 44, v0
	s_waitcnt vmcnt(0)
	ds_write_b64 v1, v[124:125]
	s_waitcnt lgkmcnt(0)
	; wave barrier
	s_and_saveexec_b64 s[2:3], vcc
	s_cbranch_execz .LBB59_1018
; %bb.1009:
	s_and_b64 vcc, exec, s[0:1]
	s_cbranch_vccnz .LBB59_1011
; %bb.1010:
	scratch_load_dwordx2 v[124:125], v17, off
	ds_read_b64 v[126:127], v1
	s_waitcnt vmcnt(0) lgkmcnt(0)
	v_mul_f64 v[124:125], v[124:125], v[126:127]
	s_cbranch_execz .LBB59_1012
	s_branch .LBB59_1013
.LBB59_1011:
                                        ; implicit-def: $vgpr124_vgpr125
.LBB59_1012:
	ds_read_b64 v[124:125], v1
.LBB59_1013:
	v_cmp_ne_u32_e32 vcc, 43, v0
	s_and_saveexec_b64 s[4:5], vcc
	s_cbranch_execz .LBB59_1017
; %bb.1014:
	s_mov_b32 s6, 0
	v_add_u32_e32 v126, 0x1e8, v16
	v_add3_u32 v127, v16, s6, 8
	s_mov_b64 s[6:7], 0
	v_mov_b32_e32 v128, v0
.LBB59_1015:                            ; =>This Inner Loop Header: Depth=1
	scratch_load_dwordx2 v[130:131], v127, off
	ds_read_b64 v[132:133], v126
	v_add_u32_e32 v128, 1, v128
	v_cmp_lt_u32_e32 vcc, 42, v128
	v_add_u32_e32 v126, 8, v126
	v_add_u32_e32 v127, 8, v127
	s_or_b64 s[6:7], vcc, s[6:7]
	s_waitcnt vmcnt(0) lgkmcnt(0)
	v_fmac_f64_e32 v[124:125], v[130:131], v[132:133]
	s_andn2_b64 exec, exec, s[6:7]
	s_cbranch_execnz .LBB59_1015
; %bb.1016:
	s_or_b64 exec, exec, s[6:7]
.LBB59_1017:
	s_or_b64 exec, exec, s[4:5]
	v_mov_b32_e32 v126, 0
	ds_read_b64 v[126:127], v126 offset:352
	s_waitcnt lgkmcnt(0)
	v_mul_f64 v[124:125], v[124:125], v[126:127]
	scratch_store_dwordx2 off, v[124:125], off offset:352
.LBB59_1018:
	;; [unrolled: 55-line block ×15, first 2 shown]
	s_or_b64 exec, exec, s[2:3]
	scratch_load_dwordx2 v[124:125], off, off offset:464
	v_cmp_gt_u32_e64 s[2:3], 58, v0
	s_waitcnt vmcnt(0)
	ds_write_b64 v1, v[124:125]
	s_waitcnt lgkmcnt(0)
	; wave barrier
	s_and_saveexec_b64 s[4:5], s[2:3]
	s_cbranch_execz .LBB59_1158
; %bb.1149:
	s_and_b64 vcc, exec, s[0:1]
	s_cbranch_vccnz .LBB59_1151
; %bb.1150:
	scratch_load_dwordx2 v[124:125], v17, off
	ds_read_b64 v[126:127], v1
	s_waitcnt vmcnt(0) lgkmcnt(0)
	v_mul_f64 v[124:125], v[124:125], v[126:127]
	s_cbranch_execz .LBB59_1152
	s_branch .LBB59_1153
.LBB59_1151:
                                        ; implicit-def: $vgpr124_vgpr125
.LBB59_1152:
	ds_read_b64 v[124:125], v1
.LBB59_1153:
	v_cmp_ne_u32_e32 vcc, 57, v0
	s_and_saveexec_b64 s[6:7], vcc
	s_cbranch_execz .LBB59_1157
; %bb.1154:
	s_mov_b32 s8, 0
	v_add_u32_e32 v126, 0x1e8, v16
	v_add3_u32 v127, v16, s8, 8
	s_mov_b64 s[8:9], 0
	v_mov_b32_e32 v128, v0
.LBB59_1155:                            ; =>This Inner Loop Header: Depth=1
	scratch_load_dwordx2 v[130:131], v127, off
	ds_read_b64 v[132:133], v126
	v_add_u32_e32 v128, 1, v128
	v_cmp_lt_u32_e32 vcc, 56, v128
	v_add_u32_e32 v126, 8, v126
	v_add_u32_e32 v127, 8, v127
	s_or_b64 s[8:9], vcc, s[8:9]
	s_waitcnt vmcnt(0) lgkmcnt(0)
	v_fmac_f64_e32 v[124:125], v[130:131], v[132:133]
	s_andn2_b64 exec, exec, s[8:9]
	s_cbranch_execnz .LBB59_1155
; %bb.1156:
	s_or_b64 exec, exec, s[8:9]
.LBB59_1157:
	s_or_b64 exec, exec, s[6:7]
	v_mov_b32_e32 v126, 0
	ds_read_b64 v[126:127], v126 offset:464
	s_waitcnt lgkmcnt(0)
	v_mul_f64 v[124:125], v[124:125], v[126:127]
	scratch_store_dwordx2 off, v[124:125], off offset:464
.LBB59_1158:
	s_or_b64 exec, exec, s[4:5]
	scratch_load_dwordx2 v[124:125], off, off offset:472
	v_cmp_ne_u32_e32 vcc, 59, v0
	s_waitcnt vmcnt(0)
	ds_write_b64 v1, v[124:125]
	s_waitcnt lgkmcnt(0)
	; wave barrier
	s_and_saveexec_b64 s[4:5], vcc
	s_cbranch_execz .LBB59_1168
; %bb.1159:
	s_and_b64 vcc, exec, s[0:1]
	s_cbranch_vccnz .LBB59_1161
; %bb.1160:
	scratch_load_dwordx2 v[124:125], v17, off
	ds_read_b64 v[126:127], v1
	s_waitcnt vmcnt(0) lgkmcnt(0)
	v_mul_f64 v[124:125], v[124:125], v[126:127]
	s_cbranch_execz .LBB59_1162
	s_branch .LBB59_1163
.LBB59_1161:
                                        ; implicit-def: $vgpr124_vgpr125
.LBB59_1162:
	ds_read_b64 v[124:125], v1
.LBB59_1163:
	s_and_saveexec_b64 s[0:1], s[2:3]
	s_cbranch_execz .LBB59_1167
; %bb.1164:
	s_mov_b32 s2, 0
	v_add_u32_e32 v1, 0x1e8, v16
	v_add3_u32 v16, v16, s2, 8
	s_mov_b64 s[2:3], 0
.LBB59_1165:                            ; =>This Inner Loop Header: Depth=1
	scratch_load_dwordx2 v[126:127], v16, off
	ds_read_b64 v[128:129], v1
	v_add_u32_e32 v0, 1, v0
	v_cmp_lt_u32_e32 vcc, 57, v0
	v_add_u32_e32 v1, 8, v1
	v_add_u32_e32 v16, 8, v16
	s_or_b64 s[2:3], vcc, s[2:3]
	s_waitcnt vmcnt(0) lgkmcnt(0)
	v_fmac_f64_e32 v[124:125], v[126:127], v[128:129]
	s_andn2_b64 exec, exec, s[2:3]
	s_cbranch_execnz .LBB59_1165
; %bb.1166:
	s_or_b64 exec, exec, s[2:3]
.LBB59_1167:
	s_or_b64 exec, exec, s[0:1]
	v_mov_b32_e32 v0, 0
	ds_read_b64 v[0:1], v0 offset:472
	s_waitcnt lgkmcnt(0)
	v_mul_f64 v[0:1], v[124:125], v[0:1]
	scratch_store_dwordx2 off, v[0:1], off offset:472
.LBB59_1168:
	s_or_b64 exec, exec, s[4:5]
.LBB59_1169:
	scratch_load_dwordx4 v[124:127], off, off
	s_waitcnt vmcnt(0)
	global_store_dwordx2 v[2:3], v[124:125], off
	global_store_dwordx2 v[4:5], v[126:127], off
	scratch_load_dwordx4 v[0:3], off, off offset:16
	s_waitcnt vmcnt(0)
	global_store_dwordx2 v[6:7], v[0:1], off
	global_store_dwordx2 v[8:9], v[2:3], off
	scratch_load_dwordx4 v[0:3], off, off offset:32
	;; [unrolled: 4-line block ×29, first 2 shown]
	s_waitcnt vmcnt(0)
	global_store_dwordx2 v[102:103], v[0:1], off
	global_store_dwordx2 v[106:107], v[2:3], off
.LBB59_1170:
	s_endpgm
	.section	.rodata,"a",@progbits
	.p2align	6, 0x0
	.amdhsa_kernel _ZN9rocsolver6v33100L18trti2_kernel_smallILi60EdPdEEv13rocblas_fill_17rocblas_diagonal_T1_iil
		.amdhsa_group_segment_fixed_size 960
		.amdhsa_private_segment_fixed_size 496
		.amdhsa_kernarg_size 32
		.amdhsa_user_sgpr_count 2
		.amdhsa_user_sgpr_dispatch_ptr 0
		.amdhsa_user_sgpr_queue_ptr 0
		.amdhsa_user_sgpr_kernarg_segment_ptr 1
		.amdhsa_user_sgpr_dispatch_id 0
		.amdhsa_user_sgpr_kernarg_preload_length 0
		.amdhsa_user_sgpr_kernarg_preload_offset 0
		.amdhsa_user_sgpr_private_segment_size 0
		.amdhsa_uses_dynamic_stack 0
		.amdhsa_enable_private_segment 1
		.amdhsa_system_sgpr_workgroup_id_x 1
		.amdhsa_system_sgpr_workgroup_id_y 0
		.amdhsa_system_sgpr_workgroup_id_z 0
		.amdhsa_system_sgpr_workgroup_info 0
		.amdhsa_system_vgpr_workitem_id 0
		.amdhsa_next_free_vgpr 134
		.amdhsa_next_free_sgpr 41
		.amdhsa_accum_offset 136
		.amdhsa_reserve_vcc 1
		.amdhsa_float_round_mode_32 0
		.amdhsa_float_round_mode_16_64 0
		.amdhsa_float_denorm_mode_32 3
		.amdhsa_float_denorm_mode_16_64 3
		.amdhsa_dx10_clamp 1
		.amdhsa_ieee_mode 1
		.amdhsa_fp16_overflow 0
		.amdhsa_tg_split 0
		.amdhsa_exception_fp_ieee_invalid_op 0
		.amdhsa_exception_fp_denorm_src 0
		.amdhsa_exception_fp_ieee_div_zero 0
		.amdhsa_exception_fp_ieee_overflow 0
		.amdhsa_exception_fp_ieee_underflow 0
		.amdhsa_exception_fp_ieee_inexact 0
		.amdhsa_exception_int_div_zero 0
	.end_amdhsa_kernel
	.section	.text._ZN9rocsolver6v33100L18trti2_kernel_smallILi60EdPdEEv13rocblas_fill_17rocblas_diagonal_T1_iil,"axG",@progbits,_ZN9rocsolver6v33100L18trti2_kernel_smallILi60EdPdEEv13rocblas_fill_17rocblas_diagonal_T1_iil,comdat
.Lfunc_end59:
	.size	_ZN9rocsolver6v33100L18trti2_kernel_smallILi60EdPdEEv13rocblas_fill_17rocblas_diagonal_T1_iil, .Lfunc_end59-_ZN9rocsolver6v33100L18trti2_kernel_smallILi60EdPdEEv13rocblas_fill_17rocblas_diagonal_T1_iil
                                        ; -- End function
	.set _ZN9rocsolver6v33100L18trti2_kernel_smallILi60EdPdEEv13rocblas_fill_17rocblas_diagonal_T1_iil.num_vgpr, 134
	.set _ZN9rocsolver6v33100L18trti2_kernel_smallILi60EdPdEEv13rocblas_fill_17rocblas_diagonal_T1_iil.num_agpr, 0
	.set _ZN9rocsolver6v33100L18trti2_kernel_smallILi60EdPdEEv13rocblas_fill_17rocblas_diagonal_T1_iil.numbered_sgpr, 41
	.set _ZN9rocsolver6v33100L18trti2_kernel_smallILi60EdPdEEv13rocblas_fill_17rocblas_diagonal_T1_iil.num_named_barrier, 0
	.set _ZN9rocsolver6v33100L18trti2_kernel_smallILi60EdPdEEv13rocblas_fill_17rocblas_diagonal_T1_iil.private_seg_size, 496
	.set _ZN9rocsolver6v33100L18trti2_kernel_smallILi60EdPdEEv13rocblas_fill_17rocblas_diagonal_T1_iil.uses_vcc, 1
	.set _ZN9rocsolver6v33100L18trti2_kernel_smallILi60EdPdEEv13rocblas_fill_17rocblas_diagonal_T1_iil.uses_flat_scratch, 0
	.set _ZN9rocsolver6v33100L18trti2_kernel_smallILi60EdPdEEv13rocblas_fill_17rocblas_diagonal_T1_iil.has_dyn_sized_stack, 0
	.set _ZN9rocsolver6v33100L18trti2_kernel_smallILi60EdPdEEv13rocblas_fill_17rocblas_diagonal_T1_iil.has_recursion, 0
	.set _ZN9rocsolver6v33100L18trti2_kernel_smallILi60EdPdEEv13rocblas_fill_17rocblas_diagonal_T1_iil.has_indirect_call, 0
	.section	.AMDGPU.csdata,"",@progbits
; Kernel info:
; codeLenInByte = 28676
; TotalNumSgprs: 47
; NumVgprs: 134
; NumAgprs: 0
; TotalNumVgprs: 134
; ScratchSize: 496
; MemoryBound: 0
; FloatMode: 240
; IeeeMode: 1
; LDSByteSize: 960 bytes/workgroup (compile time only)
; SGPRBlocks: 5
; VGPRBlocks: 16
; NumSGPRsForWavesPerEU: 47
; NumVGPRsForWavesPerEU: 134
; AccumOffset: 136
; Occupancy: 3
; WaveLimiterHint : 0
; COMPUTE_PGM_RSRC2:SCRATCH_EN: 1
; COMPUTE_PGM_RSRC2:USER_SGPR: 2
; COMPUTE_PGM_RSRC2:TRAP_HANDLER: 0
; COMPUTE_PGM_RSRC2:TGID_X_EN: 1
; COMPUTE_PGM_RSRC2:TGID_Y_EN: 0
; COMPUTE_PGM_RSRC2:TGID_Z_EN: 0
; COMPUTE_PGM_RSRC2:TIDIG_COMP_CNT: 0
; COMPUTE_PGM_RSRC3_GFX90A:ACCUM_OFFSET: 33
; COMPUTE_PGM_RSRC3_GFX90A:TG_SPLIT: 0
	.section	.text._ZN9rocsolver6v33100L18trti2_kernel_smallILi61EdPdEEv13rocblas_fill_17rocblas_diagonal_T1_iil,"axG",@progbits,_ZN9rocsolver6v33100L18trti2_kernel_smallILi61EdPdEEv13rocblas_fill_17rocblas_diagonal_T1_iil,comdat
	.globl	_ZN9rocsolver6v33100L18trti2_kernel_smallILi61EdPdEEv13rocblas_fill_17rocblas_diagonal_T1_iil ; -- Begin function _ZN9rocsolver6v33100L18trti2_kernel_smallILi61EdPdEEv13rocblas_fill_17rocblas_diagonal_T1_iil
	.p2align	8
	.type	_ZN9rocsolver6v33100L18trti2_kernel_smallILi61EdPdEEv13rocblas_fill_17rocblas_diagonal_T1_iil,@function
_ZN9rocsolver6v33100L18trti2_kernel_smallILi61EdPdEEv13rocblas_fill_17rocblas_diagonal_T1_iil: ; @_ZN9rocsolver6v33100L18trti2_kernel_smallILi61EdPdEEv13rocblas_fill_17rocblas_diagonal_T1_iil
; %bb.0:
	v_cmp_gt_u32_e32 vcc, 61, v0
	s_and_saveexec_b64 s[4:5], vcc
	s_cbranch_execz .LBB60_1190
; %bb.1:
	s_load_dwordx8 s[4:11], s[0:1], 0x0
	s_ashr_i32 s3, s2, 31
	v_lshlrev_b32_e32 v10, 3, v0
	v_mov_b32_e32 v11, 0
	s_waitcnt lgkmcnt(0)
	s_ashr_i32 s1, s8, 31
	s_mov_b32 s0, s8
	s_mul_hi_u32 s8, s10, s2
	s_mul_i32 s3, s10, s3
	s_add_i32 s3, s8, s3
	s_mul_i32 s8, s11, s2
	s_add_i32 s3, s3, s8
	s_mul_i32 s2, s10, s2
	s_lshl_b64 s[2:3], s[2:3], 3
	s_add_u32 s2, s6, s2
	s_addc_u32 s3, s7, s3
	s_lshl_b64 s[0:1], s[0:1], 3
	s_add_u32 s0, s2, s0
	s_addc_u32 s1, s3, s1
	v_lshl_add_u64 v[2:3], s[0:1], 0, v[10:11]
	s_ashr_i32 s3, s9, 31
	s_mov_b32 s2, s9
	v_lshl_add_u64 v[4:5], s[2:3], 3, v[2:3]
	global_load_dwordx2 v[6:7], v10, s[0:1]
	global_load_dwordx2 v[8:9], v[4:5], off
	s_add_i32 s2, s9, s9
	s_cmpk_lg_i32 s5, 0x84
	s_cselect_b64 s[6:7], -1, 0
	s_cmpk_eq_i32 s5, 0x84
	s_waitcnt vmcnt(0)
	scratch_store_dwordx4 off, v[6:9], off
	s_nop 1
	v_add_u32_e32 v8, s2, v0
	v_add_u32_e32 v12, s9, v8
	v_ashrrev_i32_e32 v9, 31, v8
	v_ashrrev_i32_e32 v13, 31, v12
	v_lshl_add_u64 v[6:7], v[8:9], 3, s[0:1]
	v_lshl_add_u64 v[8:9], v[12:13], 3, s[0:1]
	global_load_dwordx2 v[14:15], v[6:7], off
	global_load_dwordx2 v[16:17], v[8:9], off
	s_waitcnt vmcnt(0)
	scratch_store_dwordx4 off, v[14:17], off offset:16
	s_nop 1
	v_add_u32_e32 v14, s9, v12
	v_add_u32_e32 v16, s9, v14
	v_ashrrev_i32_e32 v15, 31, v14
	v_ashrrev_i32_e32 v17, 31, v16
	v_lshl_add_u64 v[12:13], v[14:15], 3, s[0:1]
	v_lshl_add_u64 v[14:15], v[16:17], 3, s[0:1]
	global_load_dwordx2 v[18:19], v[12:13], off
	global_load_dwordx2 v[20:21], v[14:15], off
	s_waitcnt vmcnt(0)
	scratch_store_dwordx4 off, v[18:21], off offset:32
	;; [unrolled: 11-line block ×26, first 2 shown]
	s_nop 1
	v_add_u32_e32 v114, s9, v112
	v_add_u32_e32 v116, s9, v114
	v_ashrrev_i32_e32 v115, 31, v114
	v_ashrrev_i32_e32 v117, 31, v116
	v_lshl_add_u64 v[112:113], v[114:115], 3, s[0:1]
	v_lshl_add_u64 v[114:115], v[116:117], 3, s[0:1]
	global_load_dwordx2 v[118:119], v[112:113], off
	global_load_dwordx2 v[120:121], v[114:115], off
	v_add_u32_e32 v116, s9, v116
	v_ashrrev_i32_e32 v117, 31, v116
	s_waitcnt vmcnt(0)
	scratch_store_dwordx4 off, v[118:121], off offset:432
	s_nop 1
	v_lshl_add_u64 v[118:119], v[116:117], 3, s[0:1]
	v_add_u32_e32 v116, s9, v116
	v_ashrrev_i32_e32 v117, 31, v116
	v_lshl_add_u64 v[120:121], v[116:117], 3, s[0:1]
	global_load_dwordx2 v[122:123], v[118:119], off
	global_load_dwordx2 v[124:125], v[120:121], off
	v_add_u32_e32 v116, s9, v116
	v_ashrrev_i32_e32 v117, 31, v116
	s_waitcnt vmcnt(0)
	scratch_store_dwordx4 off, v[122:125], off offset:448
	s_nop 1
	v_lshl_add_u64 v[122:123], v[116:117], 3, s[0:1]
	v_add_u32_e32 v116, s9, v116
	v_ashrrev_i32_e32 v117, 31, v116
	v_lshl_add_u64 v[124:125], v[116:117], 3, s[0:1]
	global_load_dwordx2 v[126:127], v[122:123], off
	global_load_dwordx2 v[128:129], v[124:125], off
	v_add_u32_e32 v116, s9, v116
	v_ashrrev_i32_e32 v117, 31, v116
	v_lshl_add_u64 v[116:117], v[116:117], 3, s[0:1]
	s_waitcnt vmcnt(0)
	scratch_store_dwordx4 off, v[126:129], off offset:464
	global_load_dwordx2 v[126:127], v[116:117], off
	s_waitcnt vmcnt(0)
	scratch_store_dwordx2 off, v[126:127], off offset:480
	v_mov_b64_e32 v[126:127], -1.0
	s_cbranch_scc1 .LBB60_3
; %bb.2:
	scratch_load_dwordx2 v[126:127], v10, off
	s_waitcnt vmcnt(0)
	v_div_scale_f64 v[128:129], s[0:1], v[126:127], v[126:127], 1.0
	v_rcp_f64_e32 v[130:131], v[128:129]
	v_div_scale_f64 v[132:133], vcc, 1.0, v[126:127], 1.0
	v_fma_f64 v[134:135], -v[128:129], v[130:131], 1.0
	v_fmac_f64_e32 v[130:131], v[130:131], v[134:135]
	v_fma_f64 v[134:135], -v[128:129], v[130:131], 1.0
	v_fmac_f64_e32 v[130:131], v[130:131], v[134:135]
	v_mul_f64 v[134:135], v[132:133], v[130:131]
	v_fma_f64 v[128:129], -v[128:129], v[134:135], v[132:133]
	v_div_fmas_f64 v[128:129], v[128:129], v[130:131], v[134:135]
	v_div_fixup_f64 v[126:127], v[128:129], v[126:127], 1.0
	scratch_store_dwordx2 v10, v[126:127], off
	v_xor_b32_e32 v127, 0x80000000, v127
.LBB60_3:
	s_cmpk_eq_i32 s4, 0x79
	v_add_u32_e32 v1, 0x1f0, v10
	v_mov_b32_e32 v11, v10
	s_mov_b64 s[0:1], -1
	ds_write_b64 v10, v[126:127]
	s_cbranch_scc1 .LBB60_597
; %bb.4:
	scratch_load_dwordx2 v[126:127], off, off offset:472
	s_movk_i32 s8, 0x50
	s_movk_i32 s9, 0x60
	;; [unrolled: 1-line block ×25, first 2 shown]
	v_cmp_eq_u32_e64 s[0:1], 60, v0
	s_waitcnt vmcnt(0)
	ds_write_b64 v1, v[126:127]
	s_waitcnt lgkmcnt(0)
	; wave barrier
	s_and_saveexec_b64 s[2:3], s[0:1]
	s_cbranch_execz .LBB60_10
; %bb.5:
	s_and_b64 vcc, exec, s[6:7]
	s_cbranch_vccz .LBB60_7
; %bb.6:
	scratch_load_dwordx2 v[126:127], v11, off
	ds_read_b64 v[128:129], v1
	s_waitcnt vmcnt(0) lgkmcnt(0)
	v_mul_f64 v[126:127], v[126:127], v[128:129]
	s_cbranch_execz .LBB60_8
	s_branch .LBB60_9
.LBB60_7:
                                        ; implicit-def: $vgpr126_vgpr127
.LBB60_8:
	ds_read_b64 v[126:127], v1
.LBB60_9:
	v_mov_b32_e32 v128, 0
	ds_read_b64 v[128:129], v128 offset:472
	s_waitcnt lgkmcnt(0)
	v_mul_f64 v[126:127], v[126:127], v[128:129]
	scratch_store_dwordx2 off, v[126:127], off offset:472
.LBB60_10:
	s_or_b64 exec, exec, s[2:3]
	scratch_load_dwordx2 v[126:127], off, off offset:464
	s_mov_b32 s10, 16
	s_mov_b32 s11, 32
	;; [unrolled: 1-line block ×6, first 2 shown]
	v_cmp_lt_u32_e64 s[4:5], 58, v0
	s_waitcnt vmcnt(0)
	ds_write_b64 v1, v[126:127]
	s_waitcnt lgkmcnt(0)
	; wave barrier
	s_and_saveexec_b64 s[2:3], s[4:5]
	s_cbranch_execz .LBB60_16
; %bb.11:
	s_andn2_b64 vcc, exec, s[6:7]
	s_cbranch_vccnz .LBB60_13
; %bb.12:
	scratch_load_dwordx2 v[126:127], v11, off
	ds_read_b64 v[128:129], v1
	s_waitcnt vmcnt(0) lgkmcnt(0)
	v_mul_f64 v[126:127], v[126:127], v[128:129]
	s_cbranch_execz .LBB60_14
	s_branch .LBB60_15
.LBB60_13:
                                        ; implicit-def: $vgpr126_vgpr127
.LBB60_14:
	ds_read_b64 v[126:127], v1
.LBB60_15:
	scratch_load_dwordx2 v[132:133], off, off offset:472
	v_mov_b32_e32 v128, 0
	ds_read2_b64 v[128:131], v128 offset0:58 offset1:121
	s_waitcnt vmcnt(0) lgkmcnt(0)
	v_fma_f64 v[130:131], v[132:133], v[130:131], v[126:127]
	v_cndmask_b32_e64 v127, v127, v131, s[0:1]
	v_cndmask_b32_e64 v126, v126, v130, s[0:1]
	v_mul_f64 v[126:127], v[126:127], v[128:129]
	scratch_store_dwordx2 off, v[126:127], off offset:464
.LBB60_16:
	s_or_b64 exec, exec, s[2:3]
	scratch_load_dwordx2 v[126:127], off, off offset:456
	v_cmp_lt_u32_e64 s[2:3], 57, v0
	s_waitcnt vmcnt(0)
	ds_write_b64 v1, v[126:127]
	s_waitcnt lgkmcnt(0)
	; wave barrier
	s_and_saveexec_b64 s[0:1], s[2:3]
	s_cbranch_execz .LBB60_26
; %bb.17:
	s_andn2_b64 vcc, exec, s[6:7]
	s_cbranch_vccnz .LBB60_19
; %bb.18:
	scratch_load_dwordx2 v[126:127], v11, off
	ds_read_b64 v[128:129], v1
	s_waitcnt vmcnt(0) lgkmcnt(0)
	v_mul_f64 v[126:127], v[126:127], v[128:129]
	s_cbranch_execz .LBB60_20
	s_branch .LBB60_21
.LBB60_19:
                                        ; implicit-def: $vgpr126_vgpr127
.LBB60_20:
	ds_read_b64 v[126:127], v1
.LBB60_21:
	s_and_saveexec_b64 s[8:9], s[4:5]
	s_cbranch_execz .LBB60_25
; %bb.22:
	v_subrev_u32_e32 v128, 58, v0
	s_movk_i32 s40, 0x3c0
	s_mov_b64 s[4:5], 0
.LBB60_23:                              ; =>This Inner Loop Header: Depth=1
	scratch_load_dwordx2 v[130:131], off, s39
	v_mov_b32_e32 v129, s40
	ds_read_b64 v[132:133], v129
	v_add_u32_e32 v128, -1, v128
	s_add_i32 s40, s40, 8
	s_add_i32 s39, s39, 8
	v_cmp_eq_u32_e32 vcc, 0, v128
	s_or_b64 s[4:5], vcc, s[4:5]
	s_waitcnt vmcnt(0) lgkmcnt(0)
	v_fmac_f64_e32 v[126:127], v[130:131], v[132:133]
	s_andn2_b64 exec, exec, s[4:5]
	s_cbranch_execnz .LBB60_23
; %bb.24:
	s_or_b64 exec, exec, s[4:5]
.LBB60_25:
	s_or_b64 exec, exec, s[8:9]
	v_mov_b32_e32 v128, 0
	ds_read_b64 v[128:129], v128 offset:456
	s_waitcnt lgkmcnt(0)
	v_mul_f64 v[126:127], v[126:127], v[128:129]
	scratch_store_dwordx2 off, v[126:127], off offset:456
.LBB60_26:
	s_or_b64 exec, exec, s[0:1]
	scratch_load_dwordx2 v[126:127], off, off offset:448
	v_cmp_lt_u32_e64 s[0:1], 56, v0
	s_waitcnt vmcnt(0)
	ds_write_b64 v1, v[126:127]
	s_waitcnt lgkmcnt(0)
	; wave barrier
	s_and_saveexec_b64 s[4:5], s[0:1]
	s_cbranch_execz .LBB60_36
; %bb.27:
	s_andn2_b64 vcc, exec, s[6:7]
	s_cbranch_vccnz .LBB60_29
; %bb.28:
	scratch_load_dwordx2 v[126:127], v11, off
	ds_read_b64 v[128:129], v1
	s_waitcnt vmcnt(0) lgkmcnt(0)
	v_mul_f64 v[126:127], v[126:127], v[128:129]
	s_cbranch_execz .LBB60_30
	s_branch .LBB60_31
.LBB60_29:
                                        ; implicit-def: $vgpr126_vgpr127
.LBB60_30:
	ds_read_b64 v[126:127], v1
.LBB60_31:
	s_and_saveexec_b64 s[8:9], s[2:3]
	s_cbranch_execz .LBB60_35
; %bb.32:
	s_movk_i32 s39, 0x1c8
	v_subrev_u32_e32 v128, 57, v0
	s_movk_i32 s40, 0x3b8
	s_mov_b64 s[2:3], 0
.LBB60_33:                              ; =>This Inner Loop Header: Depth=1
	scratch_load_dwordx2 v[130:131], off, s39
	v_mov_b32_e32 v129, s40
	ds_read_b64 v[132:133], v129
	v_add_u32_e32 v128, -1, v128
	s_add_i32 s40, s40, 8
	s_add_i32 s39, s39, 8
	v_cmp_eq_u32_e32 vcc, 0, v128
	s_or_b64 s[2:3], vcc, s[2:3]
	s_waitcnt vmcnt(0) lgkmcnt(0)
	v_fmac_f64_e32 v[126:127], v[130:131], v[132:133]
	s_andn2_b64 exec, exec, s[2:3]
	s_cbranch_execnz .LBB60_33
; %bb.34:
	s_or_b64 exec, exec, s[2:3]
.LBB60_35:
	s_or_b64 exec, exec, s[8:9]
	v_mov_b32_e32 v128, 0
	ds_read_b64 v[128:129], v128 offset:448
	s_waitcnt lgkmcnt(0)
	v_mul_f64 v[126:127], v[126:127], v[128:129]
	scratch_store_dwordx2 off, v[126:127], off offset:448
.LBB60_36:
	s_or_b64 exec, exec, s[4:5]
	scratch_load_dwordx2 v[126:127], off, off offset:440
	v_cmp_lt_u32_e64 s[2:3], 55, v0
	s_waitcnt vmcnt(0)
	ds_write_b64 v1, v[126:127]
	s_waitcnt lgkmcnt(0)
	; wave barrier
	s_and_saveexec_b64 s[4:5], s[2:3]
	s_cbranch_execz .LBB60_46
; %bb.37:
	s_andn2_b64 vcc, exec, s[6:7]
	s_cbranch_vccnz .LBB60_39
; %bb.38:
	scratch_load_dwordx2 v[126:127], v11, off
	ds_read_b64 v[128:129], v1
	s_waitcnt vmcnt(0) lgkmcnt(0)
	v_mul_f64 v[126:127], v[126:127], v[128:129]
	s_cbranch_execz .LBB60_40
	s_branch .LBB60_41
.LBB60_39:
                                        ; implicit-def: $vgpr126_vgpr127
.LBB60_40:
	ds_read_b64 v[126:127], v1
.LBB60_41:
	s_and_saveexec_b64 s[8:9], s[0:1]
	s_cbranch_execz .LBB60_45
; %bb.42:
	v_subrev_u32_e32 v128, 56, v0
	s_movk_i32 s39, 0x3b0
	s_mov_b64 s[0:1], 0
.LBB60_43:                              ; =>This Inner Loop Header: Depth=1
	scratch_load_dwordx2 v[130:131], off, s38
	v_mov_b32_e32 v129, s39
	ds_read_b64 v[132:133], v129
	v_add_u32_e32 v128, -1, v128
	s_add_i32 s39, s39, 8
	s_add_i32 s38, s38, 8
	v_cmp_eq_u32_e32 vcc, 0, v128
	s_or_b64 s[0:1], vcc, s[0:1]
	s_waitcnt vmcnt(0) lgkmcnt(0)
	v_fmac_f64_e32 v[126:127], v[130:131], v[132:133]
	s_andn2_b64 exec, exec, s[0:1]
	s_cbranch_execnz .LBB60_43
; %bb.44:
	s_or_b64 exec, exec, s[0:1]
.LBB60_45:
	s_or_b64 exec, exec, s[8:9]
	v_mov_b32_e32 v128, 0
	ds_read_b64 v[128:129], v128 offset:440
	s_waitcnt lgkmcnt(0)
	v_mul_f64 v[126:127], v[126:127], v[128:129]
	scratch_store_dwordx2 off, v[126:127], off offset:440
.LBB60_46:
	s_or_b64 exec, exec, s[4:5]
	scratch_load_dwordx2 v[126:127], off, off offset:432
	v_cmp_lt_u32_e64 s[0:1], 54, v0
	s_waitcnt vmcnt(0)
	ds_write_b64 v1, v[126:127]
	s_waitcnt lgkmcnt(0)
	; wave barrier
	s_and_saveexec_b64 s[4:5], s[0:1]
	s_cbranch_execz .LBB60_56
; %bb.47:
	s_andn2_b64 vcc, exec, s[6:7]
	s_cbranch_vccnz .LBB60_49
; %bb.48:
	scratch_load_dwordx2 v[126:127], v11, off
	ds_read_b64 v[128:129], v1
	s_waitcnt vmcnt(0) lgkmcnt(0)
	v_mul_f64 v[126:127], v[126:127], v[128:129]
	s_cbranch_execz .LBB60_50
	s_branch .LBB60_51
.LBB60_49:
                                        ; implicit-def: $vgpr126_vgpr127
.LBB60_50:
	ds_read_b64 v[126:127], v1
.LBB60_51:
	s_and_saveexec_b64 s[8:9], s[2:3]
	s_cbranch_execz .LBB60_55
; %bb.52:
	s_movk_i32 s38, 0x1b8
	v_subrev_u32_e32 v128, 55, v0
	s_movk_i32 s39, 0x3a8
	s_mov_b64 s[2:3], 0
.LBB60_53:                              ; =>This Inner Loop Header: Depth=1
	scratch_load_dwordx2 v[130:131], off, s38
	v_mov_b32_e32 v129, s39
	ds_read_b64 v[132:133], v129
	v_add_u32_e32 v128, -1, v128
	s_add_i32 s39, s39, 8
	s_add_i32 s38, s38, 8
	v_cmp_eq_u32_e32 vcc, 0, v128
	s_or_b64 s[2:3], vcc, s[2:3]
	s_waitcnt vmcnt(0) lgkmcnt(0)
	v_fmac_f64_e32 v[126:127], v[130:131], v[132:133]
	s_andn2_b64 exec, exec, s[2:3]
	s_cbranch_execnz .LBB60_53
; %bb.54:
	s_or_b64 exec, exec, s[2:3]
.LBB60_55:
	s_or_b64 exec, exec, s[8:9]
	v_mov_b32_e32 v128, 0
	ds_read_b64 v[128:129], v128 offset:432
	s_waitcnt lgkmcnt(0)
	v_mul_f64 v[126:127], v[126:127], v[128:129]
	scratch_store_dwordx2 off, v[126:127], off offset:432
.LBB60_56:
	s_or_b64 exec, exec, s[4:5]
	scratch_load_dwordx2 v[126:127], off, off offset:424
	v_cmp_lt_u32_e64 s[2:3], 53, v0
	s_waitcnt vmcnt(0)
	ds_write_b64 v1, v[126:127]
	s_waitcnt lgkmcnt(0)
	; wave barrier
	s_and_saveexec_b64 s[4:5], s[2:3]
	s_cbranch_execz .LBB60_66
; %bb.57:
	s_andn2_b64 vcc, exec, s[6:7]
	s_cbranch_vccnz .LBB60_59
; %bb.58:
	scratch_load_dwordx2 v[126:127], v11, off
	ds_read_b64 v[128:129], v1
	s_waitcnt vmcnt(0) lgkmcnt(0)
	v_mul_f64 v[126:127], v[126:127], v[128:129]
	s_cbranch_execz .LBB60_60
	s_branch .LBB60_61
.LBB60_59:
                                        ; implicit-def: $vgpr126_vgpr127
.LBB60_60:
	ds_read_b64 v[126:127], v1
.LBB60_61:
	s_and_saveexec_b64 s[8:9], s[0:1]
	s_cbranch_execz .LBB60_65
; %bb.62:
	v_subrev_u32_e32 v128, 54, v0
	s_movk_i32 s38, 0x3a0
	s_mov_b64 s[0:1], 0
.LBB60_63:                              ; =>This Inner Loop Header: Depth=1
	scratch_load_dwordx2 v[130:131], off, s37
	v_mov_b32_e32 v129, s38
	ds_read_b64 v[132:133], v129
	v_add_u32_e32 v128, -1, v128
	s_add_i32 s38, s38, 8
	s_add_i32 s37, s37, 8
	v_cmp_eq_u32_e32 vcc, 0, v128
	s_or_b64 s[0:1], vcc, s[0:1]
	s_waitcnt vmcnt(0) lgkmcnt(0)
	v_fmac_f64_e32 v[126:127], v[130:131], v[132:133]
	s_andn2_b64 exec, exec, s[0:1]
	s_cbranch_execnz .LBB60_63
; %bb.64:
	s_or_b64 exec, exec, s[0:1]
.LBB60_65:
	s_or_b64 exec, exec, s[8:9]
	v_mov_b32_e32 v128, 0
	ds_read_b64 v[128:129], v128 offset:424
	s_waitcnt lgkmcnt(0)
	v_mul_f64 v[126:127], v[126:127], v[128:129]
	scratch_store_dwordx2 off, v[126:127], off offset:424
.LBB60_66:
	s_or_b64 exec, exec, s[4:5]
	scratch_load_dwordx2 v[126:127], off, off offset:416
	v_cmp_lt_u32_e64 s[0:1], 52, v0
	s_waitcnt vmcnt(0)
	ds_write_b64 v1, v[126:127]
	s_waitcnt lgkmcnt(0)
	; wave barrier
	s_and_saveexec_b64 s[4:5], s[0:1]
	s_cbranch_execz .LBB60_76
; %bb.67:
	s_andn2_b64 vcc, exec, s[6:7]
	s_cbranch_vccnz .LBB60_69
; %bb.68:
	scratch_load_dwordx2 v[126:127], v11, off
	ds_read_b64 v[128:129], v1
	s_waitcnt vmcnt(0) lgkmcnt(0)
	v_mul_f64 v[126:127], v[126:127], v[128:129]
	s_cbranch_execz .LBB60_70
	s_branch .LBB60_71
.LBB60_69:
                                        ; implicit-def: $vgpr126_vgpr127
.LBB60_70:
	ds_read_b64 v[126:127], v1
.LBB60_71:
	s_and_saveexec_b64 s[8:9], s[2:3]
	s_cbranch_execz .LBB60_75
; %bb.72:
	s_movk_i32 s37, 0x1a8
	v_subrev_u32_e32 v128, 53, v0
	s_movk_i32 s38, 0x398
	s_mov_b64 s[2:3], 0
.LBB60_73:                              ; =>This Inner Loop Header: Depth=1
	scratch_load_dwordx2 v[130:131], off, s37
	v_mov_b32_e32 v129, s38
	ds_read_b64 v[132:133], v129
	v_add_u32_e32 v128, -1, v128
	s_add_i32 s38, s38, 8
	s_add_i32 s37, s37, 8
	v_cmp_eq_u32_e32 vcc, 0, v128
	s_or_b64 s[2:3], vcc, s[2:3]
	s_waitcnt vmcnt(0) lgkmcnt(0)
	v_fmac_f64_e32 v[126:127], v[130:131], v[132:133]
	s_andn2_b64 exec, exec, s[2:3]
	s_cbranch_execnz .LBB60_73
; %bb.74:
	s_or_b64 exec, exec, s[2:3]
.LBB60_75:
	s_or_b64 exec, exec, s[8:9]
	v_mov_b32_e32 v128, 0
	ds_read_b64 v[128:129], v128 offset:416
	s_waitcnt lgkmcnt(0)
	v_mul_f64 v[126:127], v[126:127], v[128:129]
	scratch_store_dwordx2 off, v[126:127], off offset:416
.LBB60_76:
	s_or_b64 exec, exec, s[4:5]
	scratch_load_dwordx2 v[126:127], off, off offset:408
	v_cmp_lt_u32_e64 s[2:3], 51, v0
	s_waitcnt vmcnt(0)
	ds_write_b64 v1, v[126:127]
	s_waitcnt lgkmcnt(0)
	; wave barrier
	s_and_saveexec_b64 s[4:5], s[2:3]
	s_cbranch_execz .LBB60_86
; %bb.77:
	s_andn2_b64 vcc, exec, s[6:7]
	s_cbranch_vccnz .LBB60_79
; %bb.78:
	scratch_load_dwordx2 v[126:127], v11, off
	ds_read_b64 v[128:129], v1
	s_waitcnt vmcnt(0) lgkmcnt(0)
	v_mul_f64 v[126:127], v[126:127], v[128:129]
	s_cbranch_execz .LBB60_80
	s_branch .LBB60_81
.LBB60_79:
                                        ; implicit-def: $vgpr126_vgpr127
.LBB60_80:
	ds_read_b64 v[126:127], v1
.LBB60_81:
	s_and_saveexec_b64 s[8:9], s[0:1]
	s_cbranch_execz .LBB60_85
; %bb.82:
	v_subrev_u32_e32 v128, 52, v0
	s_movk_i32 s37, 0x390
	s_mov_b64 s[0:1], 0
.LBB60_83:                              ; =>This Inner Loop Header: Depth=1
	scratch_load_dwordx2 v[130:131], off, s36
	v_mov_b32_e32 v129, s37
	ds_read_b64 v[132:133], v129
	v_add_u32_e32 v128, -1, v128
	s_add_i32 s37, s37, 8
	s_add_i32 s36, s36, 8
	v_cmp_eq_u32_e32 vcc, 0, v128
	s_or_b64 s[0:1], vcc, s[0:1]
	s_waitcnt vmcnt(0) lgkmcnt(0)
	v_fmac_f64_e32 v[126:127], v[130:131], v[132:133]
	s_andn2_b64 exec, exec, s[0:1]
	s_cbranch_execnz .LBB60_83
; %bb.84:
	s_or_b64 exec, exec, s[0:1]
.LBB60_85:
	s_or_b64 exec, exec, s[8:9]
	v_mov_b32_e32 v128, 0
	ds_read_b64 v[128:129], v128 offset:408
	s_waitcnt lgkmcnt(0)
	v_mul_f64 v[126:127], v[126:127], v[128:129]
	scratch_store_dwordx2 off, v[126:127], off offset:408
.LBB60_86:
	s_or_b64 exec, exec, s[4:5]
	scratch_load_dwordx2 v[126:127], off, off offset:400
	v_cmp_lt_u32_e64 s[0:1], 50, v0
	s_waitcnt vmcnt(0)
	ds_write_b64 v1, v[126:127]
	s_waitcnt lgkmcnt(0)
	; wave barrier
	s_and_saveexec_b64 s[4:5], s[0:1]
	s_cbranch_execz .LBB60_96
; %bb.87:
	s_andn2_b64 vcc, exec, s[6:7]
	s_cbranch_vccnz .LBB60_89
; %bb.88:
	scratch_load_dwordx2 v[126:127], v11, off
	ds_read_b64 v[128:129], v1
	s_waitcnt vmcnt(0) lgkmcnt(0)
	v_mul_f64 v[126:127], v[126:127], v[128:129]
	s_cbranch_execz .LBB60_90
	s_branch .LBB60_91
.LBB60_89:
                                        ; implicit-def: $vgpr126_vgpr127
.LBB60_90:
	ds_read_b64 v[126:127], v1
.LBB60_91:
	s_and_saveexec_b64 s[8:9], s[2:3]
	s_cbranch_execz .LBB60_95
; %bb.92:
	s_movk_i32 s36, 0x198
	v_subrev_u32_e32 v128, 51, v0
	s_movk_i32 s37, 0x388
	s_mov_b64 s[2:3], 0
.LBB60_93:                              ; =>This Inner Loop Header: Depth=1
	scratch_load_dwordx2 v[130:131], off, s36
	v_mov_b32_e32 v129, s37
	ds_read_b64 v[132:133], v129
	v_add_u32_e32 v128, -1, v128
	s_add_i32 s37, s37, 8
	s_add_i32 s36, s36, 8
	v_cmp_eq_u32_e32 vcc, 0, v128
	s_or_b64 s[2:3], vcc, s[2:3]
	s_waitcnt vmcnt(0) lgkmcnt(0)
	v_fmac_f64_e32 v[126:127], v[130:131], v[132:133]
	s_andn2_b64 exec, exec, s[2:3]
	s_cbranch_execnz .LBB60_93
; %bb.94:
	s_or_b64 exec, exec, s[2:3]
.LBB60_95:
	s_or_b64 exec, exec, s[8:9]
	v_mov_b32_e32 v128, 0
	ds_read_b64 v[128:129], v128 offset:400
	s_waitcnt lgkmcnt(0)
	v_mul_f64 v[126:127], v[126:127], v[128:129]
	scratch_store_dwordx2 off, v[126:127], off offset:400
.LBB60_96:
	s_or_b64 exec, exec, s[4:5]
	scratch_load_dwordx2 v[126:127], off, off offset:392
	v_cmp_lt_u32_e64 s[2:3], 49, v0
	s_waitcnt vmcnt(0)
	ds_write_b64 v1, v[126:127]
	s_waitcnt lgkmcnt(0)
	; wave barrier
	s_and_saveexec_b64 s[4:5], s[2:3]
	s_cbranch_execz .LBB60_106
; %bb.97:
	s_andn2_b64 vcc, exec, s[6:7]
	s_cbranch_vccnz .LBB60_99
; %bb.98:
	scratch_load_dwordx2 v[126:127], v11, off
	ds_read_b64 v[128:129], v1
	s_waitcnt vmcnt(0) lgkmcnt(0)
	v_mul_f64 v[126:127], v[126:127], v[128:129]
	s_cbranch_execz .LBB60_100
	s_branch .LBB60_101
.LBB60_99:
                                        ; implicit-def: $vgpr126_vgpr127
.LBB60_100:
	ds_read_b64 v[126:127], v1
.LBB60_101:
	s_and_saveexec_b64 s[8:9], s[0:1]
	s_cbranch_execz .LBB60_105
; %bb.102:
	v_subrev_u32_e32 v128, 50, v0
	s_movk_i32 s36, 0x380
	s_mov_b64 s[0:1], 0
.LBB60_103:                             ; =>This Inner Loop Header: Depth=1
	scratch_load_dwordx2 v[130:131], off, s35
	v_mov_b32_e32 v129, s36
	ds_read_b64 v[132:133], v129
	v_add_u32_e32 v128, -1, v128
	s_add_i32 s36, s36, 8
	s_add_i32 s35, s35, 8
	v_cmp_eq_u32_e32 vcc, 0, v128
	s_or_b64 s[0:1], vcc, s[0:1]
	s_waitcnt vmcnt(0) lgkmcnt(0)
	v_fmac_f64_e32 v[126:127], v[130:131], v[132:133]
	s_andn2_b64 exec, exec, s[0:1]
	s_cbranch_execnz .LBB60_103
; %bb.104:
	s_or_b64 exec, exec, s[0:1]
.LBB60_105:
	s_or_b64 exec, exec, s[8:9]
	v_mov_b32_e32 v128, 0
	ds_read_b64 v[128:129], v128 offset:392
	s_waitcnt lgkmcnt(0)
	v_mul_f64 v[126:127], v[126:127], v[128:129]
	scratch_store_dwordx2 off, v[126:127], off offset:392
.LBB60_106:
	s_or_b64 exec, exec, s[4:5]
	scratch_load_dwordx2 v[126:127], off, off offset:384
	v_cmp_lt_u32_e64 s[0:1], 48, v0
	s_waitcnt vmcnt(0)
	ds_write_b64 v1, v[126:127]
	s_waitcnt lgkmcnt(0)
	; wave barrier
	s_and_saveexec_b64 s[4:5], s[0:1]
	s_cbranch_execz .LBB60_116
; %bb.107:
	s_andn2_b64 vcc, exec, s[6:7]
	s_cbranch_vccnz .LBB60_109
; %bb.108:
	scratch_load_dwordx2 v[126:127], v11, off
	ds_read_b64 v[128:129], v1
	s_waitcnt vmcnt(0) lgkmcnt(0)
	v_mul_f64 v[126:127], v[126:127], v[128:129]
	s_cbranch_execz .LBB60_110
	s_branch .LBB60_111
.LBB60_109:
                                        ; implicit-def: $vgpr126_vgpr127
.LBB60_110:
	ds_read_b64 v[126:127], v1
.LBB60_111:
	s_and_saveexec_b64 s[8:9], s[2:3]
	s_cbranch_execz .LBB60_115
; %bb.112:
	s_movk_i32 s35, 0x188
	v_subrev_u32_e32 v128, 49, v0
	s_movk_i32 s36, 0x378
	s_mov_b64 s[2:3], 0
.LBB60_113:                             ; =>This Inner Loop Header: Depth=1
	scratch_load_dwordx2 v[130:131], off, s35
	v_mov_b32_e32 v129, s36
	ds_read_b64 v[132:133], v129
	v_add_u32_e32 v128, -1, v128
	s_add_i32 s36, s36, 8
	s_add_i32 s35, s35, 8
	v_cmp_eq_u32_e32 vcc, 0, v128
	s_or_b64 s[2:3], vcc, s[2:3]
	s_waitcnt vmcnt(0) lgkmcnt(0)
	v_fmac_f64_e32 v[126:127], v[130:131], v[132:133]
	s_andn2_b64 exec, exec, s[2:3]
	s_cbranch_execnz .LBB60_113
; %bb.114:
	s_or_b64 exec, exec, s[2:3]
.LBB60_115:
	s_or_b64 exec, exec, s[8:9]
	v_mov_b32_e32 v128, 0
	ds_read_b64 v[128:129], v128 offset:384
	s_waitcnt lgkmcnt(0)
	v_mul_f64 v[126:127], v[126:127], v[128:129]
	scratch_store_dwordx2 off, v[126:127], off offset:384
.LBB60_116:
	s_or_b64 exec, exec, s[4:5]
	scratch_load_dwordx2 v[126:127], off, off offset:376
	v_cmp_lt_u32_e64 s[2:3], 47, v0
	s_waitcnt vmcnt(0)
	ds_write_b64 v1, v[126:127]
	s_waitcnt lgkmcnt(0)
	; wave barrier
	s_and_saveexec_b64 s[4:5], s[2:3]
	s_cbranch_execz .LBB60_126
; %bb.117:
	s_andn2_b64 vcc, exec, s[6:7]
	s_cbranch_vccnz .LBB60_119
; %bb.118:
	scratch_load_dwordx2 v[126:127], v11, off
	ds_read_b64 v[128:129], v1
	s_waitcnt vmcnt(0) lgkmcnt(0)
	v_mul_f64 v[126:127], v[126:127], v[128:129]
	s_cbranch_execz .LBB60_120
	s_branch .LBB60_121
.LBB60_119:
                                        ; implicit-def: $vgpr126_vgpr127
.LBB60_120:
	ds_read_b64 v[126:127], v1
.LBB60_121:
	s_and_saveexec_b64 s[8:9], s[0:1]
	s_cbranch_execz .LBB60_125
; %bb.122:
	v_subrev_u32_e32 v128, 48, v0
	s_movk_i32 s35, 0x370
	s_mov_b64 s[0:1], 0
.LBB60_123:                             ; =>This Inner Loop Header: Depth=1
	scratch_load_dwordx2 v[130:131], off, s34
	v_mov_b32_e32 v129, s35
	ds_read_b64 v[132:133], v129
	v_add_u32_e32 v128, -1, v128
	s_add_i32 s35, s35, 8
	s_add_i32 s34, s34, 8
	v_cmp_eq_u32_e32 vcc, 0, v128
	s_or_b64 s[0:1], vcc, s[0:1]
	s_waitcnt vmcnt(0) lgkmcnt(0)
	v_fmac_f64_e32 v[126:127], v[130:131], v[132:133]
	s_andn2_b64 exec, exec, s[0:1]
	s_cbranch_execnz .LBB60_123
; %bb.124:
	s_or_b64 exec, exec, s[0:1]
.LBB60_125:
	s_or_b64 exec, exec, s[8:9]
	v_mov_b32_e32 v128, 0
	ds_read_b64 v[128:129], v128 offset:376
	s_waitcnt lgkmcnt(0)
	v_mul_f64 v[126:127], v[126:127], v[128:129]
	scratch_store_dwordx2 off, v[126:127], off offset:376
.LBB60_126:
	s_or_b64 exec, exec, s[4:5]
	scratch_load_dwordx2 v[126:127], off, off offset:368
	v_cmp_lt_u32_e64 s[0:1], 46, v0
	s_waitcnt vmcnt(0)
	ds_write_b64 v1, v[126:127]
	s_waitcnt lgkmcnt(0)
	; wave barrier
	s_and_saveexec_b64 s[4:5], s[0:1]
	s_cbranch_execz .LBB60_136
; %bb.127:
	s_andn2_b64 vcc, exec, s[6:7]
	s_cbranch_vccnz .LBB60_129
; %bb.128:
	scratch_load_dwordx2 v[126:127], v11, off
	ds_read_b64 v[128:129], v1
	s_waitcnt vmcnt(0) lgkmcnt(0)
	v_mul_f64 v[126:127], v[126:127], v[128:129]
	s_cbranch_execz .LBB60_130
	s_branch .LBB60_131
.LBB60_129:
                                        ; implicit-def: $vgpr126_vgpr127
.LBB60_130:
	ds_read_b64 v[126:127], v1
.LBB60_131:
	s_and_saveexec_b64 s[8:9], s[2:3]
	s_cbranch_execz .LBB60_135
; %bb.132:
	s_movk_i32 s34, 0x178
	v_subrev_u32_e32 v128, 47, v0
	s_movk_i32 s35, 0x368
	s_mov_b64 s[2:3], 0
.LBB60_133:                             ; =>This Inner Loop Header: Depth=1
	scratch_load_dwordx2 v[130:131], off, s34
	v_mov_b32_e32 v129, s35
	ds_read_b64 v[132:133], v129
	v_add_u32_e32 v128, -1, v128
	s_add_i32 s35, s35, 8
	s_add_i32 s34, s34, 8
	v_cmp_eq_u32_e32 vcc, 0, v128
	s_or_b64 s[2:3], vcc, s[2:3]
	s_waitcnt vmcnt(0) lgkmcnt(0)
	v_fmac_f64_e32 v[126:127], v[130:131], v[132:133]
	s_andn2_b64 exec, exec, s[2:3]
	s_cbranch_execnz .LBB60_133
; %bb.134:
	s_or_b64 exec, exec, s[2:3]
.LBB60_135:
	s_or_b64 exec, exec, s[8:9]
	v_mov_b32_e32 v128, 0
	ds_read_b64 v[128:129], v128 offset:368
	s_waitcnt lgkmcnt(0)
	v_mul_f64 v[126:127], v[126:127], v[128:129]
	scratch_store_dwordx2 off, v[126:127], off offset:368
.LBB60_136:
	s_or_b64 exec, exec, s[4:5]
	scratch_load_dwordx2 v[126:127], off, off offset:360
	v_cmp_lt_u32_e64 s[2:3], 45, v0
	s_waitcnt vmcnt(0)
	ds_write_b64 v1, v[126:127]
	s_waitcnt lgkmcnt(0)
	; wave barrier
	s_and_saveexec_b64 s[4:5], s[2:3]
	s_cbranch_execz .LBB60_146
; %bb.137:
	s_andn2_b64 vcc, exec, s[6:7]
	s_cbranch_vccnz .LBB60_139
; %bb.138:
	scratch_load_dwordx2 v[126:127], v11, off
	ds_read_b64 v[128:129], v1
	s_waitcnt vmcnt(0) lgkmcnt(0)
	v_mul_f64 v[126:127], v[126:127], v[128:129]
	s_cbranch_execz .LBB60_140
	s_branch .LBB60_141
.LBB60_139:
                                        ; implicit-def: $vgpr126_vgpr127
.LBB60_140:
	ds_read_b64 v[126:127], v1
.LBB60_141:
	s_and_saveexec_b64 s[8:9], s[0:1]
	s_cbranch_execz .LBB60_145
; %bb.142:
	v_subrev_u32_e32 v128, 46, v0
	s_movk_i32 s34, 0x360
	s_mov_b64 s[0:1], 0
.LBB60_143:                             ; =>This Inner Loop Header: Depth=1
	scratch_load_dwordx2 v[130:131], off, s33
	v_mov_b32_e32 v129, s34
	ds_read_b64 v[132:133], v129
	v_add_u32_e32 v128, -1, v128
	s_add_i32 s34, s34, 8
	s_add_i32 s33, s33, 8
	v_cmp_eq_u32_e32 vcc, 0, v128
	s_or_b64 s[0:1], vcc, s[0:1]
	s_waitcnt vmcnt(0) lgkmcnt(0)
	v_fmac_f64_e32 v[126:127], v[130:131], v[132:133]
	s_andn2_b64 exec, exec, s[0:1]
	s_cbranch_execnz .LBB60_143
; %bb.144:
	s_or_b64 exec, exec, s[0:1]
.LBB60_145:
	s_or_b64 exec, exec, s[8:9]
	v_mov_b32_e32 v128, 0
	ds_read_b64 v[128:129], v128 offset:360
	s_waitcnt lgkmcnt(0)
	v_mul_f64 v[126:127], v[126:127], v[128:129]
	scratch_store_dwordx2 off, v[126:127], off offset:360
.LBB60_146:
	s_or_b64 exec, exec, s[4:5]
	scratch_load_dwordx2 v[126:127], off, off offset:352
	v_cmp_lt_u32_e64 s[0:1], 44, v0
	s_waitcnt vmcnt(0)
	ds_write_b64 v1, v[126:127]
	s_waitcnt lgkmcnt(0)
	; wave barrier
	s_and_saveexec_b64 s[4:5], s[0:1]
	s_cbranch_execz .LBB60_156
; %bb.147:
	s_andn2_b64 vcc, exec, s[6:7]
	s_cbranch_vccnz .LBB60_149
; %bb.148:
	scratch_load_dwordx2 v[126:127], v11, off
	ds_read_b64 v[128:129], v1
	s_waitcnt vmcnt(0) lgkmcnt(0)
	v_mul_f64 v[126:127], v[126:127], v[128:129]
	s_cbranch_execz .LBB60_150
	s_branch .LBB60_151
.LBB60_149:
                                        ; implicit-def: $vgpr126_vgpr127
.LBB60_150:
	ds_read_b64 v[126:127], v1
.LBB60_151:
	s_and_saveexec_b64 s[8:9], s[2:3]
	s_cbranch_execz .LBB60_155
; %bb.152:
	s_movk_i32 s33, 0x168
	v_subrev_u32_e32 v128, 45, v0
	s_movk_i32 s34, 0x358
	s_mov_b64 s[2:3], 0
.LBB60_153:                             ; =>This Inner Loop Header: Depth=1
	scratch_load_dwordx2 v[130:131], off, s33
	v_mov_b32_e32 v129, s34
	ds_read_b64 v[132:133], v129
	v_add_u32_e32 v128, -1, v128
	s_add_i32 s34, s34, 8
	s_add_i32 s33, s33, 8
	v_cmp_eq_u32_e32 vcc, 0, v128
	s_or_b64 s[2:3], vcc, s[2:3]
	s_waitcnt vmcnt(0) lgkmcnt(0)
	v_fmac_f64_e32 v[126:127], v[130:131], v[132:133]
	s_andn2_b64 exec, exec, s[2:3]
	s_cbranch_execnz .LBB60_153
; %bb.154:
	s_or_b64 exec, exec, s[2:3]
.LBB60_155:
	s_or_b64 exec, exec, s[8:9]
	v_mov_b32_e32 v128, 0
	ds_read_b64 v[128:129], v128 offset:352
	s_waitcnt lgkmcnt(0)
	v_mul_f64 v[126:127], v[126:127], v[128:129]
	scratch_store_dwordx2 off, v[126:127], off offset:352
.LBB60_156:
	s_or_b64 exec, exec, s[4:5]
	scratch_load_dwordx2 v[126:127], off, off offset:344
	v_cmp_lt_u32_e64 s[2:3], 43, v0
	s_waitcnt vmcnt(0)
	ds_write_b64 v1, v[126:127]
	s_waitcnt lgkmcnt(0)
	; wave barrier
	s_and_saveexec_b64 s[4:5], s[2:3]
	s_cbranch_execz .LBB60_166
; %bb.157:
	s_andn2_b64 vcc, exec, s[6:7]
	s_cbranch_vccnz .LBB60_159
; %bb.158:
	scratch_load_dwordx2 v[126:127], v11, off
	ds_read_b64 v[128:129], v1
	s_waitcnt vmcnt(0) lgkmcnt(0)
	v_mul_f64 v[126:127], v[126:127], v[128:129]
	s_cbranch_execz .LBB60_160
	s_branch .LBB60_161
.LBB60_159:
                                        ; implicit-def: $vgpr126_vgpr127
.LBB60_160:
	ds_read_b64 v[126:127], v1
.LBB60_161:
	s_and_saveexec_b64 s[8:9], s[0:1]
	s_cbranch_execz .LBB60_165
; %bb.162:
	v_subrev_u32_e32 v128, 44, v0
	s_movk_i32 s33, 0x350
	s_mov_b64 s[0:1], 0
.LBB60_163:                             ; =>This Inner Loop Header: Depth=1
	scratch_load_dwordx2 v[130:131], off, s31
	v_mov_b32_e32 v129, s33
	ds_read_b64 v[132:133], v129
	v_add_u32_e32 v128, -1, v128
	s_add_i32 s33, s33, 8
	s_add_i32 s31, s31, 8
	v_cmp_eq_u32_e32 vcc, 0, v128
	s_or_b64 s[0:1], vcc, s[0:1]
	s_waitcnt vmcnt(0) lgkmcnt(0)
	v_fmac_f64_e32 v[126:127], v[130:131], v[132:133]
	s_andn2_b64 exec, exec, s[0:1]
	s_cbranch_execnz .LBB60_163
; %bb.164:
	s_or_b64 exec, exec, s[0:1]
.LBB60_165:
	s_or_b64 exec, exec, s[8:9]
	v_mov_b32_e32 v128, 0
	ds_read_b64 v[128:129], v128 offset:344
	s_waitcnt lgkmcnt(0)
	v_mul_f64 v[126:127], v[126:127], v[128:129]
	scratch_store_dwordx2 off, v[126:127], off offset:344
.LBB60_166:
	s_or_b64 exec, exec, s[4:5]
	scratch_load_dwordx2 v[126:127], off, off offset:336
	v_cmp_lt_u32_e64 s[0:1], 42, v0
	s_waitcnt vmcnt(0)
	ds_write_b64 v1, v[126:127]
	s_waitcnt lgkmcnt(0)
	; wave barrier
	s_and_saveexec_b64 s[4:5], s[0:1]
	s_cbranch_execz .LBB60_176
; %bb.167:
	s_andn2_b64 vcc, exec, s[6:7]
	s_cbranch_vccnz .LBB60_169
; %bb.168:
	scratch_load_dwordx2 v[126:127], v11, off
	ds_read_b64 v[128:129], v1
	s_waitcnt vmcnt(0) lgkmcnt(0)
	v_mul_f64 v[126:127], v[126:127], v[128:129]
	s_cbranch_execz .LBB60_170
	s_branch .LBB60_171
.LBB60_169:
                                        ; implicit-def: $vgpr126_vgpr127
.LBB60_170:
	ds_read_b64 v[126:127], v1
.LBB60_171:
	s_and_saveexec_b64 s[8:9], s[2:3]
	s_cbranch_execz .LBB60_175
; %bb.172:
	s_movk_i32 s31, 0x158
	v_subrev_u32_e32 v128, 43, v0
	s_movk_i32 s33, 0x348
	s_mov_b64 s[2:3], 0
.LBB60_173:                             ; =>This Inner Loop Header: Depth=1
	scratch_load_dwordx2 v[130:131], off, s31
	v_mov_b32_e32 v129, s33
	ds_read_b64 v[132:133], v129
	v_add_u32_e32 v128, -1, v128
	s_add_i32 s33, s33, 8
	s_add_i32 s31, s31, 8
	v_cmp_eq_u32_e32 vcc, 0, v128
	s_or_b64 s[2:3], vcc, s[2:3]
	s_waitcnt vmcnt(0) lgkmcnt(0)
	v_fmac_f64_e32 v[126:127], v[130:131], v[132:133]
	s_andn2_b64 exec, exec, s[2:3]
	s_cbranch_execnz .LBB60_173
; %bb.174:
	s_or_b64 exec, exec, s[2:3]
.LBB60_175:
	s_or_b64 exec, exec, s[8:9]
	v_mov_b32_e32 v128, 0
	ds_read_b64 v[128:129], v128 offset:336
	s_waitcnt lgkmcnt(0)
	v_mul_f64 v[126:127], v[126:127], v[128:129]
	scratch_store_dwordx2 off, v[126:127], off offset:336
.LBB60_176:
	s_or_b64 exec, exec, s[4:5]
	scratch_load_dwordx2 v[126:127], off, off offset:328
	v_cmp_lt_u32_e64 s[2:3], 41, v0
	s_waitcnt vmcnt(0)
	ds_write_b64 v1, v[126:127]
	s_waitcnt lgkmcnt(0)
	; wave barrier
	s_and_saveexec_b64 s[4:5], s[2:3]
	s_cbranch_execz .LBB60_186
; %bb.177:
	s_andn2_b64 vcc, exec, s[6:7]
	s_cbranch_vccnz .LBB60_179
; %bb.178:
	scratch_load_dwordx2 v[126:127], v11, off
	ds_read_b64 v[128:129], v1
	s_waitcnt vmcnt(0) lgkmcnt(0)
	v_mul_f64 v[126:127], v[126:127], v[128:129]
	s_cbranch_execz .LBB60_180
	s_branch .LBB60_181
.LBB60_179:
                                        ; implicit-def: $vgpr126_vgpr127
.LBB60_180:
	ds_read_b64 v[126:127], v1
.LBB60_181:
	s_and_saveexec_b64 s[8:9], s[0:1]
	s_cbranch_execz .LBB60_185
; %bb.182:
	v_subrev_u32_e32 v128, 42, v0
	s_movk_i32 s31, 0x340
	s_mov_b64 s[0:1], 0
.LBB60_183:                             ; =>This Inner Loop Header: Depth=1
	scratch_load_dwordx2 v[130:131], off, s30
	v_mov_b32_e32 v129, s31
	ds_read_b64 v[132:133], v129
	v_add_u32_e32 v128, -1, v128
	s_add_i32 s31, s31, 8
	s_add_i32 s30, s30, 8
	v_cmp_eq_u32_e32 vcc, 0, v128
	s_or_b64 s[0:1], vcc, s[0:1]
	s_waitcnt vmcnt(0) lgkmcnt(0)
	v_fmac_f64_e32 v[126:127], v[130:131], v[132:133]
	s_andn2_b64 exec, exec, s[0:1]
	s_cbranch_execnz .LBB60_183
; %bb.184:
	s_or_b64 exec, exec, s[0:1]
.LBB60_185:
	s_or_b64 exec, exec, s[8:9]
	v_mov_b32_e32 v128, 0
	ds_read_b64 v[128:129], v128 offset:328
	s_waitcnt lgkmcnt(0)
	v_mul_f64 v[126:127], v[126:127], v[128:129]
	scratch_store_dwordx2 off, v[126:127], off offset:328
.LBB60_186:
	s_or_b64 exec, exec, s[4:5]
	scratch_load_dwordx2 v[126:127], off, off offset:320
	v_cmp_lt_u32_e64 s[0:1], 40, v0
	s_waitcnt vmcnt(0)
	ds_write_b64 v1, v[126:127]
	s_waitcnt lgkmcnt(0)
	; wave barrier
	s_and_saveexec_b64 s[4:5], s[0:1]
	s_cbranch_execz .LBB60_196
; %bb.187:
	s_andn2_b64 vcc, exec, s[6:7]
	s_cbranch_vccnz .LBB60_189
; %bb.188:
	scratch_load_dwordx2 v[126:127], v11, off
	ds_read_b64 v[128:129], v1
	s_waitcnt vmcnt(0) lgkmcnt(0)
	v_mul_f64 v[126:127], v[126:127], v[128:129]
	s_cbranch_execz .LBB60_190
	s_branch .LBB60_191
.LBB60_189:
                                        ; implicit-def: $vgpr126_vgpr127
.LBB60_190:
	ds_read_b64 v[126:127], v1
.LBB60_191:
	s_and_saveexec_b64 s[8:9], s[2:3]
	s_cbranch_execz .LBB60_195
; %bb.192:
	s_movk_i32 s30, 0x148
	v_subrev_u32_e32 v128, 41, v0
	s_movk_i32 s31, 0x338
	s_mov_b64 s[2:3], 0
.LBB60_193:                             ; =>This Inner Loop Header: Depth=1
	scratch_load_dwordx2 v[130:131], off, s30
	v_mov_b32_e32 v129, s31
	ds_read_b64 v[132:133], v129
	v_add_u32_e32 v128, -1, v128
	s_add_i32 s31, s31, 8
	s_add_i32 s30, s30, 8
	v_cmp_eq_u32_e32 vcc, 0, v128
	s_or_b64 s[2:3], vcc, s[2:3]
	s_waitcnt vmcnt(0) lgkmcnt(0)
	v_fmac_f64_e32 v[126:127], v[130:131], v[132:133]
	s_andn2_b64 exec, exec, s[2:3]
	s_cbranch_execnz .LBB60_193
; %bb.194:
	s_or_b64 exec, exec, s[2:3]
.LBB60_195:
	s_or_b64 exec, exec, s[8:9]
	v_mov_b32_e32 v128, 0
	ds_read_b64 v[128:129], v128 offset:320
	s_waitcnt lgkmcnt(0)
	v_mul_f64 v[126:127], v[126:127], v[128:129]
	scratch_store_dwordx2 off, v[126:127], off offset:320
.LBB60_196:
	s_or_b64 exec, exec, s[4:5]
	scratch_load_dwordx2 v[126:127], off, off offset:312
	v_cmp_lt_u32_e64 s[2:3], 39, v0
	s_waitcnt vmcnt(0)
	ds_write_b64 v1, v[126:127]
	s_waitcnt lgkmcnt(0)
	; wave barrier
	s_and_saveexec_b64 s[4:5], s[2:3]
	s_cbranch_execz .LBB60_206
; %bb.197:
	s_andn2_b64 vcc, exec, s[6:7]
	s_cbranch_vccnz .LBB60_199
; %bb.198:
	scratch_load_dwordx2 v[126:127], v11, off
	ds_read_b64 v[128:129], v1
	s_waitcnt vmcnt(0) lgkmcnt(0)
	v_mul_f64 v[126:127], v[126:127], v[128:129]
	s_cbranch_execz .LBB60_200
	s_branch .LBB60_201
.LBB60_199:
                                        ; implicit-def: $vgpr126_vgpr127
.LBB60_200:
	ds_read_b64 v[126:127], v1
.LBB60_201:
	s_and_saveexec_b64 s[8:9], s[0:1]
	s_cbranch_execz .LBB60_205
; %bb.202:
	v_subrev_u32_e32 v128, 40, v0
	s_movk_i32 s30, 0x330
	s_mov_b64 s[0:1], 0
.LBB60_203:                             ; =>This Inner Loop Header: Depth=1
	scratch_load_dwordx2 v[130:131], off, s29
	v_mov_b32_e32 v129, s30
	ds_read_b64 v[132:133], v129
	v_add_u32_e32 v128, -1, v128
	s_add_i32 s30, s30, 8
	s_add_i32 s29, s29, 8
	v_cmp_eq_u32_e32 vcc, 0, v128
	s_or_b64 s[0:1], vcc, s[0:1]
	s_waitcnt vmcnt(0) lgkmcnt(0)
	v_fmac_f64_e32 v[126:127], v[130:131], v[132:133]
	s_andn2_b64 exec, exec, s[0:1]
	s_cbranch_execnz .LBB60_203
; %bb.204:
	s_or_b64 exec, exec, s[0:1]
.LBB60_205:
	s_or_b64 exec, exec, s[8:9]
	v_mov_b32_e32 v128, 0
	ds_read_b64 v[128:129], v128 offset:312
	s_waitcnt lgkmcnt(0)
	v_mul_f64 v[126:127], v[126:127], v[128:129]
	scratch_store_dwordx2 off, v[126:127], off offset:312
.LBB60_206:
	s_or_b64 exec, exec, s[4:5]
	scratch_load_dwordx2 v[126:127], off, off offset:304
	v_cmp_lt_u32_e64 s[0:1], 38, v0
	s_waitcnt vmcnt(0)
	ds_write_b64 v1, v[126:127]
	s_waitcnt lgkmcnt(0)
	; wave barrier
	s_and_saveexec_b64 s[4:5], s[0:1]
	s_cbranch_execz .LBB60_216
; %bb.207:
	s_andn2_b64 vcc, exec, s[6:7]
	s_cbranch_vccnz .LBB60_209
; %bb.208:
	scratch_load_dwordx2 v[126:127], v11, off
	ds_read_b64 v[128:129], v1
	s_waitcnt vmcnt(0) lgkmcnt(0)
	v_mul_f64 v[126:127], v[126:127], v[128:129]
	s_cbranch_execz .LBB60_210
	s_branch .LBB60_211
.LBB60_209:
                                        ; implicit-def: $vgpr126_vgpr127
.LBB60_210:
	ds_read_b64 v[126:127], v1
.LBB60_211:
	s_and_saveexec_b64 s[8:9], s[2:3]
	s_cbranch_execz .LBB60_215
; %bb.212:
	s_movk_i32 s29, 0x138
	v_subrev_u32_e32 v128, 39, v0
	s_movk_i32 s30, 0x328
	s_mov_b64 s[2:3], 0
.LBB60_213:                             ; =>This Inner Loop Header: Depth=1
	scratch_load_dwordx2 v[130:131], off, s29
	v_mov_b32_e32 v129, s30
	ds_read_b64 v[132:133], v129
	v_add_u32_e32 v128, -1, v128
	s_add_i32 s30, s30, 8
	s_add_i32 s29, s29, 8
	v_cmp_eq_u32_e32 vcc, 0, v128
	s_or_b64 s[2:3], vcc, s[2:3]
	s_waitcnt vmcnt(0) lgkmcnt(0)
	v_fmac_f64_e32 v[126:127], v[130:131], v[132:133]
	s_andn2_b64 exec, exec, s[2:3]
	s_cbranch_execnz .LBB60_213
; %bb.214:
	s_or_b64 exec, exec, s[2:3]
.LBB60_215:
	s_or_b64 exec, exec, s[8:9]
	v_mov_b32_e32 v128, 0
	ds_read_b64 v[128:129], v128 offset:304
	s_waitcnt lgkmcnt(0)
	v_mul_f64 v[126:127], v[126:127], v[128:129]
	scratch_store_dwordx2 off, v[126:127], off offset:304
.LBB60_216:
	s_or_b64 exec, exec, s[4:5]
	scratch_load_dwordx2 v[126:127], off, off offset:296
	v_cmp_lt_u32_e64 s[2:3], 37, v0
	s_waitcnt vmcnt(0)
	ds_write_b64 v1, v[126:127]
	s_waitcnt lgkmcnt(0)
	; wave barrier
	s_and_saveexec_b64 s[4:5], s[2:3]
	s_cbranch_execz .LBB60_226
; %bb.217:
	s_andn2_b64 vcc, exec, s[6:7]
	s_cbranch_vccnz .LBB60_219
; %bb.218:
	scratch_load_dwordx2 v[126:127], v11, off
	ds_read_b64 v[128:129], v1
	s_waitcnt vmcnt(0) lgkmcnt(0)
	v_mul_f64 v[126:127], v[126:127], v[128:129]
	s_cbranch_execz .LBB60_220
	s_branch .LBB60_221
.LBB60_219:
                                        ; implicit-def: $vgpr126_vgpr127
.LBB60_220:
	ds_read_b64 v[126:127], v1
.LBB60_221:
	s_and_saveexec_b64 s[8:9], s[0:1]
	s_cbranch_execz .LBB60_225
; %bb.222:
	v_subrev_u32_e32 v128, 38, v0
	s_movk_i32 s29, 0x320
	s_mov_b64 s[0:1], 0
.LBB60_223:                             ; =>This Inner Loop Header: Depth=1
	scratch_load_dwordx2 v[130:131], off, s28
	v_mov_b32_e32 v129, s29
	ds_read_b64 v[132:133], v129
	v_add_u32_e32 v128, -1, v128
	s_add_i32 s29, s29, 8
	s_add_i32 s28, s28, 8
	v_cmp_eq_u32_e32 vcc, 0, v128
	s_or_b64 s[0:1], vcc, s[0:1]
	s_waitcnt vmcnt(0) lgkmcnt(0)
	v_fmac_f64_e32 v[126:127], v[130:131], v[132:133]
	s_andn2_b64 exec, exec, s[0:1]
	s_cbranch_execnz .LBB60_223
; %bb.224:
	s_or_b64 exec, exec, s[0:1]
.LBB60_225:
	s_or_b64 exec, exec, s[8:9]
	v_mov_b32_e32 v128, 0
	ds_read_b64 v[128:129], v128 offset:296
	s_waitcnt lgkmcnt(0)
	v_mul_f64 v[126:127], v[126:127], v[128:129]
	scratch_store_dwordx2 off, v[126:127], off offset:296
.LBB60_226:
	s_or_b64 exec, exec, s[4:5]
	scratch_load_dwordx2 v[126:127], off, off offset:288
	v_cmp_lt_u32_e64 s[0:1], 36, v0
	s_waitcnt vmcnt(0)
	ds_write_b64 v1, v[126:127]
	s_waitcnt lgkmcnt(0)
	; wave barrier
	s_and_saveexec_b64 s[4:5], s[0:1]
	s_cbranch_execz .LBB60_236
; %bb.227:
	s_andn2_b64 vcc, exec, s[6:7]
	s_cbranch_vccnz .LBB60_229
; %bb.228:
	scratch_load_dwordx2 v[126:127], v11, off
	ds_read_b64 v[128:129], v1
	s_waitcnt vmcnt(0) lgkmcnt(0)
	v_mul_f64 v[126:127], v[126:127], v[128:129]
	s_cbranch_execz .LBB60_230
	s_branch .LBB60_231
.LBB60_229:
                                        ; implicit-def: $vgpr126_vgpr127
.LBB60_230:
	ds_read_b64 v[126:127], v1
.LBB60_231:
	s_and_saveexec_b64 s[8:9], s[2:3]
	s_cbranch_execz .LBB60_235
; %bb.232:
	s_movk_i32 s28, 0x128
	v_subrev_u32_e32 v128, 37, v0
	s_movk_i32 s29, 0x318
	s_mov_b64 s[2:3], 0
.LBB60_233:                             ; =>This Inner Loop Header: Depth=1
	scratch_load_dwordx2 v[130:131], off, s28
	v_mov_b32_e32 v129, s29
	ds_read_b64 v[132:133], v129
	v_add_u32_e32 v128, -1, v128
	s_add_i32 s29, s29, 8
	s_add_i32 s28, s28, 8
	v_cmp_eq_u32_e32 vcc, 0, v128
	s_or_b64 s[2:3], vcc, s[2:3]
	s_waitcnt vmcnt(0) lgkmcnt(0)
	v_fmac_f64_e32 v[126:127], v[130:131], v[132:133]
	s_andn2_b64 exec, exec, s[2:3]
	s_cbranch_execnz .LBB60_233
; %bb.234:
	s_or_b64 exec, exec, s[2:3]
.LBB60_235:
	s_or_b64 exec, exec, s[8:9]
	v_mov_b32_e32 v128, 0
	ds_read_b64 v[128:129], v128 offset:288
	s_waitcnt lgkmcnt(0)
	v_mul_f64 v[126:127], v[126:127], v[128:129]
	scratch_store_dwordx2 off, v[126:127], off offset:288
.LBB60_236:
	s_or_b64 exec, exec, s[4:5]
	scratch_load_dwordx2 v[126:127], off, off offset:280
	v_cmp_lt_u32_e64 s[2:3], 35, v0
	s_waitcnt vmcnt(0)
	ds_write_b64 v1, v[126:127]
	s_waitcnt lgkmcnt(0)
	; wave barrier
	s_and_saveexec_b64 s[4:5], s[2:3]
	s_cbranch_execz .LBB60_246
; %bb.237:
	s_andn2_b64 vcc, exec, s[6:7]
	s_cbranch_vccnz .LBB60_239
; %bb.238:
	scratch_load_dwordx2 v[126:127], v11, off
	ds_read_b64 v[128:129], v1
	s_waitcnt vmcnt(0) lgkmcnt(0)
	v_mul_f64 v[126:127], v[126:127], v[128:129]
	s_cbranch_execz .LBB60_240
	s_branch .LBB60_241
.LBB60_239:
                                        ; implicit-def: $vgpr126_vgpr127
.LBB60_240:
	ds_read_b64 v[126:127], v1
.LBB60_241:
	s_and_saveexec_b64 s[8:9], s[0:1]
	s_cbranch_execz .LBB60_245
; %bb.242:
	v_subrev_u32_e32 v128, 36, v0
	s_movk_i32 s28, 0x310
	s_mov_b64 s[0:1], 0
.LBB60_243:                             ; =>This Inner Loop Header: Depth=1
	scratch_load_dwordx2 v[130:131], off, s27
	v_mov_b32_e32 v129, s28
	ds_read_b64 v[132:133], v129
	v_add_u32_e32 v128, -1, v128
	s_add_i32 s28, s28, 8
	s_add_i32 s27, s27, 8
	v_cmp_eq_u32_e32 vcc, 0, v128
	s_or_b64 s[0:1], vcc, s[0:1]
	s_waitcnt vmcnt(0) lgkmcnt(0)
	v_fmac_f64_e32 v[126:127], v[130:131], v[132:133]
	s_andn2_b64 exec, exec, s[0:1]
	s_cbranch_execnz .LBB60_243
; %bb.244:
	s_or_b64 exec, exec, s[0:1]
.LBB60_245:
	s_or_b64 exec, exec, s[8:9]
	v_mov_b32_e32 v128, 0
	ds_read_b64 v[128:129], v128 offset:280
	s_waitcnt lgkmcnt(0)
	v_mul_f64 v[126:127], v[126:127], v[128:129]
	scratch_store_dwordx2 off, v[126:127], off offset:280
.LBB60_246:
	s_or_b64 exec, exec, s[4:5]
	scratch_load_dwordx2 v[126:127], off, off offset:272
	v_cmp_lt_u32_e64 s[0:1], 34, v0
	s_waitcnt vmcnt(0)
	ds_write_b64 v1, v[126:127]
	s_waitcnt lgkmcnt(0)
	; wave barrier
	s_and_saveexec_b64 s[4:5], s[0:1]
	s_cbranch_execz .LBB60_256
; %bb.247:
	s_andn2_b64 vcc, exec, s[6:7]
	s_cbranch_vccnz .LBB60_249
; %bb.248:
	scratch_load_dwordx2 v[126:127], v11, off
	ds_read_b64 v[128:129], v1
	s_waitcnt vmcnt(0) lgkmcnt(0)
	v_mul_f64 v[126:127], v[126:127], v[128:129]
	s_cbranch_execz .LBB60_250
	s_branch .LBB60_251
.LBB60_249:
                                        ; implicit-def: $vgpr126_vgpr127
.LBB60_250:
	ds_read_b64 v[126:127], v1
.LBB60_251:
	s_and_saveexec_b64 s[8:9], s[2:3]
	s_cbranch_execz .LBB60_255
; %bb.252:
	s_movk_i32 s27, 0x118
	v_subrev_u32_e32 v128, 35, v0
	s_movk_i32 s28, 0x308
	s_mov_b64 s[2:3], 0
.LBB60_253:                             ; =>This Inner Loop Header: Depth=1
	scratch_load_dwordx2 v[130:131], off, s27
	v_mov_b32_e32 v129, s28
	ds_read_b64 v[132:133], v129
	v_add_u32_e32 v128, -1, v128
	s_add_i32 s28, s28, 8
	s_add_i32 s27, s27, 8
	v_cmp_eq_u32_e32 vcc, 0, v128
	s_or_b64 s[2:3], vcc, s[2:3]
	s_waitcnt vmcnt(0) lgkmcnt(0)
	v_fmac_f64_e32 v[126:127], v[130:131], v[132:133]
	s_andn2_b64 exec, exec, s[2:3]
	s_cbranch_execnz .LBB60_253
; %bb.254:
	s_or_b64 exec, exec, s[2:3]
.LBB60_255:
	s_or_b64 exec, exec, s[8:9]
	v_mov_b32_e32 v128, 0
	ds_read_b64 v[128:129], v128 offset:272
	s_waitcnt lgkmcnt(0)
	v_mul_f64 v[126:127], v[126:127], v[128:129]
	scratch_store_dwordx2 off, v[126:127], off offset:272
.LBB60_256:
	s_or_b64 exec, exec, s[4:5]
	scratch_load_dwordx2 v[126:127], off, off offset:264
	v_cmp_lt_u32_e64 s[2:3], 33, v0
	s_waitcnt vmcnt(0)
	ds_write_b64 v1, v[126:127]
	s_waitcnt lgkmcnt(0)
	; wave barrier
	s_and_saveexec_b64 s[4:5], s[2:3]
	s_cbranch_execz .LBB60_266
; %bb.257:
	s_andn2_b64 vcc, exec, s[6:7]
	s_cbranch_vccnz .LBB60_259
; %bb.258:
	scratch_load_dwordx2 v[126:127], v11, off
	ds_read_b64 v[128:129], v1
	s_waitcnt vmcnt(0) lgkmcnt(0)
	v_mul_f64 v[126:127], v[126:127], v[128:129]
	s_cbranch_execz .LBB60_260
	s_branch .LBB60_261
.LBB60_259:
                                        ; implicit-def: $vgpr126_vgpr127
.LBB60_260:
	ds_read_b64 v[126:127], v1
.LBB60_261:
	s_and_saveexec_b64 s[8:9], s[0:1]
	s_cbranch_execz .LBB60_265
; %bb.262:
	v_subrev_u32_e32 v128, 34, v0
	s_movk_i32 s27, 0x300
	s_mov_b64 s[0:1], 0
.LBB60_263:                             ; =>This Inner Loop Header: Depth=1
	scratch_load_dwordx2 v[130:131], off, s26
	v_mov_b32_e32 v129, s27
	ds_read_b64 v[132:133], v129
	v_add_u32_e32 v128, -1, v128
	s_add_i32 s27, s27, 8
	s_add_i32 s26, s26, 8
	v_cmp_eq_u32_e32 vcc, 0, v128
	s_or_b64 s[0:1], vcc, s[0:1]
	s_waitcnt vmcnt(0) lgkmcnt(0)
	v_fmac_f64_e32 v[126:127], v[130:131], v[132:133]
	s_andn2_b64 exec, exec, s[0:1]
	s_cbranch_execnz .LBB60_263
; %bb.264:
	s_or_b64 exec, exec, s[0:1]
.LBB60_265:
	s_or_b64 exec, exec, s[8:9]
	v_mov_b32_e32 v128, 0
	ds_read_b64 v[128:129], v128 offset:264
	s_waitcnt lgkmcnt(0)
	v_mul_f64 v[126:127], v[126:127], v[128:129]
	scratch_store_dwordx2 off, v[126:127], off offset:264
.LBB60_266:
	s_or_b64 exec, exec, s[4:5]
	scratch_load_dwordx2 v[126:127], off, off offset:256
	v_cmp_lt_u32_e64 s[0:1], 32, v0
	s_waitcnt vmcnt(0)
	ds_write_b64 v1, v[126:127]
	s_waitcnt lgkmcnt(0)
	; wave barrier
	s_and_saveexec_b64 s[4:5], s[0:1]
	s_cbranch_execz .LBB60_276
; %bb.267:
	s_andn2_b64 vcc, exec, s[6:7]
	s_cbranch_vccnz .LBB60_269
; %bb.268:
	scratch_load_dwordx2 v[126:127], v11, off
	ds_read_b64 v[128:129], v1
	s_waitcnt vmcnt(0) lgkmcnt(0)
	v_mul_f64 v[126:127], v[126:127], v[128:129]
	s_cbranch_execz .LBB60_270
	s_branch .LBB60_271
.LBB60_269:
                                        ; implicit-def: $vgpr126_vgpr127
.LBB60_270:
	ds_read_b64 v[126:127], v1
.LBB60_271:
	s_and_saveexec_b64 s[8:9], s[2:3]
	s_cbranch_execz .LBB60_275
; %bb.272:
	s_movk_i32 s26, 0x108
	v_subrev_u32_e32 v128, 33, v0
	s_movk_i32 s27, 0x2f8
	s_mov_b64 s[2:3], 0
.LBB60_273:                             ; =>This Inner Loop Header: Depth=1
	scratch_load_dwordx2 v[130:131], off, s26
	v_mov_b32_e32 v129, s27
	ds_read_b64 v[132:133], v129
	v_add_u32_e32 v128, -1, v128
	s_add_i32 s27, s27, 8
	s_add_i32 s26, s26, 8
	v_cmp_eq_u32_e32 vcc, 0, v128
	s_or_b64 s[2:3], vcc, s[2:3]
	s_waitcnt vmcnt(0) lgkmcnt(0)
	v_fmac_f64_e32 v[126:127], v[130:131], v[132:133]
	s_andn2_b64 exec, exec, s[2:3]
	s_cbranch_execnz .LBB60_273
; %bb.274:
	s_or_b64 exec, exec, s[2:3]
.LBB60_275:
	s_or_b64 exec, exec, s[8:9]
	v_mov_b32_e32 v128, 0
	ds_read_b64 v[128:129], v128 offset:256
	s_waitcnt lgkmcnt(0)
	v_mul_f64 v[126:127], v[126:127], v[128:129]
	scratch_store_dwordx2 off, v[126:127], off offset:256
.LBB60_276:
	s_or_b64 exec, exec, s[4:5]
	scratch_load_dwordx2 v[126:127], off, off offset:248
	v_cmp_lt_u32_e64 s[2:3], 31, v0
	s_waitcnt vmcnt(0)
	ds_write_b64 v1, v[126:127]
	s_waitcnt lgkmcnt(0)
	; wave barrier
	s_and_saveexec_b64 s[4:5], s[2:3]
	s_cbranch_execz .LBB60_286
; %bb.277:
	s_andn2_b64 vcc, exec, s[6:7]
	s_cbranch_vccnz .LBB60_279
; %bb.278:
	scratch_load_dwordx2 v[126:127], v11, off
	ds_read_b64 v[128:129], v1
	s_waitcnt vmcnt(0) lgkmcnt(0)
	v_mul_f64 v[126:127], v[126:127], v[128:129]
	s_cbranch_execz .LBB60_280
	s_branch .LBB60_281
.LBB60_279:
                                        ; implicit-def: $vgpr126_vgpr127
.LBB60_280:
	ds_read_b64 v[126:127], v1
.LBB60_281:
	s_and_saveexec_b64 s[8:9], s[0:1]
	s_cbranch_execz .LBB60_285
; %bb.282:
	v_subrev_u32_e32 v128, 32, v0
	s_movk_i32 s26, 0x2f0
	s_mov_b64 s[0:1], 0
.LBB60_283:                             ; =>This Inner Loop Header: Depth=1
	scratch_load_dwordx2 v[130:131], off, s25
	v_mov_b32_e32 v129, s26
	ds_read_b64 v[132:133], v129
	v_add_u32_e32 v128, -1, v128
	s_add_i32 s26, s26, 8
	s_add_i32 s25, s25, 8
	v_cmp_eq_u32_e32 vcc, 0, v128
	s_or_b64 s[0:1], vcc, s[0:1]
	s_waitcnt vmcnt(0) lgkmcnt(0)
	v_fmac_f64_e32 v[126:127], v[130:131], v[132:133]
	s_andn2_b64 exec, exec, s[0:1]
	s_cbranch_execnz .LBB60_283
; %bb.284:
	s_or_b64 exec, exec, s[0:1]
.LBB60_285:
	s_or_b64 exec, exec, s[8:9]
	v_mov_b32_e32 v128, 0
	ds_read_b64 v[128:129], v128 offset:248
	s_waitcnt lgkmcnt(0)
	v_mul_f64 v[126:127], v[126:127], v[128:129]
	scratch_store_dwordx2 off, v[126:127], off offset:248
.LBB60_286:
	s_or_b64 exec, exec, s[4:5]
	scratch_load_dwordx2 v[126:127], off, off offset:240
	v_cmp_lt_u32_e64 s[0:1], 30, v0
	s_waitcnt vmcnt(0)
	ds_write_b64 v1, v[126:127]
	s_waitcnt lgkmcnt(0)
	; wave barrier
	s_and_saveexec_b64 s[4:5], s[0:1]
	s_cbranch_execz .LBB60_296
; %bb.287:
	s_andn2_b64 vcc, exec, s[6:7]
	s_cbranch_vccnz .LBB60_289
; %bb.288:
	scratch_load_dwordx2 v[126:127], v11, off
	ds_read_b64 v[128:129], v1
	s_waitcnt vmcnt(0) lgkmcnt(0)
	v_mul_f64 v[126:127], v[126:127], v[128:129]
	s_cbranch_execz .LBB60_290
	s_branch .LBB60_291
.LBB60_289:
                                        ; implicit-def: $vgpr126_vgpr127
.LBB60_290:
	ds_read_b64 v[126:127], v1
.LBB60_291:
	s_and_saveexec_b64 s[8:9], s[2:3]
	s_cbranch_execz .LBB60_295
; %bb.292:
	s_movk_i32 s25, 0xf8
	v_subrev_u32_e32 v128, 31, v0
	s_movk_i32 s26, 0x2e8
	s_mov_b64 s[2:3], 0
.LBB60_293:                             ; =>This Inner Loop Header: Depth=1
	scratch_load_dwordx2 v[130:131], off, s25
	v_mov_b32_e32 v129, s26
	ds_read_b64 v[132:133], v129
	v_add_u32_e32 v128, -1, v128
	s_add_i32 s26, s26, 8
	s_add_i32 s25, s25, 8
	v_cmp_eq_u32_e32 vcc, 0, v128
	s_or_b64 s[2:3], vcc, s[2:3]
	s_waitcnt vmcnt(0) lgkmcnt(0)
	v_fmac_f64_e32 v[126:127], v[130:131], v[132:133]
	s_andn2_b64 exec, exec, s[2:3]
	s_cbranch_execnz .LBB60_293
; %bb.294:
	s_or_b64 exec, exec, s[2:3]
.LBB60_295:
	s_or_b64 exec, exec, s[8:9]
	v_mov_b32_e32 v128, 0
	ds_read_b64 v[128:129], v128 offset:240
	s_waitcnt lgkmcnt(0)
	v_mul_f64 v[126:127], v[126:127], v[128:129]
	scratch_store_dwordx2 off, v[126:127], off offset:240
.LBB60_296:
	s_or_b64 exec, exec, s[4:5]
	scratch_load_dwordx2 v[126:127], off, off offset:232
	v_cmp_lt_u32_e64 s[2:3], 29, v0
	s_waitcnt vmcnt(0)
	ds_write_b64 v1, v[126:127]
	s_waitcnt lgkmcnt(0)
	; wave barrier
	s_and_saveexec_b64 s[4:5], s[2:3]
	s_cbranch_execz .LBB60_306
; %bb.297:
	s_andn2_b64 vcc, exec, s[6:7]
	s_cbranch_vccnz .LBB60_299
; %bb.298:
	scratch_load_dwordx2 v[126:127], v11, off
	ds_read_b64 v[128:129], v1
	s_waitcnt vmcnt(0) lgkmcnt(0)
	v_mul_f64 v[126:127], v[126:127], v[128:129]
	s_cbranch_execz .LBB60_300
	s_branch .LBB60_301
.LBB60_299:
                                        ; implicit-def: $vgpr126_vgpr127
.LBB60_300:
	ds_read_b64 v[126:127], v1
.LBB60_301:
	s_and_saveexec_b64 s[8:9], s[0:1]
	s_cbranch_execz .LBB60_305
; %bb.302:
	v_subrev_u32_e32 v128, 30, v0
	s_movk_i32 s25, 0x2e0
	s_mov_b64 s[0:1], 0
.LBB60_303:                             ; =>This Inner Loop Header: Depth=1
	scratch_load_dwordx2 v[130:131], off, s24
	v_mov_b32_e32 v129, s25
	ds_read_b64 v[132:133], v129
	v_add_u32_e32 v128, -1, v128
	s_add_i32 s25, s25, 8
	s_add_i32 s24, s24, 8
	v_cmp_eq_u32_e32 vcc, 0, v128
	s_or_b64 s[0:1], vcc, s[0:1]
	s_waitcnt vmcnt(0) lgkmcnt(0)
	v_fmac_f64_e32 v[126:127], v[130:131], v[132:133]
	s_andn2_b64 exec, exec, s[0:1]
	s_cbranch_execnz .LBB60_303
; %bb.304:
	s_or_b64 exec, exec, s[0:1]
.LBB60_305:
	s_or_b64 exec, exec, s[8:9]
	v_mov_b32_e32 v128, 0
	ds_read_b64 v[128:129], v128 offset:232
	s_waitcnt lgkmcnt(0)
	v_mul_f64 v[126:127], v[126:127], v[128:129]
	scratch_store_dwordx2 off, v[126:127], off offset:232
.LBB60_306:
	s_or_b64 exec, exec, s[4:5]
	scratch_load_dwordx2 v[126:127], off, off offset:224
	v_cmp_lt_u32_e64 s[0:1], 28, v0
	s_waitcnt vmcnt(0)
	ds_write_b64 v1, v[126:127]
	s_waitcnt lgkmcnt(0)
	; wave barrier
	s_and_saveexec_b64 s[4:5], s[0:1]
	s_cbranch_execz .LBB60_316
; %bb.307:
	s_andn2_b64 vcc, exec, s[6:7]
	s_cbranch_vccnz .LBB60_309
; %bb.308:
	scratch_load_dwordx2 v[126:127], v11, off
	ds_read_b64 v[128:129], v1
	s_waitcnt vmcnt(0) lgkmcnt(0)
	v_mul_f64 v[126:127], v[126:127], v[128:129]
	s_cbranch_execz .LBB60_310
	s_branch .LBB60_311
.LBB60_309:
                                        ; implicit-def: $vgpr126_vgpr127
.LBB60_310:
	ds_read_b64 v[126:127], v1
.LBB60_311:
	s_and_saveexec_b64 s[8:9], s[2:3]
	s_cbranch_execz .LBB60_315
; %bb.312:
	s_movk_i32 s24, 0xe8
	v_subrev_u32_e32 v128, 29, v0
	s_movk_i32 s25, 0x2d8
	s_mov_b64 s[2:3], 0
.LBB60_313:                             ; =>This Inner Loop Header: Depth=1
	scratch_load_dwordx2 v[130:131], off, s24
	v_mov_b32_e32 v129, s25
	ds_read_b64 v[132:133], v129
	v_add_u32_e32 v128, -1, v128
	s_add_i32 s25, s25, 8
	s_add_i32 s24, s24, 8
	v_cmp_eq_u32_e32 vcc, 0, v128
	s_or_b64 s[2:3], vcc, s[2:3]
	s_waitcnt vmcnt(0) lgkmcnt(0)
	v_fmac_f64_e32 v[126:127], v[130:131], v[132:133]
	s_andn2_b64 exec, exec, s[2:3]
	s_cbranch_execnz .LBB60_313
; %bb.314:
	s_or_b64 exec, exec, s[2:3]
.LBB60_315:
	s_or_b64 exec, exec, s[8:9]
	v_mov_b32_e32 v128, 0
	ds_read_b64 v[128:129], v128 offset:224
	s_waitcnt lgkmcnt(0)
	v_mul_f64 v[126:127], v[126:127], v[128:129]
	scratch_store_dwordx2 off, v[126:127], off offset:224
.LBB60_316:
	s_or_b64 exec, exec, s[4:5]
	scratch_load_dwordx2 v[126:127], off, off offset:216
	v_cmp_lt_u32_e64 s[2:3], 27, v0
	s_waitcnt vmcnt(0)
	ds_write_b64 v1, v[126:127]
	s_waitcnt lgkmcnt(0)
	; wave barrier
	s_and_saveexec_b64 s[4:5], s[2:3]
	s_cbranch_execz .LBB60_326
; %bb.317:
	s_andn2_b64 vcc, exec, s[6:7]
	s_cbranch_vccnz .LBB60_319
; %bb.318:
	scratch_load_dwordx2 v[126:127], v11, off
	ds_read_b64 v[128:129], v1
	s_waitcnt vmcnt(0) lgkmcnt(0)
	v_mul_f64 v[126:127], v[126:127], v[128:129]
	s_cbranch_execz .LBB60_320
	s_branch .LBB60_321
.LBB60_319:
                                        ; implicit-def: $vgpr126_vgpr127
.LBB60_320:
	ds_read_b64 v[126:127], v1
.LBB60_321:
	s_and_saveexec_b64 s[8:9], s[0:1]
	s_cbranch_execz .LBB60_325
; %bb.322:
	v_subrev_u32_e32 v128, 28, v0
	s_movk_i32 s24, 0x2d0
	s_mov_b64 s[0:1], 0
.LBB60_323:                             ; =>This Inner Loop Header: Depth=1
	scratch_load_dwordx2 v[130:131], off, s23
	v_mov_b32_e32 v129, s24
	ds_read_b64 v[132:133], v129
	v_add_u32_e32 v128, -1, v128
	s_add_i32 s24, s24, 8
	s_add_i32 s23, s23, 8
	v_cmp_eq_u32_e32 vcc, 0, v128
	s_or_b64 s[0:1], vcc, s[0:1]
	s_waitcnt vmcnt(0) lgkmcnt(0)
	v_fmac_f64_e32 v[126:127], v[130:131], v[132:133]
	s_andn2_b64 exec, exec, s[0:1]
	s_cbranch_execnz .LBB60_323
; %bb.324:
	s_or_b64 exec, exec, s[0:1]
.LBB60_325:
	s_or_b64 exec, exec, s[8:9]
	v_mov_b32_e32 v128, 0
	ds_read_b64 v[128:129], v128 offset:216
	s_waitcnt lgkmcnt(0)
	v_mul_f64 v[126:127], v[126:127], v[128:129]
	scratch_store_dwordx2 off, v[126:127], off offset:216
.LBB60_326:
	s_or_b64 exec, exec, s[4:5]
	scratch_load_dwordx2 v[126:127], off, off offset:208
	v_cmp_lt_u32_e64 s[0:1], 26, v0
	s_waitcnt vmcnt(0)
	ds_write_b64 v1, v[126:127]
	s_waitcnt lgkmcnt(0)
	; wave barrier
	s_and_saveexec_b64 s[4:5], s[0:1]
	s_cbranch_execz .LBB60_336
; %bb.327:
	s_andn2_b64 vcc, exec, s[6:7]
	s_cbranch_vccnz .LBB60_329
; %bb.328:
	scratch_load_dwordx2 v[126:127], v11, off
	ds_read_b64 v[128:129], v1
	s_waitcnt vmcnt(0) lgkmcnt(0)
	v_mul_f64 v[126:127], v[126:127], v[128:129]
	s_cbranch_execz .LBB60_330
	s_branch .LBB60_331
.LBB60_329:
                                        ; implicit-def: $vgpr126_vgpr127
.LBB60_330:
	ds_read_b64 v[126:127], v1
.LBB60_331:
	s_and_saveexec_b64 s[8:9], s[2:3]
	s_cbranch_execz .LBB60_335
; %bb.332:
	s_movk_i32 s23, 0xd8
	v_subrev_u32_e32 v128, 27, v0
	s_movk_i32 s24, 0x2c8
	s_mov_b64 s[2:3], 0
.LBB60_333:                             ; =>This Inner Loop Header: Depth=1
	scratch_load_dwordx2 v[130:131], off, s23
	v_mov_b32_e32 v129, s24
	ds_read_b64 v[132:133], v129
	v_add_u32_e32 v128, -1, v128
	s_add_i32 s24, s24, 8
	s_add_i32 s23, s23, 8
	v_cmp_eq_u32_e32 vcc, 0, v128
	s_or_b64 s[2:3], vcc, s[2:3]
	s_waitcnt vmcnt(0) lgkmcnt(0)
	v_fmac_f64_e32 v[126:127], v[130:131], v[132:133]
	s_andn2_b64 exec, exec, s[2:3]
	s_cbranch_execnz .LBB60_333
; %bb.334:
	s_or_b64 exec, exec, s[2:3]
.LBB60_335:
	s_or_b64 exec, exec, s[8:9]
	v_mov_b32_e32 v128, 0
	ds_read_b64 v[128:129], v128 offset:208
	s_waitcnt lgkmcnt(0)
	v_mul_f64 v[126:127], v[126:127], v[128:129]
	scratch_store_dwordx2 off, v[126:127], off offset:208
.LBB60_336:
	s_or_b64 exec, exec, s[4:5]
	scratch_load_dwordx2 v[126:127], off, off offset:200
	v_cmp_lt_u32_e64 s[2:3], 25, v0
	s_waitcnt vmcnt(0)
	ds_write_b64 v1, v[126:127]
	s_waitcnt lgkmcnt(0)
	; wave barrier
	s_and_saveexec_b64 s[4:5], s[2:3]
	s_cbranch_execz .LBB60_346
; %bb.337:
	s_andn2_b64 vcc, exec, s[6:7]
	s_cbranch_vccnz .LBB60_339
; %bb.338:
	scratch_load_dwordx2 v[126:127], v11, off
	ds_read_b64 v[128:129], v1
	s_waitcnt vmcnt(0) lgkmcnt(0)
	v_mul_f64 v[126:127], v[126:127], v[128:129]
	s_cbranch_execz .LBB60_340
	s_branch .LBB60_341
.LBB60_339:
                                        ; implicit-def: $vgpr126_vgpr127
.LBB60_340:
	ds_read_b64 v[126:127], v1
.LBB60_341:
	s_and_saveexec_b64 s[8:9], s[0:1]
	s_cbranch_execz .LBB60_345
; %bb.342:
	v_subrev_u32_e32 v128, 26, v0
	s_movk_i32 s23, 0x2c0
	s_mov_b64 s[0:1], 0
.LBB60_343:                             ; =>This Inner Loop Header: Depth=1
	scratch_load_dwordx2 v[130:131], off, s22
	v_mov_b32_e32 v129, s23
	ds_read_b64 v[132:133], v129
	v_add_u32_e32 v128, -1, v128
	s_add_i32 s23, s23, 8
	s_add_i32 s22, s22, 8
	v_cmp_eq_u32_e32 vcc, 0, v128
	s_or_b64 s[0:1], vcc, s[0:1]
	s_waitcnt vmcnt(0) lgkmcnt(0)
	v_fmac_f64_e32 v[126:127], v[130:131], v[132:133]
	s_andn2_b64 exec, exec, s[0:1]
	s_cbranch_execnz .LBB60_343
; %bb.344:
	s_or_b64 exec, exec, s[0:1]
.LBB60_345:
	s_or_b64 exec, exec, s[8:9]
	v_mov_b32_e32 v128, 0
	ds_read_b64 v[128:129], v128 offset:200
	s_waitcnt lgkmcnt(0)
	v_mul_f64 v[126:127], v[126:127], v[128:129]
	scratch_store_dwordx2 off, v[126:127], off offset:200
.LBB60_346:
	s_or_b64 exec, exec, s[4:5]
	scratch_load_dwordx2 v[126:127], off, off offset:192
	v_cmp_lt_u32_e64 s[0:1], 24, v0
	s_waitcnt vmcnt(0)
	ds_write_b64 v1, v[126:127]
	s_waitcnt lgkmcnt(0)
	; wave barrier
	s_and_saveexec_b64 s[4:5], s[0:1]
	s_cbranch_execz .LBB60_356
; %bb.347:
	s_andn2_b64 vcc, exec, s[6:7]
	s_cbranch_vccnz .LBB60_349
; %bb.348:
	scratch_load_dwordx2 v[126:127], v11, off
	ds_read_b64 v[128:129], v1
	s_waitcnt vmcnt(0) lgkmcnt(0)
	v_mul_f64 v[126:127], v[126:127], v[128:129]
	s_cbranch_execz .LBB60_350
	s_branch .LBB60_351
.LBB60_349:
                                        ; implicit-def: $vgpr126_vgpr127
.LBB60_350:
	ds_read_b64 v[126:127], v1
.LBB60_351:
	s_and_saveexec_b64 s[8:9], s[2:3]
	s_cbranch_execz .LBB60_355
; %bb.352:
	s_movk_i32 s22, 0xc8
	v_subrev_u32_e32 v128, 25, v0
	s_movk_i32 s23, 0x2b8
	s_mov_b64 s[2:3], 0
.LBB60_353:                             ; =>This Inner Loop Header: Depth=1
	scratch_load_dwordx2 v[130:131], off, s22
	v_mov_b32_e32 v129, s23
	ds_read_b64 v[132:133], v129
	v_add_u32_e32 v128, -1, v128
	s_add_i32 s23, s23, 8
	s_add_i32 s22, s22, 8
	v_cmp_eq_u32_e32 vcc, 0, v128
	s_or_b64 s[2:3], vcc, s[2:3]
	s_waitcnt vmcnt(0) lgkmcnt(0)
	v_fmac_f64_e32 v[126:127], v[130:131], v[132:133]
	s_andn2_b64 exec, exec, s[2:3]
	s_cbranch_execnz .LBB60_353
; %bb.354:
	s_or_b64 exec, exec, s[2:3]
.LBB60_355:
	s_or_b64 exec, exec, s[8:9]
	v_mov_b32_e32 v128, 0
	ds_read_b64 v[128:129], v128 offset:192
	s_waitcnt lgkmcnt(0)
	v_mul_f64 v[126:127], v[126:127], v[128:129]
	scratch_store_dwordx2 off, v[126:127], off offset:192
.LBB60_356:
	s_or_b64 exec, exec, s[4:5]
	scratch_load_dwordx2 v[126:127], off, off offset:184
	v_cmp_lt_u32_e64 s[2:3], 23, v0
	s_waitcnt vmcnt(0)
	ds_write_b64 v1, v[126:127]
	s_waitcnt lgkmcnt(0)
	; wave barrier
	s_and_saveexec_b64 s[4:5], s[2:3]
	s_cbranch_execz .LBB60_366
; %bb.357:
	s_andn2_b64 vcc, exec, s[6:7]
	s_cbranch_vccnz .LBB60_359
; %bb.358:
	scratch_load_dwordx2 v[126:127], v11, off
	ds_read_b64 v[128:129], v1
	s_waitcnt vmcnt(0) lgkmcnt(0)
	v_mul_f64 v[126:127], v[126:127], v[128:129]
	s_cbranch_execz .LBB60_360
	s_branch .LBB60_361
.LBB60_359:
                                        ; implicit-def: $vgpr126_vgpr127
.LBB60_360:
	ds_read_b64 v[126:127], v1
.LBB60_361:
	s_and_saveexec_b64 s[8:9], s[0:1]
	s_cbranch_execz .LBB60_365
; %bb.362:
	v_subrev_u32_e32 v128, 24, v0
	s_movk_i32 s22, 0x2b0
	s_mov_b64 s[0:1], 0
.LBB60_363:                             ; =>This Inner Loop Header: Depth=1
	scratch_load_dwordx2 v[130:131], off, s21
	v_mov_b32_e32 v129, s22
	ds_read_b64 v[132:133], v129
	v_add_u32_e32 v128, -1, v128
	s_add_i32 s22, s22, 8
	s_add_i32 s21, s21, 8
	v_cmp_eq_u32_e32 vcc, 0, v128
	s_or_b64 s[0:1], vcc, s[0:1]
	s_waitcnt vmcnt(0) lgkmcnt(0)
	v_fmac_f64_e32 v[126:127], v[130:131], v[132:133]
	s_andn2_b64 exec, exec, s[0:1]
	s_cbranch_execnz .LBB60_363
; %bb.364:
	s_or_b64 exec, exec, s[0:1]
.LBB60_365:
	s_or_b64 exec, exec, s[8:9]
	v_mov_b32_e32 v128, 0
	ds_read_b64 v[128:129], v128 offset:184
	s_waitcnt lgkmcnt(0)
	v_mul_f64 v[126:127], v[126:127], v[128:129]
	scratch_store_dwordx2 off, v[126:127], off offset:184
.LBB60_366:
	s_or_b64 exec, exec, s[4:5]
	scratch_load_dwordx2 v[126:127], off, off offset:176
	v_cmp_lt_u32_e64 s[0:1], 22, v0
	s_waitcnt vmcnt(0)
	ds_write_b64 v1, v[126:127]
	s_waitcnt lgkmcnt(0)
	; wave barrier
	s_and_saveexec_b64 s[4:5], s[0:1]
	s_cbranch_execz .LBB60_376
; %bb.367:
	s_andn2_b64 vcc, exec, s[6:7]
	s_cbranch_vccnz .LBB60_369
; %bb.368:
	scratch_load_dwordx2 v[126:127], v11, off
	ds_read_b64 v[128:129], v1
	s_waitcnt vmcnt(0) lgkmcnt(0)
	v_mul_f64 v[126:127], v[126:127], v[128:129]
	s_cbranch_execz .LBB60_370
	s_branch .LBB60_371
.LBB60_369:
                                        ; implicit-def: $vgpr126_vgpr127
.LBB60_370:
	ds_read_b64 v[126:127], v1
.LBB60_371:
	s_and_saveexec_b64 s[8:9], s[2:3]
	s_cbranch_execz .LBB60_375
; %bb.372:
	s_movk_i32 s21, 0xb8
	v_subrev_u32_e32 v128, 23, v0
	s_movk_i32 s22, 0x2a8
	s_mov_b64 s[2:3], 0
.LBB60_373:                             ; =>This Inner Loop Header: Depth=1
	scratch_load_dwordx2 v[130:131], off, s21
	v_mov_b32_e32 v129, s22
	ds_read_b64 v[132:133], v129
	v_add_u32_e32 v128, -1, v128
	s_add_i32 s22, s22, 8
	s_add_i32 s21, s21, 8
	v_cmp_eq_u32_e32 vcc, 0, v128
	s_or_b64 s[2:3], vcc, s[2:3]
	s_waitcnt vmcnt(0) lgkmcnt(0)
	v_fmac_f64_e32 v[126:127], v[130:131], v[132:133]
	s_andn2_b64 exec, exec, s[2:3]
	s_cbranch_execnz .LBB60_373
; %bb.374:
	s_or_b64 exec, exec, s[2:3]
.LBB60_375:
	s_or_b64 exec, exec, s[8:9]
	v_mov_b32_e32 v128, 0
	ds_read_b64 v[128:129], v128 offset:176
	s_waitcnt lgkmcnt(0)
	v_mul_f64 v[126:127], v[126:127], v[128:129]
	scratch_store_dwordx2 off, v[126:127], off offset:176
.LBB60_376:
	s_or_b64 exec, exec, s[4:5]
	scratch_load_dwordx2 v[126:127], off, off offset:168
	v_cmp_lt_u32_e64 s[2:3], 21, v0
	s_waitcnt vmcnt(0)
	ds_write_b64 v1, v[126:127]
	s_waitcnt lgkmcnt(0)
	; wave barrier
	s_and_saveexec_b64 s[4:5], s[2:3]
	s_cbranch_execz .LBB60_386
; %bb.377:
	s_andn2_b64 vcc, exec, s[6:7]
	s_cbranch_vccnz .LBB60_379
; %bb.378:
	scratch_load_dwordx2 v[126:127], v11, off
	ds_read_b64 v[128:129], v1
	s_waitcnt vmcnt(0) lgkmcnt(0)
	v_mul_f64 v[126:127], v[126:127], v[128:129]
	s_cbranch_execz .LBB60_380
	s_branch .LBB60_381
.LBB60_379:
                                        ; implicit-def: $vgpr126_vgpr127
.LBB60_380:
	ds_read_b64 v[126:127], v1
.LBB60_381:
	s_and_saveexec_b64 s[8:9], s[0:1]
	s_cbranch_execz .LBB60_385
; %bb.382:
	v_subrev_u32_e32 v128, 22, v0
	s_movk_i32 s21, 0x2a0
	s_mov_b64 s[0:1], 0
.LBB60_383:                             ; =>This Inner Loop Header: Depth=1
	scratch_load_dwordx2 v[130:131], off, s20
	v_mov_b32_e32 v129, s21
	ds_read_b64 v[132:133], v129
	v_add_u32_e32 v128, -1, v128
	s_add_i32 s21, s21, 8
	s_add_i32 s20, s20, 8
	v_cmp_eq_u32_e32 vcc, 0, v128
	s_or_b64 s[0:1], vcc, s[0:1]
	s_waitcnt vmcnt(0) lgkmcnt(0)
	v_fmac_f64_e32 v[126:127], v[130:131], v[132:133]
	s_andn2_b64 exec, exec, s[0:1]
	s_cbranch_execnz .LBB60_383
; %bb.384:
	s_or_b64 exec, exec, s[0:1]
.LBB60_385:
	s_or_b64 exec, exec, s[8:9]
	v_mov_b32_e32 v128, 0
	ds_read_b64 v[128:129], v128 offset:168
	s_waitcnt lgkmcnt(0)
	v_mul_f64 v[126:127], v[126:127], v[128:129]
	scratch_store_dwordx2 off, v[126:127], off offset:168
.LBB60_386:
	s_or_b64 exec, exec, s[4:5]
	scratch_load_dwordx2 v[126:127], off, off offset:160
	v_cmp_lt_u32_e64 s[0:1], 20, v0
	s_waitcnt vmcnt(0)
	ds_write_b64 v1, v[126:127]
	s_waitcnt lgkmcnt(0)
	; wave barrier
	s_and_saveexec_b64 s[4:5], s[0:1]
	s_cbranch_execz .LBB60_396
; %bb.387:
	s_andn2_b64 vcc, exec, s[6:7]
	s_cbranch_vccnz .LBB60_389
; %bb.388:
	scratch_load_dwordx2 v[126:127], v11, off
	ds_read_b64 v[128:129], v1
	s_waitcnt vmcnt(0) lgkmcnt(0)
	v_mul_f64 v[126:127], v[126:127], v[128:129]
	s_cbranch_execz .LBB60_390
	s_branch .LBB60_391
.LBB60_389:
                                        ; implicit-def: $vgpr126_vgpr127
.LBB60_390:
	ds_read_b64 v[126:127], v1
.LBB60_391:
	s_and_saveexec_b64 s[8:9], s[2:3]
	s_cbranch_execz .LBB60_395
; %bb.392:
	s_movk_i32 s20, 0xa8
	v_subrev_u32_e32 v128, 21, v0
	s_movk_i32 s21, 0x298
	s_mov_b64 s[2:3], 0
.LBB60_393:                             ; =>This Inner Loop Header: Depth=1
	scratch_load_dwordx2 v[130:131], off, s20
	v_mov_b32_e32 v129, s21
	ds_read_b64 v[132:133], v129
	v_add_u32_e32 v128, -1, v128
	s_add_i32 s21, s21, 8
	s_add_i32 s20, s20, 8
	v_cmp_eq_u32_e32 vcc, 0, v128
	s_or_b64 s[2:3], vcc, s[2:3]
	s_waitcnt vmcnt(0) lgkmcnt(0)
	v_fmac_f64_e32 v[126:127], v[130:131], v[132:133]
	s_andn2_b64 exec, exec, s[2:3]
	s_cbranch_execnz .LBB60_393
; %bb.394:
	s_or_b64 exec, exec, s[2:3]
.LBB60_395:
	s_or_b64 exec, exec, s[8:9]
	v_mov_b32_e32 v128, 0
	ds_read_b64 v[128:129], v128 offset:160
	s_waitcnt lgkmcnt(0)
	v_mul_f64 v[126:127], v[126:127], v[128:129]
	scratch_store_dwordx2 off, v[126:127], off offset:160
.LBB60_396:
	s_or_b64 exec, exec, s[4:5]
	scratch_load_dwordx2 v[126:127], off, off offset:152
	v_cmp_lt_u32_e64 s[2:3], 19, v0
	s_waitcnt vmcnt(0)
	ds_write_b64 v1, v[126:127]
	s_waitcnt lgkmcnt(0)
	; wave barrier
	s_and_saveexec_b64 s[4:5], s[2:3]
	s_cbranch_execz .LBB60_406
; %bb.397:
	s_andn2_b64 vcc, exec, s[6:7]
	s_cbranch_vccnz .LBB60_399
; %bb.398:
	scratch_load_dwordx2 v[126:127], v11, off
	ds_read_b64 v[128:129], v1
	s_waitcnt vmcnt(0) lgkmcnt(0)
	v_mul_f64 v[126:127], v[126:127], v[128:129]
	s_cbranch_execz .LBB60_400
	s_branch .LBB60_401
.LBB60_399:
                                        ; implicit-def: $vgpr126_vgpr127
.LBB60_400:
	ds_read_b64 v[126:127], v1
.LBB60_401:
	s_and_saveexec_b64 s[8:9], s[0:1]
	s_cbranch_execz .LBB60_405
; %bb.402:
	v_subrev_u32_e32 v128, 20, v0
	s_movk_i32 s20, 0x290
	s_mov_b64 s[0:1], 0
.LBB60_403:                             ; =>This Inner Loop Header: Depth=1
	scratch_load_dwordx2 v[130:131], off, s19
	v_mov_b32_e32 v129, s20
	ds_read_b64 v[132:133], v129
	v_add_u32_e32 v128, -1, v128
	s_add_i32 s20, s20, 8
	s_add_i32 s19, s19, 8
	v_cmp_eq_u32_e32 vcc, 0, v128
	s_or_b64 s[0:1], vcc, s[0:1]
	s_waitcnt vmcnt(0) lgkmcnt(0)
	v_fmac_f64_e32 v[126:127], v[130:131], v[132:133]
	s_andn2_b64 exec, exec, s[0:1]
	s_cbranch_execnz .LBB60_403
; %bb.404:
	s_or_b64 exec, exec, s[0:1]
.LBB60_405:
	s_or_b64 exec, exec, s[8:9]
	v_mov_b32_e32 v128, 0
	ds_read_b64 v[128:129], v128 offset:152
	s_waitcnt lgkmcnt(0)
	v_mul_f64 v[126:127], v[126:127], v[128:129]
	scratch_store_dwordx2 off, v[126:127], off offset:152
.LBB60_406:
	s_or_b64 exec, exec, s[4:5]
	scratch_load_dwordx2 v[126:127], off, off offset:144
	v_cmp_lt_u32_e64 s[0:1], 18, v0
	s_waitcnt vmcnt(0)
	ds_write_b64 v1, v[126:127]
	s_waitcnt lgkmcnt(0)
	; wave barrier
	s_and_saveexec_b64 s[4:5], s[0:1]
	s_cbranch_execz .LBB60_416
; %bb.407:
	s_andn2_b64 vcc, exec, s[6:7]
	s_cbranch_vccnz .LBB60_409
; %bb.408:
	scratch_load_dwordx2 v[126:127], v11, off
	ds_read_b64 v[128:129], v1
	s_waitcnt vmcnt(0) lgkmcnt(0)
	v_mul_f64 v[126:127], v[126:127], v[128:129]
	s_cbranch_execz .LBB60_410
	s_branch .LBB60_411
.LBB60_409:
                                        ; implicit-def: $vgpr126_vgpr127
.LBB60_410:
	ds_read_b64 v[126:127], v1
.LBB60_411:
	s_and_saveexec_b64 s[8:9], s[2:3]
	s_cbranch_execz .LBB60_415
; %bb.412:
	s_movk_i32 s19, 0x98
	v_subrev_u32_e32 v128, 19, v0
	s_movk_i32 s20, 0x288
	s_mov_b64 s[2:3], 0
.LBB60_413:                             ; =>This Inner Loop Header: Depth=1
	scratch_load_dwordx2 v[130:131], off, s19
	v_mov_b32_e32 v129, s20
	ds_read_b64 v[132:133], v129
	v_add_u32_e32 v128, -1, v128
	s_add_i32 s20, s20, 8
	s_add_i32 s19, s19, 8
	v_cmp_eq_u32_e32 vcc, 0, v128
	s_or_b64 s[2:3], vcc, s[2:3]
	s_waitcnt vmcnt(0) lgkmcnt(0)
	v_fmac_f64_e32 v[126:127], v[130:131], v[132:133]
	s_andn2_b64 exec, exec, s[2:3]
	s_cbranch_execnz .LBB60_413
; %bb.414:
	s_or_b64 exec, exec, s[2:3]
.LBB60_415:
	s_or_b64 exec, exec, s[8:9]
	v_mov_b32_e32 v128, 0
	ds_read_b64 v[128:129], v128 offset:144
	s_waitcnt lgkmcnt(0)
	v_mul_f64 v[126:127], v[126:127], v[128:129]
	scratch_store_dwordx2 off, v[126:127], off offset:144
.LBB60_416:
	s_or_b64 exec, exec, s[4:5]
	scratch_load_dwordx2 v[126:127], off, off offset:136
	v_cmp_lt_u32_e64 s[2:3], 17, v0
	s_waitcnt vmcnt(0)
	ds_write_b64 v1, v[126:127]
	s_waitcnt lgkmcnt(0)
	; wave barrier
	s_and_saveexec_b64 s[4:5], s[2:3]
	s_cbranch_execz .LBB60_426
; %bb.417:
	s_andn2_b64 vcc, exec, s[6:7]
	s_cbranch_vccnz .LBB60_419
; %bb.418:
	scratch_load_dwordx2 v[126:127], v11, off
	ds_read_b64 v[128:129], v1
	s_waitcnt vmcnt(0) lgkmcnt(0)
	v_mul_f64 v[126:127], v[126:127], v[128:129]
	s_cbranch_execz .LBB60_420
	s_branch .LBB60_421
.LBB60_419:
                                        ; implicit-def: $vgpr126_vgpr127
.LBB60_420:
	ds_read_b64 v[126:127], v1
.LBB60_421:
	s_and_saveexec_b64 s[8:9], s[0:1]
	s_cbranch_execz .LBB60_425
; %bb.422:
	v_subrev_u32_e32 v128, 18, v0
	s_movk_i32 s19, 0x280
	s_mov_b64 s[0:1], 0
.LBB60_423:                             ; =>This Inner Loop Header: Depth=1
	scratch_load_dwordx2 v[130:131], off, s18
	v_mov_b32_e32 v129, s19
	ds_read_b64 v[132:133], v129
	v_add_u32_e32 v128, -1, v128
	s_add_i32 s19, s19, 8
	s_add_i32 s18, s18, 8
	v_cmp_eq_u32_e32 vcc, 0, v128
	s_or_b64 s[0:1], vcc, s[0:1]
	s_waitcnt vmcnt(0) lgkmcnt(0)
	v_fmac_f64_e32 v[126:127], v[130:131], v[132:133]
	s_andn2_b64 exec, exec, s[0:1]
	s_cbranch_execnz .LBB60_423
; %bb.424:
	s_or_b64 exec, exec, s[0:1]
.LBB60_425:
	s_or_b64 exec, exec, s[8:9]
	v_mov_b32_e32 v128, 0
	ds_read_b64 v[128:129], v128 offset:136
	s_waitcnt lgkmcnt(0)
	v_mul_f64 v[126:127], v[126:127], v[128:129]
	scratch_store_dwordx2 off, v[126:127], off offset:136
.LBB60_426:
	s_or_b64 exec, exec, s[4:5]
	scratch_load_dwordx2 v[126:127], off, off offset:128
	v_cmp_lt_u32_e64 s[0:1], 16, v0
	s_waitcnt vmcnt(0)
	ds_write_b64 v1, v[126:127]
	s_waitcnt lgkmcnt(0)
	; wave barrier
	s_and_saveexec_b64 s[4:5], s[0:1]
	s_cbranch_execz .LBB60_436
; %bb.427:
	s_andn2_b64 vcc, exec, s[6:7]
	s_cbranch_vccnz .LBB60_429
; %bb.428:
	scratch_load_dwordx2 v[126:127], v11, off
	ds_read_b64 v[128:129], v1
	s_waitcnt vmcnt(0) lgkmcnt(0)
	v_mul_f64 v[126:127], v[126:127], v[128:129]
	s_cbranch_execz .LBB60_430
	s_branch .LBB60_431
.LBB60_429:
                                        ; implicit-def: $vgpr126_vgpr127
.LBB60_430:
	ds_read_b64 v[126:127], v1
.LBB60_431:
	s_and_saveexec_b64 s[8:9], s[2:3]
	s_cbranch_execz .LBB60_435
; %bb.432:
	s_movk_i32 s18, 0x88
	v_subrev_u32_e32 v128, 17, v0
	s_movk_i32 s19, 0x278
	s_mov_b64 s[2:3], 0
.LBB60_433:                             ; =>This Inner Loop Header: Depth=1
	scratch_load_dwordx2 v[130:131], off, s18
	v_mov_b32_e32 v129, s19
	ds_read_b64 v[132:133], v129
	v_add_u32_e32 v128, -1, v128
	s_add_i32 s19, s19, 8
	s_add_i32 s18, s18, 8
	v_cmp_eq_u32_e32 vcc, 0, v128
	s_or_b64 s[2:3], vcc, s[2:3]
	s_waitcnt vmcnt(0) lgkmcnt(0)
	v_fmac_f64_e32 v[126:127], v[130:131], v[132:133]
	s_andn2_b64 exec, exec, s[2:3]
	s_cbranch_execnz .LBB60_433
; %bb.434:
	s_or_b64 exec, exec, s[2:3]
.LBB60_435:
	s_or_b64 exec, exec, s[8:9]
	v_mov_b32_e32 v128, 0
	ds_read_b64 v[128:129], v128 offset:128
	s_waitcnt lgkmcnt(0)
	v_mul_f64 v[126:127], v[126:127], v[128:129]
	scratch_store_dwordx2 off, v[126:127], off offset:128
.LBB60_436:
	s_or_b64 exec, exec, s[4:5]
	scratch_load_dwordx2 v[126:127], off, off offset:120
	v_cmp_lt_u32_e64 s[2:3], 15, v0
	s_waitcnt vmcnt(0)
	ds_write_b64 v1, v[126:127]
	s_waitcnt lgkmcnt(0)
	; wave barrier
	s_and_saveexec_b64 s[4:5], s[2:3]
	s_cbranch_execz .LBB60_446
; %bb.437:
	s_andn2_b64 vcc, exec, s[6:7]
	s_cbranch_vccnz .LBB60_439
; %bb.438:
	scratch_load_dwordx2 v[126:127], v11, off
	ds_read_b64 v[128:129], v1
	s_waitcnt vmcnt(0) lgkmcnt(0)
	v_mul_f64 v[126:127], v[126:127], v[128:129]
	s_cbranch_execz .LBB60_440
	s_branch .LBB60_441
.LBB60_439:
                                        ; implicit-def: $vgpr126_vgpr127
.LBB60_440:
	ds_read_b64 v[126:127], v1
.LBB60_441:
	s_and_saveexec_b64 s[8:9], s[0:1]
	s_cbranch_execz .LBB60_445
; %bb.442:
	v_add_u32_e32 v128, -16, v0
	s_movk_i32 s18, 0x270
	s_mov_b64 s[0:1], 0
.LBB60_443:                             ; =>This Inner Loop Header: Depth=1
	scratch_load_dwordx2 v[130:131], off, s17
	v_mov_b32_e32 v129, s18
	ds_read_b64 v[132:133], v129
	v_add_u32_e32 v128, -1, v128
	s_add_i32 s18, s18, 8
	s_add_i32 s17, s17, 8
	v_cmp_eq_u32_e32 vcc, 0, v128
	s_or_b64 s[0:1], vcc, s[0:1]
	s_waitcnt vmcnt(0) lgkmcnt(0)
	v_fmac_f64_e32 v[126:127], v[130:131], v[132:133]
	s_andn2_b64 exec, exec, s[0:1]
	s_cbranch_execnz .LBB60_443
; %bb.444:
	s_or_b64 exec, exec, s[0:1]
.LBB60_445:
	s_or_b64 exec, exec, s[8:9]
	v_mov_b32_e32 v128, 0
	ds_read_b64 v[128:129], v128 offset:120
	s_waitcnt lgkmcnt(0)
	v_mul_f64 v[126:127], v[126:127], v[128:129]
	scratch_store_dwordx2 off, v[126:127], off offset:120
.LBB60_446:
	s_or_b64 exec, exec, s[4:5]
	scratch_load_dwordx2 v[126:127], off, off offset:112
	v_cmp_lt_u32_e64 s[0:1], 14, v0
	s_waitcnt vmcnt(0)
	ds_write_b64 v1, v[126:127]
	s_waitcnt lgkmcnt(0)
	; wave barrier
	s_and_saveexec_b64 s[4:5], s[0:1]
	s_cbranch_execz .LBB60_456
; %bb.447:
	s_andn2_b64 vcc, exec, s[6:7]
	s_cbranch_vccnz .LBB60_449
; %bb.448:
	scratch_load_dwordx2 v[126:127], v11, off
	ds_read_b64 v[128:129], v1
	s_waitcnt vmcnt(0) lgkmcnt(0)
	v_mul_f64 v[126:127], v[126:127], v[128:129]
	s_cbranch_execz .LBB60_450
	s_branch .LBB60_451
.LBB60_449:
                                        ; implicit-def: $vgpr126_vgpr127
.LBB60_450:
	ds_read_b64 v[126:127], v1
.LBB60_451:
	s_and_saveexec_b64 s[8:9], s[2:3]
	s_cbranch_execz .LBB60_455
; %bb.452:
	s_movk_i32 s17, 0x78
	v_add_u32_e32 v128, -15, v0
	s_movk_i32 s18, 0x268
	s_mov_b64 s[2:3], 0
.LBB60_453:                             ; =>This Inner Loop Header: Depth=1
	scratch_load_dwordx2 v[130:131], off, s17
	v_mov_b32_e32 v129, s18
	ds_read_b64 v[132:133], v129
	v_add_u32_e32 v128, -1, v128
	s_add_i32 s18, s18, 8
	s_add_i32 s17, s17, 8
	v_cmp_eq_u32_e32 vcc, 0, v128
	s_or_b64 s[2:3], vcc, s[2:3]
	s_waitcnt vmcnt(0) lgkmcnt(0)
	v_fmac_f64_e32 v[126:127], v[130:131], v[132:133]
	s_andn2_b64 exec, exec, s[2:3]
	s_cbranch_execnz .LBB60_453
; %bb.454:
	s_or_b64 exec, exec, s[2:3]
.LBB60_455:
	s_or_b64 exec, exec, s[8:9]
	v_mov_b32_e32 v128, 0
	ds_read_b64 v[128:129], v128 offset:112
	s_waitcnt lgkmcnt(0)
	v_mul_f64 v[126:127], v[126:127], v[128:129]
	scratch_store_dwordx2 off, v[126:127], off offset:112
.LBB60_456:
	s_or_b64 exec, exec, s[4:5]
	scratch_load_dwordx2 v[126:127], off, off offset:104
	v_cmp_lt_u32_e64 s[2:3], 13, v0
	s_waitcnt vmcnt(0)
	ds_write_b64 v1, v[126:127]
	s_waitcnt lgkmcnt(0)
	; wave barrier
	s_and_saveexec_b64 s[4:5], s[2:3]
	s_cbranch_execz .LBB60_466
; %bb.457:
	s_andn2_b64 vcc, exec, s[6:7]
	s_cbranch_vccnz .LBB60_459
; %bb.458:
	scratch_load_dwordx2 v[126:127], v11, off
	ds_read_b64 v[128:129], v1
	s_waitcnt vmcnt(0) lgkmcnt(0)
	v_mul_f64 v[126:127], v[126:127], v[128:129]
	s_cbranch_execz .LBB60_460
	s_branch .LBB60_461
.LBB60_459:
                                        ; implicit-def: $vgpr126_vgpr127
.LBB60_460:
	ds_read_b64 v[126:127], v1
.LBB60_461:
	s_and_saveexec_b64 s[8:9], s[0:1]
	s_cbranch_execz .LBB60_465
; %bb.462:
	v_add_u32_e32 v128, -14, v0
	s_movk_i32 s17, 0x260
	s_mov_b64 s[0:1], 0
.LBB60_463:                             ; =>This Inner Loop Header: Depth=1
	scratch_load_dwordx2 v[130:131], off, s16
	v_mov_b32_e32 v129, s17
	ds_read_b64 v[132:133], v129
	v_add_u32_e32 v128, -1, v128
	s_add_i32 s17, s17, 8
	s_add_i32 s16, s16, 8
	v_cmp_eq_u32_e32 vcc, 0, v128
	s_or_b64 s[0:1], vcc, s[0:1]
	s_waitcnt vmcnt(0) lgkmcnt(0)
	v_fmac_f64_e32 v[126:127], v[130:131], v[132:133]
	s_andn2_b64 exec, exec, s[0:1]
	s_cbranch_execnz .LBB60_463
; %bb.464:
	s_or_b64 exec, exec, s[0:1]
.LBB60_465:
	s_or_b64 exec, exec, s[8:9]
	v_mov_b32_e32 v128, 0
	ds_read_b64 v[128:129], v128 offset:104
	s_waitcnt lgkmcnt(0)
	v_mul_f64 v[126:127], v[126:127], v[128:129]
	scratch_store_dwordx2 off, v[126:127], off offset:104
.LBB60_466:
	s_or_b64 exec, exec, s[4:5]
	scratch_load_dwordx2 v[126:127], off, off offset:96
	v_cmp_lt_u32_e64 s[0:1], 12, v0
	s_waitcnt vmcnt(0)
	ds_write_b64 v1, v[126:127]
	s_waitcnt lgkmcnt(0)
	; wave barrier
	s_and_saveexec_b64 s[4:5], s[0:1]
	s_cbranch_execz .LBB60_476
; %bb.467:
	s_andn2_b64 vcc, exec, s[6:7]
	s_cbranch_vccnz .LBB60_469
; %bb.468:
	scratch_load_dwordx2 v[126:127], v11, off
	ds_read_b64 v[128:129], v1
	s_waitcnt vmcnt(0) lgkmcnt(0)
	v_mul_f64 v[126:127], v[126:127], v[128:129]
	s_cbranch_execz .LBB60_470
	s_branch .LBB60_471
.LBB60_469:
                                        ; implicit-def: $vgpr126_vgpr127
.LBB60_470:
	ds_read_b64 v[126:127], v1
.LBB60_471:
	s_and_saveexec_b64 s[8:9], s[2:3]
	s_cbranch_execz .LBB60_475
; %bb.472:
	s_movk_i32 s16, 0x68
	v_add_u32_e32 v128, -13, v0
	s_movk_i32 s17, 0x258
	s_mov_b64 s[2:3], 0
.LBB60_473:                             ; =>This Inner Loop Header: Depth=1
	scratch_load_dwordx2 v[130:131], off, s16
	v_mov_b32_e32 v129, s17
	ds_read_b64 v[132:133], v129
	v_add_u32_e32 v128, -1, v128
	s_add_i32 s17, s17, 8
	s_add_i32 s16, s16, 8
	v_cmp_eq_u32_e32 vcc, 0, v128
	s_or_b64 s[2:3], vcc, s[2:3]
	s_waitcnt vmcnt(0) lgkmcnt(0)
	v_fmac_f64_e32 v[126:127], v[130:131], v[132:133]
	s_andn2_b64 exec, exec, s[2:3]
	s_cbranch_execnz .LBB60_473
; %bb.474:
	s_or_b64 exec, exec, s[2:3]
.LBB60_475:
	s_or_b64 exec, exec, s[8:9]
	v_mov_b32_e32 v128, 0
	ds_read_b64 v[128:129], v128 offset:96
	s_waitcnt lgkmcnt(0)
	v_mul_f64 v[126:127], v[126:127], v[128:129]
	scratch_store_dwordx2 off, v[126:127], off offset:96
.LBB60_476:
	s_or_b64 exec, exec, s[4:5]
	scratch_load_dwordx2 v[126:127], off, off offset:88
	v_cmp_lt_u32_e64 s[2:3], 11, v0
	s_waitcnt vmcnt(0)
	ds_write_b64 v1, v[126:127]
	s_waitcnt lgkmcnt(0)
	; wave barrier
	s_and_saveexec_b64 s[4:5], s[2:3]
	s_cbranch_execz .LBB60_486
; %bb.477:
	s_andn2_b64 vcc, exec, s[6:7]
	s_cbranch_vccnz .LBB60_479
; %bb.478:
	scratch_load_dwordx2 v[126:127], v11, off
	ds_read_b64 v[128:129], v1
	s_waitcnt vmcnt(0) lgkmcnt(0)
	v_mul_f64 v[126:127], v[126:127], v[128:129]
	s_cbranch_execz .LBB60_480
	s_branch .LBB60_481
.LBB60_479:
                                        ; implicit-def: $vgpr126_vgpr127
.LBB60_480:
	ds_read_b64 v[126:127], v1
.LBB60_481:
	s_and_saveexec_b64 s[8:9], s[0:1]
	s_cbranch_execz .LBB60_485
; %bb.482:
	v_add_u32_e32 v128, -12, v0
	s_movk_i32 s16, 0x250
	s_mov_b64 s[0:1], 0
.LBB60_483:                             ; =>This Inner Loop Header: Depth=1
	scratch_load_dwordx2 v[130:131], off, s15
	v_mov_b32_e32 v129, s16
	ds_read_b64 v[132:133], v129
	v_add_u32_e32 v128, -1, v128
	s_add_i32 s16, s16, 8
	s_add_i32 s15, s15, 8
	v_cmp_eq_u32_e32 vcc, 0, v128
	s_or_b64 s[0:1], vcc, s[0:1]
	s_waitcnt vmcnt(0) lgkmcnt(0)
	v_fmac_f64_e32 v[126:127], v[130:131], v[132:133]
	s_andn2_b64 exec, exec, s[0:1]
	s_cbranch_execnz .LBB60_483
; %bb.484:
	s_or_b64 exec, exec, s[0:1]
.LBB60_485:
	s_or_b64 exec, exec, s[8:9]
	v_mov_b32_e32 v128, 0
	ds_read_b64 v[128:129], v128 offset:88
	s_waitcnt lgkmcnt(0)
	v_mul_f64 v[126:127], v[126:127], v[128:129]
	scratch_store_dwordx2 off, v[126:127], off offset:88
.LBB60_486:
	s_or_b64 exec, exec, s[4:5]
	scratch_load_dwordx2 v[126:127], off, off offset:80
	v_cmp_lt_u32_e64 s[0:1], 10, v0
	s_waitcnt vmcnt(0)
	ds_write_b64 v1, v[126:127]
	s_waitcnt lgkmcnt(0)
	; wave barrier
	s_and_saveexec_b64 s[4:5], s[0:1]
	s_cbranch_execz .LBB60_496
; %bb.487:
	s_andn2_b64 vcc, exec, s[6:7]
	s_cbranch_vccnz .LBB60_489
; %bb.488:
	scratch_load_dwordx2 v[126:127], v11, off
	ds_read_b64 v[128:129], v1
	s_waitcnt vmcnt(0) lgkmcnt(0)
	v_mul_f64 v[126:127], v[126:127], v[128:129]
	s_cbranch_execz .LBB60_490
	s_branch .LBB60_491
.LBB60_489:
                                        ; implicit-def: $vgpr126_vgpr127
.LBB60_490:
	ds_read_b64 v[126:127], v1
.LBB60_491:
	s_and_saveexec_b64 s[8:9], s[2:3]
	s_cbranch_execz .LBB60_495
; %bb.492:
	s_movk_i32 s15, 0x58
	v_add_u32_e32 v128, -11, v0
	s_movk_i32 s16, 0x248
	s_mov_b64 s[2:3], 0
.LBB60_493:                             ; =>This Inner Loop Header: Depth=1
	scratch_load_dwordx2 v[130:131], off, s15
	v_mov_b32_e32 v129, s16
	ds_read_b64 v[132:133], v129
	v_add_u32_e32 v128, -1, v128
	s_add_i32 s16, s16, 8
	s_add_i32 s15, s15, 8
	v_cmp_eq_u32_e32 vcc, 0, v128
	s_or_b64 s[2:3], vcc, s[2:3]
	s_waitcnt vmcnt(0) lgkmcnt(0)
	v_fmac_f64_e32 v[126:127], v[130:131], v[132:133]
	s_andn2_b64 exec, exec, s[2:3]
	s_cbranch_execnz .LBB60_493
; %bb.494:
	s_or_b64 exec, exec, s[2:3]
.LBB60_495:
	s_or_b64 exec, exec, s[8:9]
	v_mov_b32_e32 v128, 0
	ds_read_b64 v[128:129], v128 offset:80
	s_waitcnt lgkmcnt(0)
	v_mul_f64 v[126:127], v[126:127], v[128:129]
	scratch_store_dwordx2 off, v[126:127], off offset:80
.LBB60_496:
	s_or_b64 exec, exec, s[4:5]
	scratch_load_dwordx2 v[126:127], off, off offset:72
	v_cmp_lt_u32_e64 s[2:3], 9, v0
	s_waitcnt vmcnt(0)
	ds_write_b64 v1, v[126:127]
	s_waitcnt lgkmcnt(0)
	; wave barrier
	s_and_saveexec_b64 s[4:5], s[2:3]
	s_cbranch_execz .LBB60_506
; %bb.497:
	s_andn2_b64 vcc, exec, s[6:7]
	s_cbranch_vccnz .LBB60_499
; %bb.498:
	scratch_load_dwordx2 v[126:127], v11, off
	ds_read_b64 v[128:129], v1
	s_waitcnt vmcnt(0) lgkmcnt(0)
	v_mul_f64 v[126:127], v[126:127], v[128:129]
	s_cbranch_execz .LBB60_500
	s_branch .LBB60_501
.LBB60_499:
                                        ; implicit-def: $vgpr126_vgpr127
.LBB60_500:
	ds_read_b64 v[126:127], v1
.LBB60_501:
	s_and_saveexec_b64 s[8:9], s[0:1]
	s_cbranch_execz .LBB60_505
; %bb.502:
	v_add_u32_e32 v128, -10, v0
	s_movk_i32 s15, 0x240
	s_mov_b64 s[0:1], 0
.LBB60_503:                             ; =>This Inner Loop Header: Depth=1
	scratch_load_dwordx2 v[130:131], off, s14
	v_mov_b32_e32 v129, s15
	ds_read_b64 v[132:133], v129
	v_add_u32_e32 v128, -1, v128
	s_add_i32 s15, s15, 8
	s_add_i32 s14, s14, 8
	v_cmp_eq_u32_e32 vcc, 0, v128
	s_or_b64 s[0:1], vcc, s[0:1]
	s_waitcnt vmcnt(0) lgkmcnt(0)
	v_fmac_f64_e32 v[126:127], v[130:131], v[132:133]
	s_andn2_b64 exec, exec, s[0:1]
	s_cbranch_execnz .LBB60_503
; %bb.504:
	s_or_b64 exec, exec, s[0:1]
.LBB60_505:
	s_or_b64 exec, exec, s[8:9]
	v_mov_b32_e32 v128, 0
	ds_read_b64 v[128:129], v128 offset:72
	s_waitcnt lgkmcnt(0)
	v_mul_f64 v[126:127], v[126:127], v[128:129]
	scratch_store_dwordx2 off, v[126:127], off offset:72
.LBB60_506:
	s_or_b64 exec, exec, s[4:5]
	scratch_load_dwordx2 v[126:127], off, off offset:64
	v_cmp_lt_u32_e64 s[0:1], 8, v0
	s_waitcnt vmcnt(0)
	ds_write_b64 v1, v[126:127]
	s_waitcnt lgkmcnt(0)
	; wave barrier
	s_and_saveexec_b64 s[4:5], s[0:1]
	s_cbranch_execz .LBB60_516
; %bb.507:
	s_andn2_b64 vcc, exec, s[6:7]
	s_cbranch_vccnz .LBB60_509
; %bb.508:
	scratch_load_dwordx2 v[126:127], v11, off
	ds_read_b64 v[128:129], v1
	s_waitcnt vmcnt(0) lgkmcnt(0)
	v_mul_f64 v[126:127], v[126:127], v[128:129]
	s_cbranch_execz .LBB60_510
	s_branch .LBB60_511
.LBB60_509:
                                        ; implicit-def: $vgpr126_vgpr127
.LBB60_510:
	ds_read_b64 v[126:127], v1
.LBB60_511:
	s_and_saveexec_b64 s[8:9], s[2:3]
	s_cbranch_execz .LBB60_515
; %bb.512:
	s_movk_i32 s14, 0x48
	v_add_u32_e32 v128, -9, v0
	s_movk_i32 s15, 0x238
	s_mov_b64 s[2:3], 0
.LBB60_513:                             ; =>This Inner Loop Header: Depth=1
	scratch_load_dwordx2 v[130:131], off, s14
	v_mov_b32_e32 v129, s15
	ds_read_b64 v[132:133], v129
	v_add_u32_e32 v128, -1, v128
	s_add_i32 s15, s15, 8
	s_add_i32 s14, s14, 8
	v_cmp_eq_u32_e32 vcc, 0, v128
	s_or_b64 s[2:3], vcc, s[2:3]
	s_waitcnt vmcnt(0) lgkmcnt(0)
	v_fmac_f64_e32 v[126:127], v[130:131], v[132:133]
	s_andn2_b64 exec, exec, s[2:3]
	s_cbranch_execnz .LBB60_513
; %bb.514:
	s_or_b64 exec, exec, s[2:3]
.LBB60_515:
	s_or_b64 exec, exec, s[8:9]
	v_mov_b32_e32 v128, 0
	ds_read_b64 v[128:129], v128 offset:64
	s_waitcnt lgkmcnt(0)
	v_mul_f64 v[126:127], v[126:127], v[128:129]
	scratch_store_dwordx2 off, v[126:127], off offset:64
.LBB60_516:
	s_or_b64 exec, exec, s[4:5]
	scratch_load_dwordx2 v[126:127], off, off offset:56
	v_cmp_lt_u32_e64 s[2:3], 7, v0
	s_waitcnt vmcnt(0)
	ds_write_b64 v1, v[126:127]
	s_waitcnt lgkmcnt(0)
	; wave barrier
	s_and_saveexec_b64 s[4:5], s[2:3]
	s_cbranch_execz .LBB60_526
; %bb.517:
	s_andn2_b64 vcc, exec, s[6:7]
	s_cbranch_vccnz .LBB60_519
; %bb.518:
	scratch_load_dwordx2 v[126:127], v11, off
	ds_read_b64 v[128:129], v1
	s_waitcnt vmcnt(0) lgkmcnt(0)
	v_mul_f64 v[126:127], v[126:127], v[128:129]
	s_cbranch_execz .LBB60_520
	s_branch .LBB60_521
.LBB60_519:
                                        ; implicit-def: $vgpr126_vgpr127
.LBB60_520:
	ds_read_b64 v[126:127], v1
.LBB60_521:
	s_and_saveexec_b64 s[8:9], s[0:1]
	s_cbranch_execz .LBB60_525
; %bb.522:
	v_add_u32_e32 v128, -8, v0
	s_movk_i32 s14, 0x230
	s_mov_b64 s[0:1], 0
.LBB60_523:                             ; =>This Inner Loop Header: Depth=1
	scratch_load_dwordx2 v[130:131], off, s13
	v_mov_b32_e32 v129, s14
	ds_read_b64 v[132:133], v129
	v_add_u32_e32 v128, -1, v128
	s_add_i32 s14, s14, 8
	s_add_i32 s13, s13, 8
	v_cmp_eq_u32_e32 vcc, 0, v128
	s_or_b64 s[0:1], vcc, s[0:1]
	s_waitcnt vmcnt(0) lgkmcnt(0)
	v_fmac_f64_e32 v[126:127], v[130:131], v[132:133]
	s_andn2_b64 exec, exec, s[0:1]
	s_cbranch_execnz .LBB60_523
; %bb.524:
	s_or_b64 exec, exec, s[0:1]
.LBB60_525:
	s_or_b64 exec, exec, s[8:9]
	v_mov_b32_e32 v128, 0
	ds_read_b64 v[128:129], v128 offset:56
	s_waitcnt lgkmcnt(0)
	v_mul_f64 v[126:127], v[126:127], v[128:129]
	scratch_store_dwordx2 off, v[126:127], off offset:56
.LBB60_526:
	s_or_b64 exec, exec, s[4:5]
	scratch_load_dwordx2 v[126:127], off, off offset:48
	v_cmp_lt_u32_e64 s[0:1], 6, v0
	s_waitcnt vmcnt(0)
	ds_write_b64 v1, v[126:127]
	s_waitcnt lgkmcnt(0)
	; wave barrier
	s_and_saveexec_b64 s[4:5], s[0:1]
	s_cbranch_execz .LBB60_536
; %bb.527:
	s_andn2_b64 vcc, exec, s[6:7]
	s_cbranch_vccnz .LBB60_529
; %bb.528:
	scratch_load_dwordx2 v[126:127], v11, off
	ds_read_b64 v[128:129], v1
	s_waitcnt vmcnt(0) lgkmcnt(0)
	v_mul_f64 v[126:127], v[126:127], v[128:129]
	s_cbranch_execz .LBB60_530
	s_branch .LBB60_531
.LBB60_529:
                                        ; implicit-def: $vgpr126_vgpr127
.LBB60_530:
	ds_read_b64 v[126:127], v1
.LBB60_531:
	s_and_saveexec_b64 s[8:9], s[2:3]
	s_cbranch_execz .LBB60_535
; %bb.532:
	s_mov_b32 s13, 56
	v_add_u32_e32 v128, -7, v0
	s_movk_i32 s14, 0x228
	s_mov_b64 s[2:3], 0
.LBB60_533:                             ; =>This Inner Loop Header: Depth=1
	scratch_load_dwordx2 v[130:131], off, s13
	v_mov_b32_e32 v129, s14
	ds_read_b64 v[132:133], v129
	v_add_u32_e32 v128, -1, v128
	s_add_i32 s14, s14, 8
	s_add_i32 s13, s13, 8
	v_cmp_eq_u32_e32 vcc, 0, v128
	s_or_b64 s[2:3], vcc, s[2:3]
	s_waitcnt vmcnt(0) lgkmcnt(0)
	v_fmac_f64_e32 v[126:127], v[130:131], v[132:133]
	s_andn2_b64 exec, exec, s[2:3]
	s_cbranch_execnz .LBB60_533
; %bb.534:
	s_or_b64 exec, exec, s[2:3]
.LBB60_535:
	s_or_b64 exec, exec, s[8:9]
	v_mov_b32_e32 v128, 0
	ds_read_b64 v[128:129], v128 offset:48
	s_waitcnt lgkmcnt(0)
	v_mul_f64 v[126:127], v[126:127], v[128:129]
	scratch_store_dwordx2 off, v[126:127], off offset:48
.LBB60_536:
	s_or_b64 exec, exec, s[4:5]
	scratch_load_dwordx2 v[126:127], off, off offset:40
	v_cmp_lt_u32_e64 s[2:3], 5, v0
	s_waitcnt vmcnt(0)
	ds_write_b64 v1, v[126:127]
	s_waitcnt lgkmcnt(0)
	; wave barrier
	s_and_saveexec_b64 s[4:5], s[2:3]
	s_cbranch_execz .LBB60_546
; %bb.537:
	s_andn2_b64 vcc, exec, s[6:7]
	s_cbranch_vccnz .LBB60_539
; %bb.538:
	scratch_load_dwordx2 v[126:127], v11, off
	ds_read_b64 v[128:129], v1
	s_waitcnt vmcnt(0) lgkmcnt(0)
	v_mul_f64 v[126:127], v[126:127], v[128:129]
	s_cbranch_execz .LBB60_540
	s_branch .LBB60_541
.LBB60_539:
                                        ; implicit-def: $vgpr126_vgpr127
.LBB60_540:
	ds_read_b64 v[126:127], v1
.LBB60_541:
	s_and_saveexec_b64 s[8:9], s[0:1]
	s_cbranch_execz .LBB60_545
; %bb.542:
	v_add_u32_e32 v128, -6, v0
	s_movk_i32 s13, 0x220
	s_mov_b64 s[0:1], 0
.LBB60_543:                             ; =>This Inner Loop Header: Depth=1
	scratch_load_dwordx2 v[130:131], off, s12
	v_mov_b32_e32 v129, s13
	ds_read_b64 v[132:133], v129
	v_add_u32_e32 v128, -1, v128
	s_add_i32 s13, s13, 8
	s_add_i32 s12, s12, 8
	v_cmp_eq_u32_e32 vcc, 0, v128
	s_or_b64 s[0:1], vcc, s[0:1]
	s_waitcnt vmcnt(0) lgkmcnt(0)
	v_fmac_f64_e32 v[126:127], v[130:131], v[132:133]
	s_andn2_b64 exec, exec, s[0:1]
	s_cbranch_execnz .LBB60_543
; %bb.544:
	s_or_b64 exec, exec, s[0:1]
.LBB60_545:
	s_or_b64 exec, exec, s[8:9]
	v_mov_b32_e32 v128, 0
	ds_read_b64 v[128:129], v128 offset:40
	s_waitcnt lgkmcnt(0)
	v_mul_f64 v[126:127], v[126:127], v[128:129]
	scratch_store_dwordx2 off, v[126:127], off offset:40
.LBB60_546:
	s_or_b64 exec, exec, s[4:5]
	scratch_load_dwordx2 v[126:127], off, off offset:32
	v_cmp_lt_u32_e64 s[0:1], 4, v0
	s_waitcnt vmcnt(0)
	ds_write_b64 v1, v[126:127]
	s_waitcnt lgkmcnt(0)
	; wave barrier
	s_and_saveexec_b64 s[4:5], s[0:1]
	s_cbranch_execz .LBB60_556
; %bb.547:
	s_andn2_b64 vcc, exec, s[6:7]
	s_cbranch_vccnz .LBB60_549
; %bb.548:
	scratch_load_dwordx2 v[126:127], v11, off
	ds_read_b64 v[128:129], v1
	s_waitcnt vmcnt(0) lgkmcnt(0)
	v_mul_f64 v[126:127], v[126:127], v[128:129]
	s_cbranch_execz .LBB60_550
	s_branch .LBB60_551
.LBB60_549:
                                        ; implicit-def: $vgpr126_vgpr127
.LBB60_550:
	ds_read_b64 v[126:127], v1
.LBB60_551:
	s_and_saveexec_b64 s[8:9], s[2:3]
	s_cbranch_execz .LBB60_555
; %bb.552:
	s_mov_b32 s12, 40
	v_add_u32_e32 v128, -5, v0
	s_movk_i32 s13, 0x218
	s_mov_b64 s[2:3], 0
.LBB60_553:                             ; =>This Inner Loop Header: Depth=1
	scratch_load_dwordx2 v[130:131], off, s12
	v_mov_b32_e32 v129, s13
	ds_read_b64 v[132:133], v129
	v_add_u32_e32 v128, -1, v128
	s_add_i32 s13, s13, 8
	s_add_i32 s12, s12, 8
	v_cmp_eq_u32_e32 vcc, 0, v128
	s_or_b64 s[2:3], vcc, s[2:3]
	s_waitcnt vmcnt(0) lgkmcnt(0)
	v_fmac_f64_e32 v[126:127], v[130:131], v[132:133]
	s_andn2_b64 exec, exec, s[2:3]
	s_cbranch_execnz .LBB60_553
; %bb.554:
	s_or_b64 exec, exec, s[2:3]
.LBB60_555:
	s_or_b64 exec, exec, s[8:9]
	v_mov_b32_e32 v128, 0
	ds_read_b64 v[128:129], v128 offset:32
	s_waitcnt lgkmcnt(0)
	v_mul_f64 v[126:127], v[126:127], v[128:129]
	scratch_store_dwordx2 off, v[126:127], off offset:32
.LBB60_556:
	s_or_b64 exec, exec, s[4:5]
	scratch_load_dwordx2 v[126:127], off, off offset:24
	v_cmp_lt_u32_e64 s[2:3], 3, v0
	s_waitcnt vmcnt(0)
	ds_write_b64 v1, v[126:127]
	s_waitcnt lgkmcnt(0)
	; wave barrier
	s_and_saveexec_b64 s[4:5], s[2:3]
	s_cbranch_execz .LBB60_566
; %bb.557:
	s_andn2_b64 vcc, exec, s[6:7]
	s_cbranch_vccnz .LBB60_559
; %bb.558:
	scratch_load_dwordx2 v[126:127], v11, off
	ds_read_b64 v[128:129], v1
	s_waitcnt vmcnt(0) lgkmcnt(0)
	v_mul_f64 v[126:127], v[126:127], v[128:129]
	s_cbranch_execz .LBB60_560
	s_branch .LBB60_561
.LBB60_559:
                                        ; implicit-def: $vgpr126_vgpr127
.LBB60_560:
	ds_read_b64 v[126:127], v1
.LBB60_561:
	s_and_saveexec_b64 s[8:9], s[0:1]
	s_cbranch_execz .LBB60_565
; %bb.562:
	v_add_u32_e32 v128, -4, v0
	s_movk_i32 s12, 0x210
	s_mov_b64 s[0:1], 0
.LBB60_563:                             ; =>This Inner Loop Header: Depth=1
	scratch_load_dwordx2 v[130:131], off, s11
	v_mov_b32_e32 v129, s12
	ds_read_b64 v[132:133], v129
	v_add_u32_e32 v128, -1, v128
	s_add_i32 s12, s12, 8
	s_add_i32 s11, s11, 8
	v_cmp_eq_u32_e32 vcc, 0, v128
	s_or_b64 s[0:1], vcc, s[0:1]
	s_waitcnt vmcnt(0) lgkmcnt(0)
	v_fmac_f64_e32 v[126:127], v[130:131], v[132:133]
	s_andn2_b64 exec, exec, s[0:1]
	s_cbranch_execnz .LBB60_563
; %bb.564:
	s_or_b64 exec, exec, s[0:1]
.LBB60_565:
	s_or_b64 exec, exec, s[8:9]
	v_mov_b32_e32 v128, 0
	ds_read_b64 v[128:129], v128 offset:24
	s_waitcnt lgkmcnt(0)
	v_mul_f64 v[126:127], v[126:127], v[128:129]
	scratch_store_dwordx2 off, v[126:127], off offset:24
.LBB60_566:
	s_or_b64 exec, exec, s[4:5]
	scratch_load_dwordx2 v[126:127], off, off offset:16
	v_cmp_lt_u32_e64 s[0:1], 2, v0
	s_waitcnt vmcnt(0)
	ds_write_b64 v1, v[126:127]
	s_waitcnt lgkmcnt(0)
	; wave barrier
	s_and_saveexec_b64 s[4:5], s[0:1]
	s_cbranch_execz .LBB60_576
; %bb.567:
	s_andn2_b64 vcc, exec, s[6:7]
	s_cbranch_vccnz .LBB60_569
; %bb.568:
	scratch_load_dwordx2 v[126:127], v11, off
	ds_read_b64 v[128:129], v1
	s_waitcnt vmcnt(0) lgkmcnt(0)
	v_mul_f64 v[126:127], v[126:127], v[128:129]
	s_cbranch_execz .LBB60_570
	s_branch .LBB60_571
.LBB60_569:
                                        ; implicit-def: $vgpr126_vgpr127
.LBB60_570:
	ds_read_b64 v[126:127], v1
.LBB60_571:
	s_and_saveexec_b64 s[8:9], s[2:3]
	s_cbranch_execz .LBB60_575
; %bb.572:
	s_mov_b32 s11, 24
	v_add_u32_e32 v128, -3, v0
	s_movk_i32 s12, 0x208
	s_mov_b64 s[2:3], 0
.LBB60_573:                             ; =>This Inner Loop Header: Depth=1
	scratch_load_dwordx2 v[130:131], off, s11
	v_mov_b32_e32 v129, s12
	ds_read_b64 v[132:133], v129
	v_add_u32_e32 v128, -1, v128
	s_add_i32 s12, s12, 8
	s_add_i32 s11, s11, 8
	v_cmp_eq_u32_e32 vcc, 0, v128
	s_or_b64 s[2:3], vcc, s[2:3]
	s_waitcnt vmcnt(0) lgkmcnt(0)
	v_fmac_f64_e32 v[126:127], v[130:131], v[132:133]
	s_andn2_b64 exec, exec, s[2:3]
	s_cbranch_execnz .LBB60_573
; %bb.574:
	s_or_b64 exec, exec, s[2:3]
.LBB60_575:
	s_or_b64 exec, exec, s[8:9]
	v_mov_b32_e32 v128, 0
	ds_read_b64 v[128:129], v128 offset:16
	s_waitcnt lgkmcnt(0)
	v_mul_f64 v[126:127], v[126:127], v[128:129]
	scratch_store_dwordx2 off, v[126:127], off offset:16
.LBB60_576:
	s_or_b64 exec, exec, s[4:5]
	scratch_load_dwordx2 v[126:127], off, off offset:8
	v_cmp_lt_u32_e64 s[2:3], 1, v0
	s_waitcnt vmcnt(0)
	ds_write_b64 v1, v[126:127]
	s_waitcnt lgkmcnt(0)
	; wave barrier
	s_and_saveexec_b64 s[4:5], s[2:3]
	s_cbranch_execz .LBB60_586
; %bb.577:
	s_andn2_b64 vcc, exec, s[6:7]
	s_cbranch_vccnz .LBB60_579
; %bb.578:
	scratch_load_dwordx2 v[126:127], v11, off
	ds_read_b64 v[128:129], v1
	s_waitcnt vmcnt(0) lgkmcnt(0)
	v_mul_f64 v[126:127], v[126:127], v[128:129]
	s_cbranch_execz .LBB60_580
	s_branch .LBB60_581
.LBB60_579:
                                        ; implicit-def: $vgpr126_vgpr127
.LBB60_580:
	ds_read_b64 v[126:127], v1
.LBB60_581:
	s_and_saveexec_b64 s[8:9], s[0:1]
	s_cbranch_execz .LBB60_585
; %bb.582:
	v_add_u32_e32 v128, -2, v0
	s_movk_i32 s11, 0x200
	s_mov_b64 s[0:1], 0
.LBB60_583:                             ; =>This Inner Loop Header: Depth=1
	scratch_load_dwordx2 v[130:131], off, s10
	v_mov_b32_e32 v129, s11
	ds_read_b64 v[132:133], v129
	v_add_u32_e32 v128, -1, v128
	s_add_i32 s11, s11, 8
	s_add_i32 s10, s10, 8
	v_cmp_eq_u32_e32 vcc, 0, v128
	s_or_b64 s[0:1], vcc, s[0:1]
	s_waitcnt vmcnt(0) lgkmcnt(0)
	v_fmac_f64_e32 v[126:127], v[130:131], v[132:133]
	s_andn2_b64 exec, exec, s[0:1]
	s_cbranch_execnz .LBB60_583
; %bb.584:
	s_or_b64 exec, exec, s[0:1]
.LBB60_585:
	s_or_b64 exec, exec, s[8:9]
	v_mov_b32_e32 v128, 0
	ds_read_b64 v[128:129], v128 offset:8
	s_waitcnt lgkmcnt(0)
	v_mul_f64 v[126:127], v[126:127], v[128:129]
	scratch_store_dwordx2 off, v[126:127], off offset:8
.LBB60_586:
	s_or_b64 exec, exec, s[4:5]
	scratch_load_dwordx2 v[126:127], off, off
	v_cmp_ne_u32_e32 vcc, 0, v0
	s_waitcnt vmcnt(0)
	ds_write_b64 v1, v[126:127]
	s_waitcnt lgkmcnt(0)
	; wave barrier
	s_and_saveexec_b64 s[0:1], vcc
	s_cbranch_execz .LBB60_596
; %bb.587:
	s_andn2_b64 vcc, exec, s[6:7]
	s_cbranch_vccnz .LBB60_589
; %bb.588:
	scratch_load_dwordx2 v[126:127], v11, off
	ds_read_b64 v[128:129], v1
	s_waitcnt vmcnt(0) lgkmcnt(0)
	v_mul_f64 v[126:127], v[126:127], v[128:129]
	s_cbranch_execz .LBB60_590
	s_branch .LBB60_591
.LBB60_589:
                                        ; implicit-def: $vgpr126_vgpr127
.LBB60_590:
	ds_read_b64 v[126:127], v1
.LBB60_591:
	s_and_saveexec_b64 s[4:5], s[2:3]
	s_cbranch_execz .LBB60_595
; %bb.592:
	s_or_b32 s8, 0, 8
	v_add_u32_e32 v128, -1, v0
	s_movk_i32 s9, 0x1f8
	s_mov_b64 s[2:3], 0
.LBB60_593:                             ; =>This Inner Loop Header: Depth=1
	scratch_load_dwordx2 v[130:131], off, s8
	v_mov_b32_e32 v129, s9
	ds_read_b64 v[132:133], v129
	v_add_u32_e32 v128, -1, v128
	s_add_i32 s9, s9, 8
	s_add_i32 s8, s8, 8
	v_cmp_eq_u32_e32 vcc, 0, v128
	s_or_b64 s[2:3], vcc, s[2:3]
	s_waitcnt vmcnt(0) lgkmcnt(0)
	v_fmac_f64_e32 v[126:127], v[130:131], v[132:133]
	s_andn2_b64 exec, exec, s[2:3]
	s_cbranch_execnz .LBB60_593
; %bb.594:
	s_or_b64 exec, exec, s[2:3]
.LBB60_595:
	s_or_b64 exec, exec, s[4:5]
	v_mov_b32_e32 v128, 0
	ds_read_b64 v[128:129], v128
	s_waitcnt lgkmcnt(0)
	v_mul_f64 v[126:127], v[126:127], v[128:129]
	scratch_store_dwordx2 off, v[126:127], off
.LBB60_596:
	s_or_b64 exec, exec, s[0:1]
	s_mov_b64 s[0:1], 0
.LBB60_597:
	s_and_b64 vcc, exec, s[0:1]
	s_cbranch_vccz .LBB60_1189
; %bb.598:
	scratch_load_dwordx2 v[126:127], off, off offset:8
	v_cmp_eq_u32_e64 s[2:3], 0, v0
	s_waitcnt vmcnt(0)
	ds_write_b64 v1, v[126:127]
	s_waitcnt lgkmcnt(0)
	; wave barrier
	s_and_saveexec_b64 s[0:1], s[2:3]
	s_cbranch_execz .LBB60_604
; %bb.599:
	s_and_b64 vcc, exec, s[6:7]
	s_cbranch_vccz .LBB60_601
; %bb.600:
	scratch_load_dwordx2 v[126:127], v11, off
	ds_read_b64 v[128:129], v1
	s_waitcnt vmcnt(0) lgkmcnt(0)
	v_mul_f64 v[126:127], v[126:127], v[128:129]
	s_cbranch_execz .LBB60_602
	s_branch .LBB60_603
.LBB60_601:
                                        ; implicit-def: $vgpr126_vgpr127
.LBB60_602:
	ds_read_b64 v[126:127], v1
.LBB60_603:
	v_mov_b32_e32 v128, 0
	ds_read_b64 v[128:129], v128 offset:8
	s_waitcnt lgkmcnt(0)
	v_mul_f64 v[126:127], v[126:127], v[128:129]
	scratch_store_dwordx2 off, v[126:127], off offset:8
.LBB60_604:
	s_or_b64 exec, exec, s[0:1]
	scratch_load_dwordx2 v[126:127], off, off offset:16
	v_cndmask_b32_e64 v128, 0, 1, s[6:7]
	v_cmp_gt_u32_e32 vcc, 2, v0
	v_cmp_ne_u32_e64 s[0:1], 1, v128
	s_waitcnt vmcnt(0)
	ds_write_b64 v1, v[126:127]
	s_waitcnt lgkmcnt(0)
	; wave barrier
	s_and_saveexec_b64 s[4:5], vcc
	s_cbranch_execz .LBB60_610
; %bb.605:
	s_and_b64 vcc, exec, s[0:1]
	s_cbranch_vccnz .LBB60_607
; %bb.606:
	scratch_load_dwordx2 v[126:127], v11, off
	ds_read_b64 v[128:129], v1
	s_waitcnt vmcnt(0) lgkmcnt(0)
	v_mul_f64 v[126:127], v[126:127], v[128:129]
	s_cbranch_execz .LBB60_608
	s_branch .LBB60_609
.LBB60_607:
                                        ; implicit-def: $vgpr126_vgpr127
.LBB60_608:
	ds_read_b64 v[126:127], v1
.LBB60_609:
	scratch_load_dwordx2 v[132:133], off, off offset:8
	v_mov_b32_e32 v128, 0
	ds_read2_b64 v[128:131], v128 offset0:2 offset1:63
	s_waitcnt vmcnt(0) lgkmcnt(0)
	v_fma_f64 v[130:131], v[132:133], v[130:131], v[126:127]
	v_cndmask_b32_e64 v127, v127, v131, s[2:3]
	v_cndmask_b32_e64 v126, v126, v130, s[2:3]
	v_mul_f64 v[126:127], v[126:127], v[128:129]
	scratch_store_dwordx2 off, v[126:127], off offset:16
.LBB60_610:
	s_or_b64 exec, exec, s[4:5]
	scratch_load_dwordx2 v[126:127], off, off offset:24
	v_cmp_gt_u32_e32 vcc, 3, v0
	s_waitcnt vmcnt(0)
	ds_write_b64 v1, v[126:127]
	s_waitcnt lgkmcnt(0)
	; wave barrier
	s_and_saveexec_b64 s[4:5], vcc
	s_cbranch_execz .LBB60_618
; %bb.611:
	s_and_b64 vcc, exec, s[0:1]
	s_cbranch_vccnz .LBB60_613
; %bb.612:
	scratch_load_dwordx2 v[126:127], v11, off
	ds_read_b64 v[128:129], v1
	s_waitcnt vmcnt(0) lgkmcnt(0)
	v_mul_f64 v[126:127], v[126:127], v[128:129]
	s_cbranch_execz .LBB60_614
	s_branch .LBB60_615
.LBB60_613:
                                        ; implicit-def: $vgpr126_vgpr127
.LBB60_614:
	ds_read_b64 v[126:127], v1
.LBB60_615:
	v_cmp_ne_u32_e32 vcc, 2, v0
	s_and_saveexec_b64 s[6:7], vcc
	s_cbranch_execz .LBB60_617
; %bb.616:
	scratch_load_dwordx2 v[128:129], v11, off offset:8
	scratch_load_dwordx2 v[130:131], off, off offset:16
	ds_read_b64 v[132:133], v1 offset:8
	v_mov_b32_e32 v134, 0
	ds_read_b64 v[134:135], v134 offset:512
	s_waitcnt vmcnt(1) lgkmcnt(1)
	v_fmac_f64_e32 v[126:127], v[128:129], v[132:133]
	s_waitcnt vmcnt(0) lgkmcnt(0)
	v_fma_f64 v[128:129], v[130:131], v[134:135], v[126:127]
	v_cndmask_b32_e64 v127, v127, v129, s[2:3]
	v_cndmask_b32_e64 v126, v126, v128, s[2:3]
.LBB60_617:
	s_or_b64 exec, exec, s[6:7]
	v_mov_b32_e32 v128, 0
	ds_read_b64 v[128:129], v128 offset:24
	s_waitcnt lgkmcnt(0)
	v_mul_f64 v[126:127], v[126:127], v[128:129]
	scratch_store_dwordx2 off, v[126:127], off offset:24
.LBB60_618:
	s_or_b64 exec, exec, s[4:5]
	scratch_load_dwordx2 v[126:127], off, off offset:32
	v_cmp_gt_u32_e32 vcc, 4, v0
	s_waitcnt vmcnt(0)
	ds_write_b64 v1, v[126:127]
	s_waitcnt lgkmcnt(0)
	; wave barrier
	s_and_saveexec_b64 s[2:3], vcc
	s_cbranch_execz .LBB60_628
; %bb.619:
	s_and_b64 vcc, exec, s[0:1]
	s_cbranch_vccnz .LBB60_621
; %bb.620:
	scratch_load_dwordx2 v[126:127], v11, off
	ds_read_b64 v[128:129], v1
	s_waitcnt vmcnt(0) lgkmcnt(0)
	v_mul_f64 v[126:127], v[126:127], v[128:129]
	s_cbranch_execz .LBB60_622
	s_branch .LBB60_623
.LBB60_621:
                                        ; implicit-def: $vgpr126_vgpr127
.LBB60_622:
	ds_read_b64 v[126:127], v1
.LBB60_623:
	v_cmp_ne_u32_e32 vcc, 3, v0
	s_and_saveexec_b64 s[4:5], vcc
	s_cbranch_execz .LBB60_627
; %bb.624:
	s_mov_b32 s6, 0
	v_add_u32_e32 v128, 0x1f8, v10
	v_add3_u32 v129, v10, s6, 8
	s_mov_b64 s[6:7], 0
	v_mov_b32_e32 v130, v0
.LBB60_625:                             ; =>This Inner Loop Header: Depth=1
	scratch_load_dwordx2 v[132:133], v129, off
	ds_read_b64 v[134:135], v128
	v_add_u32_e32 v130, 1, v130
	v_cmp_lt_u32_e32 vcc, 2, v130
	v_add_u32_e32 v128, 8, v128
	v_add_u32_e32 v129, 8, v129
	s_or_b64 s[6:7], vcc, s[6:7]
	s_waitcnt vmcnt(0) lgkmcnt(0)
	v_fmac_f64_e32 v[126:127], v[132:133], v[134:135]
	s_andn2_b64 exec, exec, s[6:7]
	s_cbranch_execnz .LBB60_625
; %bb.626:
	s_or_b64 exec, exec, s[6:7]
.LBB60_627:
	s_or_b64 exec, exec, s[4:5]
	v_mov_b32_e32 v128, 0
	ds_read_b64 v[128:129], v128 offset:32
	s_waitcnt lgkmcnt(0)
	v_mul_f64 v[126:127], v[126:127], v[128:129]
	scratch_store_dwordx2 off, v[126:127], off offset:32
.LBB60_628:
	s_or_b64 exec, exec, s[2:3]
	scratch_load_dwordx2 v[126:127], off, off offset:40
	v_cmp_gt_u32_e32 vcc, 5, v0
	s_waitcnt vmcnt(0)
	ds_write_b64 v1, v[126:127]
	s_waitcnt lgkmcnt(0)
	; wave barrier
	s_and_saveexec_b64 s[2:3], vcc
	s_cbranch_execz .LBB60_638
; %bb.629:
	s_and_b64 vcc, exec, s[0:1]
	s_cbranch_vccnz .LBB60_631
; %bb.630:
	scratch_load_dwordx2 v[126:127], v11, off
	ds_read_b64 v[128:129], v1
	s_waitcnt vmcnt(0) lgkmcnt(0)
	v_mul_f64 v[126:127], v[126:127], v[128:129]
	s_cbranch_execz .LBB60_632
	s_branch .LBB60_633
.LBB60_631:
                                        ; implicit-def: $vgpr126_vgpr127
.LBB60_632:
	ds_read_b64 v[126:127], v1
.LBB60_633:
	v_cmp_ne_u32_e32 vcc, 4, v0
	s_and_saveexec_b64 s[4:5], vcc
	s_cbranch_execz .LBB60_637
; %bb.634:
	s_mov_b32 s6, 0
	v_add_u32_e32 v128, 0x1f8, v10
	v_add3_u32 v129, v10, s6, 8
	s_mov_b64 s[6:7], 0
	v_mov_b32_e32 v130, v0
.LBB60_635:                             ; =>This Inner Loop Header: Depth=1
	scratch_load_dwordx2 v[132:133], v129, off
	ds_read_b64 v[134:135], v128
	v_add_u32_e32 v130, 1, v130
	v_cmp_lt_u32_e32 vcc, 3, v130
	v_add_u32_e32 v128, 8, v128
	v_add_u32_e32 v129, 8, v129
	s_or_b64 s[6:7], vcc, s[6:7]
	s_waitcnt vmcnt(0) lgkmcnt(0)
	v_fmac_f64_e32 v[126:127], v[132:133], v[134:135]
	s_andn2_b64 exec, exec, s[6:7]
	s_cbranch_execnz .LBB60_635
; %bb.636:
	s_or_b64 exec, exec, s[6:7]
.LBB60_637:
	s_or_b64 exec, exec, s[4:5]
	v_mov_b32_e32 v128, 0
	ds_read_b64 v[128:129], v128 offset:40
	s_waitcnt lgkmcnt(0)
	v_mul_f64 v[126:127], v[126:127], v[128:129]
	scratch_store_dwordx2 off, v[126:127], off offset:40
.LBB60_638:
	;; [unrolled: 55-line block ×38, first 2 shown]
	s_or_b64 exec, exec, s[2:3]
	scratch_load_dwordx2 v[126:127], off, off offset:336
	v_cmp_gt_u32_e32 vcc, 42, v0
	s_waitcnt vmcnt(0)
	ds_write_b64 v1, v[126:127]
	s_waitcnt lgkmcnt(0)
	; wave barrier
	s_and_saveexec_b64 s[2:3], vcc
	s_cbranch_execz .LBB60_1008
; %bb.999:
	s_and_b64 vcc, exec, s[0:1]
	s_cbranch_vccnz .LBB60_1001
; %bb.1000:
	scratch_load_dwordx2 v[126:127], v11, off
	ds_read_b64 v[128:129], v1
	s_waitcnt vmcnt(0) lgkmcnt(0)
	v_mul_f64 v[126:127], v[126:127], v[128:129]
	s_cbranch_execz .LBB60_1002
	s_branch .LBB60_1003
.LBB60_1001:
                                        ; implicit-def: $vgpr126_vgpr127
.LBB60_1002:
	ds_read_b64 v[126:127], v1
.LBB60_1003:
	v_cmp_ne_u32_e32 vcc, 41, v0
	s_and_saveexec_b64 s[4:5], vcc
	s_cbranch_execz .LBB60_1007
; %bb.1004:
	s_mov_b32 s6, 0
	v_add_u32_e32 v128, 0x1f8, v10
	v_add3_u32 v129, v10, s6, 8
	s_mov_b64 s[6:7], 0
	v_mov_b32_e32 v130, v0
.LBB60_1005:                            ; =>This Inner Loop Header: Depth=1
	scratch_load_dwordx2 v[132:133], v129, off
	ds_read_b64 v[134:135], v128
	v_add_u32_e32 v130, 1, v130
	v_cmp_lt_u32_e32 vcc, 40, v130
	v_add_u32_e32 v128, 8, v128
	v_add_u32_e32 v129, 8, v129
	s_or_b64 s[6:7], vcc, s[6:7]
	s_waitcnt vmcnt(0) lgkmcnt(0)
	v_fmac_f64_e32 v[126:127], v[132:133], v[134:135]
	s_andn2_b64 exec, exec, s[6:7]
	s_cbranch_execnz .LBB60_1005
; %bb.1006:
	s_or_b64 exec, exec, s[6:7]
.LBB60_1007:
	s_or_b64 exec, exec, s[4:5]
	v_mov_b32_e32 v128, 0
	ds_read_b64 v[128:129], v128 offset:336
	s_waitcnt lgkmcnt(0)
	v_mul_f64 v[126:127], v[126:127], v[128:129]
	scratch_store_dwordx2 off, v[126:127], off offset:336
.LBB60_1008:
	s_or_b64 exec, exec, s[2:3]
	scratch_load_dwordx2 v[126:127], off, off offset:344
	v_cmp_gt_u32_e32 vcc, 43, v0
	s_waitcnt vmcnt(0)
	ds_write_b64 v1, v[126:127]
	s_waitcnt lgkmcnt(0)
	; wave barrier
	s_and_saveexec_b64 s[2:3], vcc
	s_cbranch_execz .LBB60_1018
; %bb.1009:
	s_and_b64 vcc, exec, s[0:1]
	s_cbranch_vccnz .LBB60_1011
; %bb.1010:
	scratch_load_dwordx2 v[126:127], v11, off
	ds_read_b64 v[128:129], v1
	s_waitcnt vmcnt(0) lgkmcnt(0)
	v_mul_f64 v[126:127], v[126:127], v[128:129]
	s_cbranch_execz .LBB60_1012
	s_branch .LBB60_1013
.LBB60_1011:
                                        ; implicit-def: $vgpr126_vgpr127
.LBB60_1012:
	ds_read_b64 v[126:127], v1
.LBB60_1013:
	v_cmp_ne_u32_e32 vcc, 42, v0
	s_and_saveexec_b64 s[4:5], vcc
	s_cbranch_execz .LBB60_1017
; %bb.1014:
	s_mov_b32 s6, 0
	v_add_u32_e32 v128, 0x1f8, v10
	v_add3_u32 v129, v10, s6, 8
	s_mov_b64 s[6:7], 0
	v_mov_b32_e32 v130, v0
.LBB60_1015:                            ; =>This Inner Loop Header: Depth=1
	scratch_load_dwordx2 v[132:133], v129, off
	ds_read_b64 v[134:135], v128
	v_add_u32_e32 v130, 1, v130
	v_cmp_lt_u32_e32 vcc, 41, v130
	v_add_u32_e32 v128, 8, v128
	v_add_u32_e32 v129, 8, v129
	s_or_b64 s[6:7], vcc, s[6:7]
	s_waitcnt vmcnt(0) lgkmcnt(0)
	v_fmac_f64_e32 v[126:127], v[132:133], v[134:135]
	s_andn2_b64 exec, exec, s[6:7]
	s_cbranch_execnz .LBB60_1015
; %bb.1016:
	s_or_b64 exec, exec, s[6:7]
.LBB60_1017:
	s_or_b64 exec, exec, s[4:5]
	v_mov_b32_e32 v128, 0
	ds_read_b64 v[128:129], v128 offset:344
	s_waitcnt lgkmcnt(0)
	v_mul_f64 v[126:127], v[126:127], v[128:129]
	scratch_store_dwordx2 off, v[126:127], off offset:344
.LBB60_1018:
	s_or_b64 exec, exec, s[2:3]
	scratch_load_dwordx2 v[126:127], off, off offset:352
	v_cmp_gt_u32_e32 vcc, 44, v0
	s_waitcnt vmcnt(0)
	ds_write_b64 v1, v[126:127]
	s_waitcnt lgkmcnt(0)
	; wave barrier
	s_and_saveexec_b64 s[2:3], vcc
	s_cbranch_execz .LBB60_1028
; %bb.1019:
	s_and_b64 vcc, exec, s[0:1]
	s_cbranch_vccnz .LBB60_1021
; %bb.1020:
	scratch_load_dwordx2 v[126:127], v11, off
	ds_read_b64 v[128:129], v1
	s_waitcnt vmcnt(0) lgkmcnt(0)
	v_mul_f64 v[126:127], v[126:127], v[128:129]
	s_cbranch_execz .LBB60_1022
	s_branch .LBB60_1023
.LBB60_1021:
                                        ; implicit-def: $vgpr126_vgpr127
.LBB60_1022:
	ds_read_b64 v[126:127], v1
.LBB60_1023:
	v_cmp_ne_u32_e32 vcc, 43, v0
	s_and_saveexec_b64 s[4:5], vcc
	s_cbranch_execz .LBB60_1027
; %bb.1024:
	s_mov_b32 s6, 0
	v_add_u32_e32 v128, 0x1f8, v10
	v_add3_u32 v129, v10, s6, 8
	s_mov_b64 s[6:7], 0
	v_mov_b32_e32 v130, v0
.LBB60_1025:                            ; =>This Inner Loop Header: Depth=1
	scratch_load_dwordx2 v[132:133], v129, off
	ds_read_b64 v[134:135], v128
	v_add_u32_e32 v130, 1, v130
	v_cmp_lt_u32_e32 vcc, 42, v130
	v_add_u32_e32 v128, 8, v128
	v_add_u32_e32 v129, 8, v129
	s_or_b64 s[6:7], vcc, s[6:7]
	s_waitcnt vmcnt(0) lgkmcnt(0)
	v_fmac_f64_e32 v[126:127], v[132:133], v[134:135]
	s_andn2_b64 exec, exec, s[6:7]
	s_cbranch_execnz .LBB60_1025
; %bb.1026:
	s_or_b64 exec, exec, s[6:7]
.LBB60_1027:
	s_or_b64 exec, exec, s[4:5]
	v_mov_b32_e32 v128, 0
	ds_read_b64 v[128:129], v128 offset:352
	s_waitcnt lgkmcnt(0)
	v_mul_f64 v[126:127], v[126:127], v[128:129]
	scratch_store_dwordx2 off, v[126:127], off offset:352
.LBB60_1028:
	s_or_b64 exec, exec, s[2:3]
	scratch_load_dwordx2 v[126:127], off, off offset:360
	v_cmp_gt_u32_e32 vcc, 45, v0
	s_waitcnt vmcnt(0)
	ds_write_b64 v1, v[126:127]
	s_waitcnt lgkmcnt(0)
	; wave barrier
	s_and_saveexec_b64 s[2:3], vcc
	s_cbranch_execz .LBB60_1038
; %bb.1029:
	s_and_b64 vcc, exec, s[0:1]
	s_cbranch_vccnz .LBB60_1031
; %bb.1030:
	scratch_load_dwordx2 v[126:127], v11, off
	ds_read_b64 v[128:129], v1
	s_waitcnt vmcnt(0) lgkmcnt(0)
	v_mul_f64 v[126:127], v[126:127], v[128:129]
	s_cbranch_execz .LBB60_1032
	s_branch .LBB60_1033
.LBB60_1031:
                                        ; implicit-def: $vgpr126_vgpr127
.LBB60_1032:
	ds_read_b64 v[126:127], v1
.LBB60_1033:
	v_cmp_ne_u32_e32 vcc, 44, v0
	s_and_saveexec_b64 s[4:5], vcc
	s_cbranch_execz .LBB60_1037
; %bb.1034:
	s_mov_b32 s6, 0
	v_add_u32_e32 v128, 0x1f8, v10
	v_add3_u32 v129, v10, s6, 8
	s_mov_b64 s[6:7], 0
	v_mov_b32_e32 v130, v0
.LBB60_1035:                            ; =>This Inner Loop Header: Depth=1
	scratch_load_dwordx2 v[132:133], v129, off
	ds_read_b64 v[134:135], v128
	v_add_u32_e32 v130, 1, v130
	v_cmp_lt_u32_e32 vcc, 43, v130
	v_add_u32_e32 v128, 8, v128
	v_add_u32_e32 v129, 8, v129
	s_or_b64 s[6:7], vcc, s[6:7]
	s_waitcnt vmcnt(0) lgkmcnt(0)
	v_fmac_f64_e32 v[126:127], v[132:133], v[134:135]
	s_andn2_b64 exec, exec, s[6:7]
	s_cbranch_execnz .LBB60_1035
; %bb.1036:
	s_or_b64 exec, exec, s[6:7]
.LBB60_1037:
	s_or_b64 exec, exec, s[4:5]
	v_mov_b32_e32 v128, 0
	ds_read_b64 v[128:129], v128 offset:360
	s_waitcnt lgkmcnt(0)
	v_mul_f64 v[126:127], v[126:127], v[128:129]
	scratch_store_dwordx2 off, v[126:127], off offset:360
.LBB60_1038:
	s_or_b64 exec, exec, s[2:3]
	scratch_load_dwordx2 v[126:127], off, off offset:368
	v_cmp_gt_u32_e32 vcc, 46, v0
	s_waitcnt vmcnt(0)
	ds_write_b64 v1, v[126:127]
	s_waitcnt lgkmcnt(0)
	; wave barrier
	s_and_saveexec_b64 s[2:3], vcc
	s_cbranch_execz .LBB60_1048
; %bb.1039:
	s_and_b64 vcc, exec, s[0:1]
	s_cbranch_vccnz .LBB60_1041
; %bb.1040:
	scratch_load_dwordx2 v[126:127], v11, off
	ds_read_b64 v[128:129], v1
	s_waitcnt vmcnt(0) lgkmcnt(0)
	v_mul_f64 v[126:127], v[126:127], v[128:129]
	s_cbranch_execz .LBB60_1042
	s_branch .LBB60_1043
.LBB60_1041:
                                        ; implicit-def: $vgpr126_vgpr127
.LBB60_1042:
	ds_read_b64 v[126:127], v1
.LBB60_1043:
	v_cmp_ne_u32_e32 vcc, 45, v0
	s_and_saveexec_b64 s[4:5], vcc
	s_cbranch_execz .LBB60_1047
; %bb.1044:
	s_mov_b32 s6, 0
	v_add_u32_e32 v128, 0x1f8, v10
	v_add3_u32 v129, v10, s6, 8
	s_mov_b64 s[6:7], 0
	v_mov_b32_e32 v130, v0
.LBB60_1045:                            ; =>This Inner Loop Header: Depth=1
	scratch_load_dwordx2 v[132:133], v129, off
	ds_read_b64 v[134:135], v128
	v_add_u32_e32 v130, 1, v130
	v_cmp_lt_u32_e32 vcc, 44, v130
	v_add_u32_e32 v128, 8, v128
	v_add_u32_e32 v129, 8, v129
	s_or_b64 s[6:7], vcc, s[6:7]
	s_waitcnt vmcnt(0) lgkmcnt(0)
	v_fmac_f64_e32 v[126:127], v[132:133], v[134:135]
	s_andn2_b64 exec, exec, s[6:7]
	s_cbranch_execnz .LBB60_1045
; %bb.1046:
	s_or_b64 exec, exec, s[6:7]
.LBB60_1047:
	s_or_b64 exec, exec, s[4:5]
	v_mov_b32_e32 v128, 0
	ds_read_b64 v[128:129], v128 offset:368
	s_waitcnt lgkmcnt(0)
	v_mul_f64 v[126:127], v[126:127], v[128:129]
	scratch_store_dwordx2 off, v[126:127], off offset:368
.LBB60_1048:
	s_or_b64 exec, exec, s[2:3]
	scratch_load_dwordx2 v[126:127], off, off offset:376
	v_cmp_gt_u32_e32 vcc, 47, v0
	s_waitcnt vmcnt(0)
	ds_write_b64 v1, v[126:127]
	s_waitcnt lgkmcnt(0)
	; wave barrier
	s_and_saveexec_b64 s[2:3], vcc
	s_cbranch_execz .LBB60_1058
; %bb.1049:
	s_and_b64 vcc, exec, s[0:1]
	s_cbranch_vccnz .LBB60_1051
; %bb.1050:
	scratch_load_dwordx2 v[126:127], v11, off
	ds_read_b64 v[128:129], v1
	s_waitcnt vmcnt(0) lgkmcnt(0)
	v_mul_f64 v[126:127], v[126:127], v[128:129]
	s_cbranch_execz .LBB60_1052
	s_branch .LBB60_1053
.LBB60_1051:
                                        ; implicit-def: $vgpr126_vgpr127
.LBB60_1052:
	ds_read_b64 v[126:127], v1
.LBB60_1053:
	v_cmp_ne_u32_e32 vcc, 46, v0
	s_and_saveexec_b64 s[4:5], vcc
	s_cbranch_execz .LBB60_1057
; %bb.1054:
	s_mov_b32 s6, 0
	v_add_u32_e32 v128, 0x1f8, v10
	v_add3_u32 v129, v10, s6, 8
	s_mov_b64 s[6:7], 0
	v_mov_b32_e32 v130, v0
.LBB60_1055:                            ; =>This Inner Loop Header: Depth=1
	scratch_load_dwordx2 v[132:133], v129, off
	ds_read_b64 v[134:135], v128
	v_add_u32_e32 v130, 1, v130
	v_cmp_lt_u32_e32 vcc, 45, v130
	v_add_u32_e32 v128, 8, v128
	v_add_u32_e32 v129, 8, v129
	s_or_b64 s[6:7], vcc, s[6:7]
	s_waitcnt vmcnt(0) lgkmcnt(0)
	v_fmac_f64_e32 v[126:127], v[132:133], v[134:135]
	s_andn2_b64 exec, exec, s[6:7]
	s_cbranch_execnz .LBB60_1055
; %bb.1056:
	s_or_b64 exec, exec, s[6:7]
.LBB60_1057:
	s_or_b64 exec, exec, s[4:5]
	v_mov_b32_e32 v128, 0
	ds_read_b64 v[128:129], v128 offset:376
	s_waitcnt lgkmcnt(0)
	v_mul_f64 v[126:127], v[126:127], v[128:129]
	scratch_store_dwordx2 off, v[126:127], off offset:376
.LBB60_1058:
	s_or_b64 exec, exec, s[2:3]
	scratch_load_dwordx2 v[126:127], off, off offset:384
	v_cmp_gt_u32_e32 vcc, 48, v0
	s_waitcnt vmcnt(0)
	ds_write_b64 v1, v[126:127]
	s_waitcnt lgkmcnt(0)
	; wave barrier
	s_and_saveexec_b64 s[2:3], vcc
	s_cbranch_execz .LBB60_1068
; %bb.1059:
	s_and_b64 vcc, exec, s[0:1]
	s_cbranch_vccnz .LBB60_1061
; %bb.1060:
	scratch_load_dwordx2 v[126:127], v11, off
	ds_read_b64 v[128:129], v1
	s_waitcnt vmcnt(0) lgkmcnt(0)
	v_mul_f64 v[126:127], v[126:127], v[128:129]
	s_cbranch_execz .LBB60_1062
	s_branch .LBB60_1063
.LBB60_1061:
                                        ; implicit-def: $vgpr126_vgpr127
.LBB60_1062:
	ds_read_b64 v[126:127], v1
.LBB60_1063:
	v_cmp_ne_u32_e32 vcc, 47, v0
	s_and_saveexec_b64 s[4:5], vcc
	s_cbranch_execz .LBB60_1067
; %bb.1064:
	s_mov_b32 s6, 0
	v_add_u32_e32 v128, 0x1f8, v10
	v_add3_u32 v129, v10, s6, 8
	s_mov_b64 s[6:7], 0
	v_mov_b32_e32 v130, v0
.LBB60_1065:                            ; =>This Inner Loop Header: Depth=1
	scratch_load_dwordx2 v[132:133], v129, off
	ds_read_b64 v[134:135], v128
	v_add_u32_e32 v130, 1, v130
	v_cmp_lt_u32_e32 vcc, 46, v130
	v_add_u32_e32 v128, 8, v128
	v_add_u32_e32 v129, 8, v129
	s_or_b64 s[6:7], vcc, s[6:7]
	s_waitcnt vmcnt(0) lgkmcnt(0)
	v_fmac_f64_e32 v[126:127], v[132:133], v[134:135]
	s_andn2_b64 exec, exec, s[6:7]
	s_cbranch_execnz .LBB60_1065
; %bb.1066:
	s_or_b64 exec, exec, s[6:7]
.LBB60_1067:
	s_or_b64 exec, exec, s[4:5]
	v_mov_b32_e32 v128, 0
	ds_read_b64 v[128:129], v128 offset:384
	s_waitcnt lgkmcnt(0)
	v_mul_f64 v[126:127], v[126:127], v[128:129]
	scratch_store_dwordx2 off, v[126:127], off offset:384
.LBB60_1068:
	s_or_b64 exec, exec, s[2:3]
	scratch_load_dwordx2 v[126:127], off, off offset:392
	v_cmp_gt_u32_e32 vcc, 49, v0
	s_waitcnt vmcnt(0)
	ds_write_b64 v1, v[126:127]
	s_waitcnt lgkmcnt(0)
	; wave barrier
	s_and_saveexec_b64 s[2:3], vcc
	s_cbranch_execz .LBB60_1078
; %bb.1069:
	s_and_b64 vcc, exec, s[0:1]
	s_cbranch_vccnz .LBB60_1071
; %bb.1070:
	scratch_load_dwordx2 v[126:127], v11, off
	ds_read_b64 v[128:129], v1
	s_waitcnt vmcnt(0) lgkmcnt(0)
	v_mul_f64 v[126:127], v[126:127], v[128:129]
	s_cbranch_execz .LBB60_1072
	s_branch .LBB60_1073
.LBB60_1071:
                                        ; implicit-def: $vgpr126_vgpr127
.LBB60_1072:
	ds_read_b64 v[126:127], v1
.LBB60_1073:
	v_cmp_ne_u32_e32 vcc, 48, v0
	s_and_saveexec_b64 s[4:5], vcc
	s_cbranch_execz .LBB60_1077
; %bb.1074:
	s_mov_b32 s6, 0
	v_add_u32_e32 v128, 0x1f8, v10
	v_add3_u32 v129, v10, s6, 8
	s_mov_b64 s[6:7], 0
	v_mov_b32_e32 v130, v0
.LBB60_1075:                            ; =>This Inner Loop Header: Depth=1
	scratch_load_dwordx2 v[132:133], v129, off
	ds_read_b64 v[134:135], v128
	v_add_u32_e32 v130, 1, v130
	v_cmp_lt_u32_e32 vcc, 47, v130
	v_add_u32_e32 v128, 8, v128
	v_add_u32_e32 v129, 8, v129
	s_or_b64 s[6:7], vcc, s[6:7]
	s_waitcnt vmcnt(0) lgkmcnt(0)
	v_fmac_f64_e32 v[126:127], v[132:133], v[134:135]
	s_andn2_b64 exec, exec, s[6:7]
	s_cbranch_execnz .LBB60_1075
; %bb.1076:
	s_or_b64 exec, exec, s[6:7]
.LBB60_1077:
	s_or_b64 exec, exec, s[4:5]
	v_mov_b32_e32 v128, 0
	ds_read_b64 v[128:129], v128 offset:392
	s_waitcnt lgkmcnt(0)
	v_mul_f64 v[126:127], v[126:127], v[128:129]
	scratch_store_dwordx2 off, v[126:127], off offset:392
.LBB60_1078:
	s_or_b64 exec, exec, s[2:3]
	scratch_load_dwordx2 v[126:127], off, off offset:400
	v_cmp_gt_u32_e32 vcc, 50, v0
	s_waitcnt vmcnt(0)
	ds_write_b64 v1, v[126:127]
	s_waitcnt lgkmcnt(0)
	; wave barrier
	s_and_saveexec_b64 s[2:3], vcc
	s_cbranch_execz .LBB60_1088
; %bb.1079:
	s_and_b64 vcc, exec, s[0:1]
	s_cbranch_vccnz .LBB60_1081
; %bb.1080:
	scratch_load_dwordx2 v[126:127], v11, off
	ds_read_b64 v[128:129], v1
	s_waitcnt vmcnt(0) lgkmcnt(0)
	v_mul_f64 v[126:127], v[126:127], v[128:129]
	s_cbranch_execz .LBB60_1082
	s_branch .LBB60_1083
.LBB60_1081:
                                        ; implicit-def: $vgpr126_vgpr127
.LBB60_1082:
	ds_read_b64 v[126:127], v1
.LBB60_1083:
	v_cmp_ne_u32_e32 vcc, 49, v0
	s_and_saveexec_b64 s[4:5], vcc
	s_cbranch_execz .LBB60_1087
; %bb.1084:
	s_mov_b32 s6, 0
	v_add_u32_e32 v128, 0x1f8, v10
	v_add3_u32 v129, v10, s6, 8
	s_mov_b64 s[6:7], 0
	v_mov_b32_e32 v130, v0
.LBB60_1085:                            ; =>This Inner Loop Header: Depth=1
	scratch_load_dwordx2 v[132:133], v129, off
	ds_read_b64 v[134:135], v128
	v_add_u32_e32 v130, 1, v130
	v_cmp_lt_u32_e32 vcc, 48, v130
	v_add_u32_e32 v128, 8, v128
	v_add_u32_e32 v129, 8, v129
	s_or_b64 s[6:7], vcc, s[6:7]
	s_waitcnt vmcnt(0) lgkmcnt(0)
	v_fmac_f64_e32 v[126:127], v[132:133], v[134:135]
	s_andn2_b64 exec, exec, s[6:7]
	s_cbranch_execnz .LBB60_1085
; %bb.1086:
	s_or_b64 exec, exec, s[6:7]
.LBB60_1087:
	s_or_b64 exec, exec, s[4:5]
	v_mov_b32_e32 v128, 0
	ds_read_b64 v[128:129], v128 offset:400
	s_waitcnt lgkmcnt(0)
	v_mul_f64 v[126:127], v[126:127], v[128:129]
	scratch_store_dwordx2 off, v[126:127], off offset:400
.LBB60_1088:
	s_or_b64 exec, exec, s[2:3]
	scratch_load_dwordx2 v[126:127], off, off offset:408
	v_cmp_gt_u32_e32 vcc, 51, v0
	s_waitcnt vmcnt(0)
	ds_write_b64 v1, v[126:127]
	s_waitcnt lgkmcnt(0)
	; wave barrier
	s_and_saveexec_b64 s[2:3], vcc
	s_cbranch_execz .LBB60_1098
; %bb.1089:
	s_and_b64 vcc, exec, s[0:1]
	s_cbranch_vccnz .LBB60_1091
; %bb.1090:
	scratch_load_dwordx2 v[126:127], v11, off
	ds_read_b64 v[128:129], v1
	s_waitcnt vmcnt(0) lgkmcnt(0)
	v_mul_f64 v[126:127], v[126:127], v[128:129]
	s_cbranch_execz .LBB60_1092
	s_branch .LBB60_1093
.LBB60_1091:
                                        ; implicit-def: $vgpr126_vgpr127
.LBB60_1092:
	ds_read_b64 v[126:127], v1
.LBB60_1093:
	v_cmp_ne_u32_e32 vcc, 50, v0
	s_and_saveexec_b64 s[4:5], vcc
	s_cbranch_execz .LBB60_1097
; %bb.1094:
	s_mov_b32 s6, 0
	v_add_u32_e32 v128, 0x1f8, v10
	v_add3_u32 v129, v10, s6, 8
	s_mov_b64 s[6:7], 0
	v_mov_b32_e32 v130, v0
.LBB60_1095:                            ; =>This Inner Loop Header: Depth=1
	scratch_load_dwordx2 v[132:133], v129, off
	ds_read_b64 v[134:135], v128
	v_add_u32_e32 v130, 1, v130
	v_cmp_lt_u32_e32 vcc, 49, v130
	v_add_u32_e32 v128, 8, v128
	v_add_u32_e32 v129, 8, v129
	s_or_b64 s[6:7], vcc, s[6:7]
	s_waitcnt vmcnt(0) lgkmcnt(0)
	v_fmac_f64_e32 v[126:127], v[132:133], v[134:135]
	s_andn2_b64 exec, exec, s[6:7]
	s_cbranch_execnz .LBB60_1095
; %bb.1096:
	s_or_b64 exec, exec, s[6:7]
.LBB60_1097:
	s_or_b64 exec, exec, s[4:5]
	v_mov_b32_e32 v128, 0
	ds_read_b64 v[128:129], v128 offset:408
	s_waitcnt lgkmcnt(0)
	v_mul_f64 v[126:127], v[126:127], v[128:129]
	scratch_store_dwordx2 off, v[126:127], off offset:408
.LBB60_1098:
	s_or_b64 exec, exec, s[2:3]
	scratch_load_dwordx2 v[126:127], off, off offset:416
	v_cmp_gt_u32_e32 vcc, 52, v0
	s_waitcnt vmcnt(0)
	ds_write_b64 v1, v[126:127]
	s_waitcnt lgkmcnt(0)
	; wave barrier
	s_and_saveexec_b64 s[2:3], vcc
	s_cbranch_execz .LBB60_1108
; %bb.1099:
	s_and_b64 vcc, exec, s[0:1]
	s_cbranch_vccnz .LBB60_1101
; %bb.1100:
	scratch_load_dwordx2 v[126:127], v11, off
	ds_read_b64 v[128:129], v1
	s_waitcnt vmcnt(0) lgkmcnt(0)
	v_mul_f64 v[126:127], v[126:127], v[128:129]
	s_cbranch_execz .LBB60_1102
	s_branch .LBB60_1103
.LBB60_1101:
                                        ; implicit-def: $vgpr126_vgpr127
.LBB60_1102:
	ds_read_b64 v[126:127], v1
.LBB60_1103:
	v_cmp_ne_u32_e32 vcc, 51, v0
	s_and_saveexec_b64 s[4:5], vcc
	s_cbranch_execz .LBB60_1107
; %bb.1104:
	s_mov_b32 s6, 0
	v_add_u32_e32 v128, 0x1f8, v10
	v_add3_u32 v129, v10, s6, 8
	s_mov_b64 s[6:7], 0
	v_mov_b32_e32 v130, v0
.LBB60_1105:                            ; =>This Inner Loop Header: Depth=1
	scratch_load_dwordx2 v[132:133], v129, off
	ds_read_b64 v[134:135], v128
	v_add_u32_e32 v130, 1, v130
	v_cmp_lt_u32_e32 vcc, 50, v130
	v_add_u32_e32 v128, 8, v128
	v_add_u32_e32 v129, 8, v129
	s_or_b64 s[6:7], vcc, s[6:7]
	s_waitcnt vmcnt(0) lgkmcnt(0)
	v_fmac_f64_e32 v[126:127], v[132:133], v[134:135]
	s_andn2_b64 exec, exec, s[6:7]
	s_cbranch_execnz .LBB60_1105
; %bb.1106:
	s_or_b64 exec, exec, s[6:7]
.LBB60_1107:
	s_or_b64 exec, exec, s[4:5]
	v_mov_b32_e32 v128, 0
	ds_read_b64 v[128:129], v128 offset:416
	s_waitcnt lgkmcnt(0)
	v_mul_f64 v[126:127], v[126:127], v[128:129]
	scratch_store_dwordx2 off, v[126:127], off offset:416
.LBB60_1108:
	s_or_b64 exec, exec, s[2:3]
	scratch_load_dwordx2 v[126:127], off, off offset:424
	v_cmp_gt_u32_e32 vcc, 53, v0
	s_waitcnt vmcnt(0)
	ds_write_b64 v1, v[126:127]
	s_waitcnt lgkmcnt(0)
	; wave barrier
	s_and_saveexec_b64 s[2:3], vcc
	s_cbranch_execz .LBB60_1118
; %bb.1109:
	s_and_b64 vcc, exec, s[0:1]
	s_cbranch_vccnz .LBB60_1111
; %bb.1110:
	scratch_load_dwordx2 v[126:127], v11, off
	ds_read_b64 v[128:129], v1
	s_waitcnt vmcnt(0) lgkmcnt(0)
	v_mul_f64 v[126:127], v[126:127], v[128:129]
	s_cbranch_execz .LBB60_1112
	s_branch .LBB60_1113
.LBB60_1111:
                                        ; implicit-def: $vgpr126_vgpr127
.LBB60_1112:
	ds_read_b64 v[126:127], v1
.LBB60_1113:
	v_cmp_ne_u32_e32 vcc, 52, v0
	s_and_saveexec_b64 s[4:5], vcc
	s_cbranch_execz .LBB60_1117
; %bb.1114:
	s_mov_b32 s6, 0
	v_add_u32_e32 v128, 0x1f8, v10
	v_add3_u32 v129, v10, s6, 8
	s_mov_b64 s[6:7], 0
	v_mov_b32_e32 v130, v0
.LBB60_1115:                            ; =>This Inner Loop Header: Depth=1
	scratch_load_dwordx2 v[132:133], v129, off
	ds_read_b64 v[134:135], v128
	v_add_u32_e32 v130, 1, v130
	v_cmp_lt_u32_e32 vcc, 51, v130
	v_add_u32_e32 v128, 8, v128
	v_add_u32_e32 v129, 8, v129
	s_or_b64 s[6:7], vcc, s[6:7]
	s_waitcnt vmcnt(0) lgkmcnt(0)
	v_fmac_f64_e32 v[126:127], v[132:133], v[134:135]
	s_andn2_b64 exec, exec, s[6:7]
	s_cbranch_execnz .LBB60_1115
; %bb.1116:
	s_or_b64 exec, exec, s[6:7]
.LBB60_1117:
	s_or_b64 exec, exec, s[4:5]
	v_mov_b32_e32 v128, 0
	ds_read_b64 v[128:129], v128 offset:424
	s_waitcnt lgkmcnt(0)
	v_mul_f64 v[126:127], v[126:127], v[128:129]
	scratch_store_dwordx2 off, v[126:127], off offset:424
.LBB60_1118:
	s_or_b64 exec, exec, s[2:3]
	scratch_load_dwordx2 v[126:127], off, off offset:432
	v_cmp_gt_u32_e32 vcc, 54, v0
	s_waitcnt vmcnt(0)
	ds_write_b64 v1, v[126:127]
	s_waitcnt lgkmcnt(0)
	; wave barrier
	s_and_saveexec_b64 s[2:3], vcc
	s_cbranch_execz .LBB60_1128
; %bb.1119:
	s_and_b64 vcc, exec, s[0:1]
	s_cbranch_vccnz .LBB60_1121
; %bb.1120:
	scratch_load_dwordx2 v[126:127], v11, off
	ds_read_b64 v[128:129], v1
	s_waitcnt vmcnt(0) lgkmcnt(0)
	v_mul_f64 v[126:127], v[126:127], v[128:129]
	s_cbranch_execz .LBB60_1122
	s_branch .LBB60_1123
.LBB60_1121:
                                        ; implicit-def: $vgpr126_vgpr127
.LBB60_1122:
	ds_read_b64 v[126:127], v1
.LBB60_1123:
	v_cmp_ne_u32_e32 vcc, 53, v0
	s_and_saveexec_b64 s[4:5], vcc
	s_cbranch_execz .LBB60_1127
; %bb.1124:
	s_mov_b32 s6, 0
	v_add_u32_e32 v128, 0x1f8, v10
	v_add3_u32 v129, v10, s6, 8
	s_mov_b64 s[6:7], 0
	v_mov_b32_e32 v130, v0
.LBB60_1125:                            ; =>This Inner Loop Header: Depth=1
	scratch_load_dwordx2 v[132:133], v129, off
	ds_read_b64 v[134:135], v128
	v_add_u32_e32 v130, 1, v130
	v_cmp_lt_u32_e32 vcc, 52, v130
	v_add_u32_e32 v128, 8, v128
	v_add_u32_e32 v129, 8, v129
	s_or_b64 s[6:7], vcc, s[6:7]
	s_waitcnt vmcnt(0) lgkmcnt(0)
	v_fmac_f64_e32 v[126:127], v[132:133], v[134:135]
	s_andn2_b64 exec, exec, s[6:7]
	s_cbranch_execnz .LBB60_1125
; %bb.1126:
	s_or_b64 exec, exec, s[6:7]
.LBB60_1127:
	s_or_b64 exec, exec, s[4:5]
	v_mov_b32_e32 v128, 0
	ds_read_b64 v[128:129], v128 offset:432
	s_waitcnt lgkmcnt(0)
	v_mul_f64 v[126:127], v[126:127], v[128:129]
	scratch_store_dwordx2 off, v[126:127], off offset:432
.LBB60_1128:
	s_or_b64 exec, exec, s[2:3]
	scratch_load_dwordx2 v[126:127], off, off offset:440
	v_cmp_gt_u32_e32 vcc, 55, v0
	s_waitcnt vmcnt(0)
	ds_write_b64 v1, v[126:127]
	s_waitcnt lgkmcnt(0)
	; wave barrier
	s_and_saveexec_b64 s[2:3], vcc
	s_cbranch_execz .LBB60_1138
; %bb.1129:
	s_and_b64 vcc, exec, s[0:1]
	s_cbranch_vccnz .LBB60_1131
; %bb.1130:
	scratch_load_dwordx2 v[126:127], v11, off
	ds_read_b64 v[128:129], v1
	s_waitcnt vmcnt(0) lgkmcnt(0)
	v_mul_f64 v[126:127], v[126:127], v[128:129]
	s_cbranch_execz .LBB60_1132
	s_branch .LBB60_1133
.LBB60_1131:
                                        ; implicit-def: $vgpr126_vgpr127
.LBB60_1132:
	ds_read_b64 v[126:127], v1
.LBB60_1133:
	v_cmp_ne_u32_e32 vcc, 54, v0
	s_and_saveexec_b64 s[4:5], vcc
	s_cbranch_execz .LBB60_1137
; %bb.1134:
	s_mov_b32 s6, 0
	v_add_u32_e32 v128, 0x1f8, v10
	v_add3_u32 v129, v10, s6, 8
	s_mov_b64 s[6:7], 0
	v_mov_b32_e32 v130, v0
.LBB60_1135:                            ; =>This Inner Loop Header: Depth=1
	scratch_load_dwordx2 v[132:133], v129, off
	ds_read_b64 v[134:135], v128
	v_add_u32_e32 v130, 1, v130
	v_cmp_lt_u32_e32 vcc, 53, v130
	v_add_u32_e32 v128, 8, v128
	v_add_u32_e32 v129, 8, v129
	s_or_b64 s[6:7], vcc, s[6:7]
	s_waitcnt vmcnt(0) lgkmcnt(0)
	v_fmac_f64_e32 v[126:127], v[132:133], v[134:135]
	s_andn2_b64 exec, exec, s[6:7]
	s_cbranch_execnz .LBB60_1135
; %bb.1136:
	s_or_b64 exec, exec, s[6:7]
.LBB60_1137:
	s_or_b64 exec, exec, s[4:5]
	v_mov_b32_e32 v128, 0
	ds_read_b64 v[128:129], v128 offset:440
	s_waitcnt lgkmcnt(0)
	v_mul_f64 v[126:127], v[126:127], v[128:129]
	scratch_store_dwordx2 off, v[126:127], off offset:440
.LBB60_1138:
	s_or_b64 exec, exec, s[2:3]
	scratch_load_dwordx2 v[126:127], off, off offset:448
	v_cmp_gt_u32_e32 vcc, 56, v0
	s_waitcnt vmcnt(0)
	ds_write_b64 v1, v[126:127]
	s_waitcnt lgkmcnt(0)
	; wave barrier
	s_and_saveexec_b64 s[2:3], vcc
	s_cbranch_execz .LBB60_1148
; %bb.1139:
	s_and_b64 vcc, exec, s[0:1]
	s_cbranch_vccnz .LBB60_1141
; %bb.1140:
	scratch_load_dwordx2 v[126:127], v11, off
	ds_read_b64 v[128:129], v1
	s_waitcnt vmcnt(0) lgkmcnt(0)
	v_mul_f64 v[126:127], v[126:127], v[128:129]
	s_cbranch_execz .LBB60_1142
	s_branch .LBB60_1143
.LBB60_1141:
                                        ; implicit-def: $vgpr126_vgpr127
.LBB60_1142:
	ds_read_b64 v[126:127], v1
.LBB60_1143:
	v_cmp_ne_u32_e32 vcc, 55, v0
	s_and_saveexec_b64 s[4:5], vcc
	s_cbranch_execz .LBB60_1147
; %bb.1144:
	s_mov_b32 s6, 0
	v_add_u32_e32 v128, 0x1f8, v10
	v_add3_u32 v129, v10, s6, 8
	s_mov_b64 s[6:7], 0
	v_mov_b32_e32 v130, v0
.LBB60_1145:                            ; =>This Inner Loop Header: Depth=1
	scratch_load_dwordx2 v[132:133], v129, off
	ds_read_b64 v[134:135], v128
	v_add_u32_e32 v130, 1, v130
	v_cmp_lt_u32_e32 vcc, 54, v130
	v_add_u32_e32 v128, 8, v128
	v_add_u32_e32 v129, 8, v129
	s_or_b64 s[6:7], vcc, s[6:7]
	s_waitcnt vmcnt(0) lgkmcnt(0)
	v_fmac_f64_e32 v[126:127], v[132:133], v[134:135]
	s_andn2_b64 exec, exec, s[6:7]
	s_cbranch_execnz .LBB60_1145
; %bb.1146:
	s_or_b64 exec, exec, s[6:7]
.LBB60_1147:
	s_or_b64 exec, exec, s[4:5]
	v_mov_b32_e32 v128, 0
	ds_read_b64 v[128:129], v128 offset:448
	s_waitcnt lgkmcnt(0)
	v_mul_f64 v[126:127], v[126:127], v[128:129]
	scratch_store_dwordx2 off, v[126:127], off offset:448
.LBB60_1148:
	s_or_b64 exec, exec, s[2:3]
	scratch_load_dwordx2 v[126:127], off, off offset:456
	v_cmp_gt_u32_e32 vcc, 57, v0
	s_waitcnt vmcnt(0)
	ds_write_b64 v1, v[126:127]
	s_waitcnt lgkmcnt(0)
	; wave barrier
	s_and_saveexec_b64 s[2:3], vcc
	s_cbranch_execz .LBB60_1158
; %bb.1149:
	s_and_b64 vcc, exec, s[0:1]
	s_cbranch_vccnz .LBB60_1151
; %bb.1150:
	scratch_load_dwordx2 v[126:127], v11, off
	ds_read_b64 v[128:129], v1
	s_waitcnt vmcnt(0) lgkmcnt(0)
	v_mul_f64 v[126:127], v[126:127], v[128:129]
	s_cbranch_execz .LBB60_1152
	s_branch .LBB60_1153
.LBB60_1151:
                                        ; implicit-def: $vgpr126_vgpr127
.LBB60_1152:
	ds_read_b64 v[126:127], v1
.LBB60_1153:
	v_cmp_ne_u32_e32 vcc, 56, v0
	s_and_saveexec_b64 s[4:5], vcc
	s_cbranch_execz .LBB60_1157
; %bb.1154:
	s_mov_b32 s6, 0
	v_add_u32_e32 v128, 0x1f8, v10
	v_add3_u32 v129, v10, s6, 8
	s_mov_b64 s[6:7], 0
	v_mov_b32_e32 v130, v0
.LBB60_1155:                            ; =>This Inner Loop Header: Depth=1
	scratch_load_dwordx2 v[132:133], v129, off
	ds_read_b64 v[134:135], v128
	v_add_u32_e32 v130, 1, v130
	v_cmp_lt_u32_e32 vcc, 55, v130
	v_add_u32_e32 v128, 8, v128
	v_add_u32_e32 v129, 8, v129
	s_or_b64 s[6:7], vcc, s[6:7]
	s_waitcnt vmcnt(0) lgkmcnt(0)
	v_fmac_f64_e32 v[126:127], v[132:133], v[134:135]
	s_andn2_b64 exec, exec, s[6:7]
	s_cbranch_execnz .LBB60_1155
; %bb.1156:
	s_or_b64 exec, exec, s[6:7]
.LBB60_1157:
	s_or_b64 exec, exec, s[4:5]
	v_mov_b32_e32 v128, 0
	ds_read_b64 v[128:129], v128 offset:456
	s_waitcnt lgkmcnt(0)
	v_mul_f64 v[126:127], v[126:127], v[128:129]
	scratch_store_dwordx2 off, v[126:127], off offset:456
.LBB60_1158:
	s_or_b64 exec, exec, s[2:3]
	scratch_load_dwordx2 v[126:127], off, off offset:464
	v_cmp_gt_u32_e32 vcc, 58, v0
	s_waitcnt vmcnt(0)
	ds_write_b64 v1, v[126:127]
	s_waitcnt lgkmcnt(0)
	; wave barrier
	s_and_saveexec_b64 s[2:3], vcc
	s_cbranch_execz .LBB60_1168
; %bb.1159:
	s_and_b64 vcc, exec, s[0:1]
	s_cbranch_vccnz .LBB60_1161
; %bb.1160:
	scratch_load_dwordx2 v[126:127], v11, off
	ds_read_b64 v[128:129], v1
	s_waitcnt vmcnt(0) lgkmcnt(0)
	v_mul_f64 v[126:127], v[126:127], v[128:129]
	s_cbranch_execz .LBB60_1162
	s_branch .LBB60_1163
.LBB60_1161:
                                        ; implicit-def: $vgpr126_vgpr127
.LBB60_1162:
	ds_read_b64 v[126:127], v1
.LBB60_1163:
	v_cmp_ne_u32_e32 vcc, 57, v0
	s_and_saveexec_b64 s[4:5], vcc
	s_cbranch_execz .LBB60_1167
; %bb.1164:
	s_mov_b32 s6, 0
	v_add_u32_e32 v128, 0x1f8, v10
	v_add3_u32 v129, v10, s6, 8
	s_mov_b64 s[6:7], 0
	v_mov_b32_e32 v130, v0
.LBB60_1165:                            ; =>This Inner Loop Header: Depth=1
	scratch_load_dwordx2 v[132:133], v129, off
	ds_read_b64 v[134:135], v128
	v_add_u32_e32 v130, 1, v130
	v_cmp_lt_u32_e32 vcc, 56, v130
	v_add_u32_e32 v128, 8, v128
	v_add_u32_e32 v129, 8, v129
	s_or_b64 s[6:7], vcc, s[6:7]
	s_waitcnt vmcnt(0) lgkmcnt(0)
	v_fmac_f64_e32 v[126:127], v[132:133], v[134:135]
	s_andn2_b64 exec, exec, s[6:7]
	s_cbranch_execnz .LBB60_1165
; %bb.1166:
	s_or_b64 exec, exec, s[6:7]
.LBB60_1167:
	s_or_b64 exec, exec, s[4:5]
	v_mov_b32_e32 v128, 0
	ds_read_b64 v[128:129], v128 offset:464
	s_waitcnt lgkmcnt(0)
	v_mul_f64 v[126:127], v[126:127], v[128:129]
	scratch_store_dwordx2 off, v[126:127], off offset:464
.LBB60_1168:
	s_or_b64 exec, exec, s[2:3]
	scratch_load_dwordx2 v[126:127], off, off offset:472
	v_cmp_gt_u32_e64 s[2:3], 59, v0
	s_waitcnt vmcnt(0)
	ds_write_b64 v1, v[126:127]
	s_waitcnt lgkmcnt(0)
	; wave barrier
	s_and_saveexec_b64 s[4:5], s[2:3]
	s_cbranch_execz .LBB60_1178
; %bb.1169:
	s_and_b64 vcc, exec, s[0:1]
	s_cbranch_vccnz .LBB60_1171
; %bb.1170:
	scratch_load_dwordx2 v[126:127], v11, off
	ds_read_b64 v[128:129], v1
	s_waitcnt vmcnt(0) lgkmcnt(0)
	v_mul_f64 v[126:127], v[126:127], v[128:129]
	s_cbranch_execz .LBB60_1172
	s_branch .LBB60_1173
.LBB60_1171:
                                        ; implicit-def: $vgpr126_vgpr127
.LBB60_1172:
	ds_read_b64 v[126:127], v1
.LBB60_1173:
	v_cmp_ne_u32_e32 vcc, 58, v0
	s_and_saveexec_b64 s[6:7], vcc
	s_cbranch_execz .LBB60_1177
; %bb.1174:
	s_mov_b32 s8, 0
	v_add_u32_e32 v128, 0x1f8, v10
	v_add3_u32 v129, v10, s8, 8
	s_mov_b64 s[8:9], 0
	v_mov_b32_e32 v130, v0
.LBB60_1175:                            ; =>This Inner Loop Header: Depth=1
	scratch_load_dwordx2 v[132:133], v129, off
	ds_read_b64 v[134:135], v128
	v_add_u32_e32 v130, 1, v130
	v_cmp_lt_u32_e32 vcc, 57, v130
	v_add_u32_e32 v128, 8, v128
	v_add_u32_e32 v129, 8, v129
	s_or_b64 s[8:9], vcc, s[8:9]
	s_waitcnt vmcnt(0) lgkmcnt(0)
	v_fmac_f64_e32 v[126:127], v[132:133], v[134:135]
	s_andn2_b64 exec, exec, s[8:9]
	s_cbranch_execnz .LBB60_1175
; %bb.1176:
	s_or_b64 exec, exec, s[8:9]
.LBB60_1177:
	s_or_b64 exec, exec, s[6:7]
	v_mov_b32_e32 v128, 0
	ds_read_b64 v[128:129], v128 offset:472
	s_waitcnt lgkmcnt(0)
	v_mul_f64 v[126:127], v[126:127], v[128:129]
	scratch_store_dwordx2 off, v[126:127], off offset:472
.LBB60_1178:
	s_or_b64 exec, exec, s[4:5]
	scratch_load_dwordx2 v[126:127], off, off offset:480
	v_cmp_ne_u32_e32 vcc, 60, v0
	s_waitcnt vmcnt(0)
	ds_write_b64 v1, v[126:127]
	s_waitcnt lgkmcnt(0)
	; wave barrier
	s_and_saveexec_b64 s[4:5], vcc
	s_cbranch_execz .LBB60_1188
; %bb.1179:
	s_and_b64 vcc, exec, s[0:1]
	s_cbranch_vccnz .LBB60_1181
; %bb.1180:
	scratch_load_dwordx2 v[126:127], v11, off
	ds_read_b64 v[128:129], v1
	s_waitcnt vmcnt(0) lgkmcnt(0)
	v_mul_f64 v[126:127], v[126:127], v[128:129]
	s_cbranch_execz .LBB60_1182
	s_branch .LBB60_1183
.LBB60_1181:
                                        ; implicit-def: $vgpr126_vgpr127
.LBB60_1182:
	ds_read_b64 v[126:127], v1
.LBB60_1183:
	s_and_saveexec_b64 s[0:1], s[2:3]
	s_cbranch_execz .LBB60_1187
; %bb.1184:
	s_mov_b32 s2, 0
	v_add_u32_e32 v1, 0x1f8, v10
	v_add3_u32 v10, v10, s2, 8
	s_mov_b64 s[2:3], 0
.LBB60_1185:                            ; =>This Inner Loop Header: Depth=1
	scratch_load_dwordx2 v[128:129], v10, off
	ds_read_b64 v[130:131], v1
	v_add_u32_e32 v0, 1, v0
	v_cmp_lt_u32_e32 vcc, 58, v0
	v_add_u32_e32 v1, 8, v1
	v_add_u32_e32 v10, 8, v10
	s_or_b64 s[2:3], vcc, s[2:3]
	s_waitcnt vmcnt(0) lgkmcnt(0)
	v_fmac_f64_e32 v[126:127], v[128:129], v[130:131]
	s_andn2_b64 exec, exec, s[2:3]
	s_cbranch_execnz .LBB60_1185
; %bb.1186:
	s_or_b64 exec, exec, s[2:3]
.LBB60_1187:
	s_or_b64 exec, exec, s[0:1]
	v_mov_b32_e32 v0, 0
	ds_read_b64 v[0:1], v0 offset:480
	s_waitcnt lgkmcnt(0)
	v_mul_f64 v[0:1], v[126:127], v[0:1]
	scratch_store_dwordx2 off, v[0:1], off offset:480
.LBB60_1188:
	s_or_b64 exec, exec, s[4:5]
.LBB60_1189:
	scratch_load_dwordx4 v[126:129], off, off
	s_waitcnt vmcnt(0)
	global_store_dwordx2 v[2:3], v[126:127], off
	global_store_dwordx2 v[4:5], v[128:129], off
	scratch_load_dwordx4 v[0:3], off, off offset:16
	s_waitcnt vmcnt(0)
	global_store_dwordx2 v[6:7], v[0:1], off
	global_store_dwordx2 v[8:9], v[2:3], off
	scratch_load_dwordx4 v[0:3], off, off offset:32
	;; [unrolled: 4-line block ×29, first 2 shown]
	s_waitcnt vmcnt(0)
	global_store_dwordx2 v[122:123], v[0:1], off
	global_store_dwordx2 v[124:125], v[2:3], off
	scratch_load_dwordx2 v[0:1], off, off offset:480
	s_waitcnt vmcnt(0)
	global_store_dwordx2 v[116:117], v[0:1], off
.LBB60_1190:
	s_endpgm
	.section	.rodata,"a",@progbits
	.p2align	6, 0x0
	.amdhsa_kernel _ZN9rocsolver6v33100L18trti2_kernel_smallILi61EdPdEEv13rocblas_fill_17rocblas_diagonal_T1_iil
		.amdhsa_group_segment_fixed_size 984
		.amdhsa_private_segment_fixed_size 496
		.amdhsa_kernarg_size 32
		.amdhsa_user_sgpr_count 2
		.amdhsa_user_sgpr_dispatch_ptr 0
		.amdhsa_user_sgpr_queue_ptr 0
		.amdhsa_user_sgpr_kernarg_segment_ptr 1
		.amdhsa_user_sgpr_dispatch_id 0
		.amdhsa_user_sgpr_kernarg_preload_length 0
		.amdhsa_user_sgpr_kernarg_preload_offset 0
		.amdhsa_user_sgpr_private_segment_size 0
		.amdhsa_uses_dynamic_stack 0
		.amdhsa_enable_private_segment 1
		.amdhsa_system_sgpr_workgroup_id_x 1
		.amdhsa_system_sgpr_workgroup_id_y 0
		.amdhsa_system_sgpr_workgroup_id_z 0
		.amdhsa_system_sgpr_workgroup_info 0
		.amdhsa_system_vgpr_workitem_id 0
		.amdhsa_next_free_vgpr 136
		.amdhsa_next_free_sgpr 41
		.amdhsa_accum_offset 136
		.amdhsa_reserve_vcc 1
		.amdhsa_float_round_mode_32 0
		.amdhsa_float_round_mode_16_64 0
		.amdhsa_float_denorm_mode_32 3
		.amdhsa_float_denorm_mode_16_64 3
		.amdhsa_dx10_clamp 1
		.amdhsa_ieee_mode 1
		.amdhsa_fp16_overflow 0
		.amdhsa_tg_split 0
		.amdhsa_exception_fp_ieee_invalid_op 0
		.amdhsa_exception_fp_denorm_src 0
		.amdhsa_exception_fp_ieee_div_zero 0
		.amdhsa_exception_fp_ieee_overflow 0
		.amdhsa_exception_fp_ieee_underflow 0
		.amdhsa_exception_fp_ieee_inexact 0
		.amdhsa_exception_int_div_zero 0
	.end_amdhsa_kernel
	.section	.text._ZN9rocsolver6v33100L18trti2_kernel_smallILi61EdPdEEv13rocblas_fill_17rocblas_diagonal_T1_iil,"axG",@progbits,_ZN9rocsolver6v33100L18trti2_kernel_smallILi61EdPdEEv13rocblas_fill_17rocblas_diagonal_T1_iil,comdat
.Lfunc_end60:
	.size	_ZN9rocsolver6v33100L18trti2_kernel_smallILi61EdPdEEv13rocblas_fill_17rocblas_diagonal_T1_iil, .Lfunc_end60-_ZN9rocsolver6v33100L18trti2_kernel_smallILi61EdPdEEv13rocblas_fill_17rocblas_diagonal_T1_iil
                                        ; -- End function
	.set _ZN9rocsolver6v33100L18trti2_kernel_smallILi61EdPdEEv13rocblas_fill_17rocblas_diagonal_T1_iil.num_vgpr, 136
	.set _ZN9rocsolver6v33100L18trti2_kernel_smallILi61EdPdEEv13rocblas_fill_17rocblas_diagonal_T1_iil.num_agpr, 0
	.set _ZN9rocsolver6v33100L18trti2_kernel_smallILi61EdPdEEv13rocblas_fill_17rocblas_diagonal_T1_iil.numbered_sgpr, 41
	.set _ZN9rocsolver6v33100L18trti2_kernel_smallILi61EdPdEEv13rocblas_fill_17rocblas_diagonal_T1_iil.num_named_barrier, 0
	.set _ZN9rocsolver6v33100L18trti2_kernel_smallILi61EdPdEEv13rocblas_fill_17rocblas_diagonal_T1_iil.private_seg_size, 496
	.set _ZN9rocsolver6v33100L18trti2_kernel_smallILi61EdPdEEv13rocblas_fill_17rocblas_diagonal_T1_iil.uses_vcc, 1
	.set _ZN9rocsolver6v33100L18trti2_kernel_smallILi61EdPdEEv13rocblas_fill_17rocblas_diagonal_T1_iil.uses_flat_scratch, 0
	.set _ZN9rocsolver6v33100L18trti2_kernel_smallILi61EdPdEEv13rocblas_fill_17rocblas_diagonal_T1_iil.has_dyn_sized_stack, 0
	.set _ZN9rocsolver6v33100L18trti2_kernel_smallILi61EdPdEEv13rocblas_fill_17rocblas_diagonal_T1_iil.has_recursion, 0
	.set _ZN9rocsolver6v33100L18trti2_kernel_smallILi61EdPdEEv13rocblas_fill_17rocblas_diagonal_T1_iil.has_indirect_call, 0
	.section	.AMDGPU.csdata,"",@progbits
; Kernel info:
; codeLenInByte = 29168
; TotalNumSgprs: 47
; NumVgprs: 136
; NumAgprs: 0
; TotalNumVgprs: 136
; ScratchSize: 496
; MemoryBound: 0
; FloatMode: 240
; IeeeMode: 1
; LDSByteSize: 984 bytes/workgroup (compile time only)
; SGPRBlocks: 5
; VGPRBlocks: 16
; NumSGPRsForWavesPerEU: 47
; NumVGPRsForWavesPerEU: 136
; AccumOffset: 136
; Occupancy: 3
; WaveLimiterHint : 0
; COMPUTE_PGM_RSRC2:SCRATCH_EN: 1
; COMPUTE_PGM_RSRC2:USER_SGPR: 2
; COMPUTE_PGM_RSRC2:TRAP_HANDLER: 0
; COMPUTE_PGM_RSRC2:TGID_X_EN: 1
; COMPUTE_PGM_RSRC2:TGID_Y_EN: 0
; COMPUTE_PGM_RSRC2:TGID_Z_EN: 0
; COMPUTE_PGM_RSRC2:TIDIG_COMP_CNT: 0
; COMPUTE_PGM_RSRC3_GFX90A:ACCUM_OFFSET: 33
; COMPUTE_PGM_RSRC3_GFX90A:TG_SPLIT: 0
	.section	.text._ZN9rocsolver6v33100L18trti2_kernel_smallILi62EdPdEEv13rocblas_fill_17rocblas_diagonal_T1_iil,"axG",@progbits,_ZN9rocsolver6v33100L18trti2_kernel_smallILi62EdPdEEv13rocblas_fill_17rocblas_diagonal_T1_iil,comdat
	.globl	_ZN9rocsolver6v33100L18trti2_kernel_smallILi62EdPdEEv13rocblas_fill_17rocblas_diagonal_T1_iil ; -- Begin function _ZN9rocsolver6v33100L18trti2_kernel_smallILi62EdPdEEv13rocblas_fill_17rocblas_diagonal_T1_iil
	.p2align	8
	.type	_ZN9rocsolver6v33100L18trti2_kernel_smallILi62EdPdEEv13rocblas_fill_17rocblas_diagonal_T1_iil,@function
_ZN9rocsolver6v33100L18trti2_kernel_smallILi62EdPdEEv13rocblas_fill_17rocblas_diagonal_T1_iil: ; @_ZN9rocsolver6v33100L18trti2_kernel_smallILi62EdPdEEv13rocblas_fill_17rocblas_diagonal_T1_iil
; %bb.0:
	v_cmp_gt_u32_e32 vcc, 62, v0
	s_and_saveexec_b64 s[4:5], vcc
	s_cbranch_execz .LBB61_1210
; %bb.1:
	s_load_dwordx8 s[4:11], s[0:1], 0x0
	s_ashr_i32 s3, s2, 31
	v_lshlrev_b32_e32 v16, 3, v0
	v_mov_b32_e32 v17, 0
	s_waitcnt lgkmcnt(0)
	s_ashr_i32 s1, s8, 31
	s_mov_b32 s0, s8
	s_mul_hi_u32 s8, s10, s2
	s_mul_i32 s3, s10, s3
	s_add_i32 s3, s8, s3
	s_mul_i32 s8, s11, s2
	s_add_i32 s3, s3, s8
	s_mul_i32 s2, s10, s2
	s_lshl_b64 s[2:3], s[2:3], 3
	s_add_u32 s2, s6, s2
	s_addc_u32 s3, s7, s3
	s_lshl_b64 s[0:1], s[0:1], 3
	s_add_u32 s0, s2, s0
	s_addc_u32 s1, s3, s1
	v_lshl_add_u64 v[2:3], s[0:1], 0, v[16:17]
	s_ashr_i32 s3, s9, 31
	s_mov_b32 s2, s9
	v_lshl_add_u64 v[4:5], s[2:3], 3, v[2:3]
	global_load_dwordx2 v[6:7], v16, s[0:1]
	global_load_dwordx2 v[8:9], v[4:5], off
	s_add_i32 s2, s9, s9
	s_cmpk_lg_i32 s5, 0x84
	s_cselect_b64 s[6:7], -1, 0
	s_cmpk_eq_i32 s5, 0x84
	s_waitcnt vmcnt(0)
	scratch_store_dwordx4 off, v[6:9], off
	s_nop 1
	v_add_u32_e32 v8, s2, v0
	v_add_u32_e32 v10, s9, v8
	v_ashrrev_i32_e32 v9, 31, v8
	v_ashrrev_i32_e32 v11, 31, v10
	v_lshl_add_u64 v[6:7], v[8:9], 3, s[0:1]
	v_lshl_add_u64 v[8:9], v[10:11], 3, s[0:1]
	global_load_dwordx2 v[12:13], v[6:7], off
	global_load_dwordx2 v[14:15], v[8:9], off
	s_waitcnt vmcnt(0)
	scratch_store_dwordx4 off, v[12:15], off offset:16
	s_nop 1
	v_add_u32_e32 v12, s9, v10
	v_add_u32_e32 v14, s9, v12
	v_ashrrev_i32_e32 v13, 31, v12
	v_ashrrev_i32_e32 v15, 31, v14
	v_lshl_add_u64 v[10:11], v[12:13], 3, s[0:1]
	v_lshl_add_u64 v[12:13], v[14:15], 3, s[0:1]
	global_load_dwordx2 v[18:19], v[10:11], off
	global_load_dwordx2 v[20:21], v[12:13], off
	s_waitcnt vmcnt(0)
	scratch_store_dwordx4 off, v[18:21], off offset:32
	s_nop 1
	v_add_u32_e32 v18, s9, v14
	v_add_u32_e32 v20, s9, v18
	v_ashrrev_i32_e32 v19, 31, v18
	v_ashrrev_i32_e32 v21, 31, v20
	v_lshl_add_u64 v[14:15], v[18:19], 3, s[0:1]
	v_lshl_add_u64 v[18:19], v[20:21], 3, s[0:1]
	global_load_dwordx2 v[22:23], v[14:15], off
	global_load_dwordx2 v[24:25], v[18:19], off
	s_waitcnt vmcnt(0)
	scratch_store_dwordx4 off, v[22:25], off offset:48
	s_nop 1
	v_add_u32_e32 v22, s9, v20
	v_add_u32_e32 v24, s9, v22
	v_ashrrev_i32_e32 v23, 31, v22
	v_ashrrev_i32_e32 v25, 31, v24
	v_lshl_add_u64 v[20:21], v[22:23], 3, s[0:1]
	v_lshl_add_u64 v[22:23], v[24:25], 3, s[0:1]
	global_load_dwordx2 v[26:27], v[20:21], off
	global_load_dwordx2 v[28:29], v[22:23], off
	s_waitcnt vmcnt(0)
	scratch_store_dwordx4 off, v[26:29], off offset:64
	s_nop 1
	v_add_u32_e32 v26, s9, v24
	v_add_u32_e32 v28, s9, v26
	v_ashrrev_i32_e32 v27, 31, v26
	v_ashrrev_i32_e32 v29, 31, v28
	v_lshl_add_u64 v[24:25], v[26:27], 3, s[0:1]
	v_lshl_add_u64 v[26:27], v[28:29], 3, s[0:1]
	global_load_dwordx2 v[30:31], v[24:25], off
	global_load_dwordx2 v[32:33], v[26:27], off
	s_waitcnt vmcnt(0)
	scratch_store_dwordx4 off, v[30:33], off offset:80
	s_nop 1
	v_add_u32_e32 v30, s9, v28
	v_add_u32_e32 v32, s9, v30
	v_ashrrev_i32_e32 v31, 31, v30
	v_ashrrev_i32_e32 v33, 31, v32
	v_lshl_add_u64 v[28:29], v[30:31], 3, s[0:1]
	v_lshl_add_u64 v[30:31], v[32:33], 3, s[0:1]
	global_load_dwordx2 v[34:35], v[28:29], off
	global_load_dwordx2 v[36:37], v[30:31], off
	s_waitcnt vmcnt(0)
	scratch_store_dwordx4 off, v[34:37], off offset:96
	s_nop 1
	v_add_u32_e32 v34, s9, v32
	v_add_u32_e32 v36, s9, v34
	v_ashrrev_i32_e32 v35, 31, v34
	v_ashrrev_i32_e32 v37, 31, v36
	v_lshl_add_u64 v[32:33], v[34:35], 3, s[0:1]
	v_lshl_add_u64 v[34:35], v[36:37], 3, s[0:1]
	global_load_dwordx2 v[38:39], v[32:33], off
	global_load_dwordx2 v[40:41], v[34:35], off
	s_waitcnt vmcnt(0)
	scratch_store_dwordx4 off, v[38:41], off offset:112
	s_nop 1
	v_add_u32_e32 v38, s9, v36
	v_add_u32_e32 v40, s9, v38
	v_ashrrev_i32_e32 v39, 31, v38
	v_ashrrev_i32_e32 v41, 31, v40
	v_lshl_add_u64 v[36:37], v[38:39], 3, s[0:1]
	v_lshl_add_u64 v[38:39], v[40:41], 3, s[0:1]
	global_load_dwordx2 v[42:43], v[36:37], off
	global_load_dwordx2 v[44:45], v[38:39], off
	s_waitcnt vmcnt(0)
	scratch_store_dwordx4 off, v[42:45], off offset:128
	s_nop 1
	v_add_u32_e32 v42, s9, v40
	v_add_u32_e32 v44, s9, v42
	v_ashrrev_i32_e32 v43, 31, v42
	v_ashrrev_i32_e32 v45, 31, v44
	v_lshl_add_u64 v[40:41], v[42:43], 3, s[0:1]
	v_lshl_add_u64 v[42:43], v[44:45], 3, s[0:1]
	global_load_dwordx2 v[46:47], v[40:41], off
	global_load_dwordx2 v[48:49], v[42:43], off
	s_waitcnt vmcnt(0)
	scratch_store_dwordx4 off, v[46:49], off offset:144
	s_nop 1
	v_add_u32_e32 v46, s9, v44
	v_add_u32_e32 v48, s9, v46
	v_ashrrev_i32_e32 v47, 31, v46
	v_ashrrev_i32_e32 v49, 31, v48
	v_lshl_add_u64 v[44:45], v[46:47], 3, s[0:1]
	v_lshl_add_u64 v[46:47], v[48:49], 3, s[0:1]
	global_load_dwordx2 v[50:51], v[44:45], off
	global_load_dwordx2 v[52:53], v[46:47], off
	s_waitcnt vmcnt(0)
	scratch_store_dwordx4 off, v[50:53], off offset:160
	s_nop 1
	v_add_u32_e32 v50, s9, v48
	v_add_u32_e32 v52, s9, v50
	v_ashrrev_i32_e32 v51, 31, v50
	v_ashrrev_i32_e32 v53, 31, v52
	v_lshl_add_u64 v[48:49], v[50:51], 3, s[0:1]
	v_lshl_add_u64 v[50:51], v[52:53], 3, s[0:1]
	global_load_dwordx2 v[54:55], v[48:49], off
	global_load_dwordx2 v[56:57], v[50:51], off
	s_waitcnt vmcnt(0)
	scratch_store_dwordx4 off, v[54:57], off offset:176
	s_nop 1
	v_add_u32_e32 v54, s9, v52
	v_add_u32_e32 v56, s9, v54
	v_ashrrev_i32_e32 v55, 31, v54
	v_ashrrev_i32_e32 v57, 31, v56
	v_lshl_add_u64 v[52:53], v[54:55], 3, s[0:1]
	v_lshl_add_u64 v[54:55], v[56:57], 3, s[0:1]
	global_load_dwordx2 v[58:59], v[52:53], off
	global_load_dwordx2 v[60:61], v[54:55], off
	s_waitcnt vmcnt(0)
	scratch_store_dwordx4 off, v[58:61], off offset:192
	s_nop 1
	v_add_u32_e32 v58, s9, v56
	v_add_u32_e32 v60, s9, v58
	v_ashrrev_i32_e32 v59, 31, v58
	v_ashrrev_i32_e32 v61, 31, v60
	v_lshl_add_u64 v[56:57], v[58:59], 3, s[0:1]
	v_lshl_add_u64 v[58:59], v[60:61], 3, s[0:1]
	global_load_dwordx2 v[62:63], v[56:57], off
	global_load_dwordx2 v[64:65], v[58:59], off
	s_waitcnt vmcnt(0)
	scratch_store_dwordx4 off, v[62:65], off offset:208
	s_nop 1
	v_add_u32_e32 v62, s9, v60
	v_add_u32_e32 v64, s9, v62
	v_ashrrev_i32_e32 v63, 31, v62
	v_ashrrev_i32_e32 v65, 31, v64
	v_lshl_add_u64 v[60:61], v[62:63], 3, s[0:1]
	v_lshl_add_u64 v[62:63], v[64:65], 3, s[0:1]
	global_load_dwordx2 v[66:67], v[60:61], off
	global_load_dwordx2 v[68:69], v[62:63], off
	s_waitcnt vmcnt(0)
	scratch_store_dwordx4 off, v[66:69], off offset:224
	s_nop 1
	v_add_u32_e32 v66, s9, v64
	v_add_u32_e32 v68, s9, v66
	v_ashrrev_i32_e32 v67, 31, v66
	v_ashrrev_i32_e32 v69, 31, v68
	v_lshl_add_u64 v[64:65], v[66:67], 3, s[0:1]
	v_lshl_add_u64 v[66:67], v[68:69], 3, s[0:1]
	global_load_dwordx2 v[70:71], v[64:65], off
	global_load_dwordx2 v[72:73], v[66:67], off
	s_waitcnt vmcnt(0)
	scratch_store_dwordx4 off, v[70:73], off offset:240
	s_nop 1
	v_add_u32_e32 v70, s9, v68
	v_add_u32_e32 v72, s9, v70
	v_ashrrev_i32_e32 v71, 31, v70
	v_ashrrev_i32_e32 v73, 31, v72
	v_lshl_add_u64 v[68:69], v[70:71], 3, s[0:1]
	v_lshl_add_u64 v[70:71], v[72:73], 3, s[0:1]
	global_load_dwordx2 v[74:75], v[68:69], off
	global_load_dwordx2 v[76:77], v[70:71], off
	s_waitcnt vmcnt(0)
	scratch_store_dwordx4 off, v[74:77], off offset:256
	s_nop 1
	v_add_u32_e32 v74, s9, v72
	v_add_u32_e32 v76, s9, v74
	v_ashrrev_i32_e32 v75, 31, v74
	v_ashrrev_i32_e32 v77, 31, v76
	v_lshl_add_u64 v[72:73], v[74:75], 3, s[0:1]
	v_lshl_add_u64 v[74:75], v[76:77], 3, s[0:1]
	global_load_dwordx2 v[78:79], v[72:73], off
	global_load_dwordx2 v[80:81], v[74:75], off
	s_waitcnt vmcnt(0)
	scratch_store_dwordx4 off, v[78:81], off offset:272
	s_nop 1
	v_add_u32_e32 v78, s9, v76
	v_add_u32_e32 v80, s9, v78
	v_ashrrev_i32_e32 v79, 31, v78
	v_ashrrev_i32_e32 v81, 31, v80
	v_lshl_add_u64 v[76:77], v[78:79], 3, s[0:1]
	v_lshl_add_u64 v[78:79], v[80:81], 3, s[0:1]
	global_load_dwordx2 v[82:83], v[76:77], off
	global_load_dwordx2 v[84:85], v[78:79], off
	s_waitcnt vmcnt(0)
	scratch_store_dwordx4 off, v[82:85], off offset:288
	s_nop 1
	v_add_u32_e32 v82, s9, v80
	v_add_u32_e32 v84, s9, v82
	v_ashrrev_i32_e32 v83, 31, v82
	v_ashrrev_i32_e32 v85, 31, v84
	v_lshl_add_u64 v[80:81], v[82:83], 3, s[0:1]
	v_lshl_add_u64 v[82:83], v[84:85], 3, s[0:1]
	global_load_dwordx2 v[86:87], v[80:81], off
	global_load_dwordx2 v[88:89], v[82:83], off
	s_waitcnt vmcnt(0)
	scratch_store_dwordx4 off, v[86:89], off offset:304
	s_nop 1
	v_add_u32_e32 v86, s9, v84
	v_add_u32_e32 v88, s9, v86
	v_ashrrev_i32_e32 v87, 31, v86
	v_ashrrev_i32_e32 v89, 31, v88
	v_lshl_add_u64 v[84:85], v[86:87], 3, s[0:1]
	v_lshl_add_u64 v[86:87], v[88:89], 3, s[0:1]
	global_load_dwordx2 v[90:91], v[84:85], off
	global_load_dwordx2 v[92:93], v[86:87], off
	s_waitcnt vmcnt(0)
	scratch_store_dwordx4 off, v[90:93], off offset:320
	s_nop 1
	v_add_u32_e32 v90, s9, v88
	v_add_u32_e32 v92, s9, v90
	v_ashrrev_i32_e32 v91, 31, v90
	v_ashrrev_i32_e32 v93, 31, v92
	v_lshl_add_u64 v[88:89], v[90:91], 3, s[0:1]
	v_lshl_add_u64 v[90:91], v[92:93], 3, s[0:1]
	global_load_dwordx2 v[94:95], v[88:89], off
	global_load_dwordx2 v[96:97], v[90:91], off
	s_waitcnt vmcnt(0)
	scratch_store_dwordx4 off, v[94:97], off offset:336
	s_nop 1
	v_add_u32_e32 v94, s9, v92
	v_add_u32_e32 v96, s9, v94
	v_ashrrev_i32_e32 v95, 31, v94
	v_ashrrev_i32_e32 v97, 31, v96
	v_lshl_add_u64 v[92:93], v[94:95], 3, s[0:1]
	v_lshl_add_u64 v[94:95], v[96:97], 3, s[0:1]
	global_load_dwordx2 v[98:99], v[92:93], off
	global_load_dwordx2 v[100:101], v[94:95], off
	s_waitcnt vmcnt(0)
	scratch_store_dwordx4 off, v[98:101], off offset:352
	s_nop 1
	v_add_u32_e32 v98, s9, v96
	v_add_u32_e32 v100, s9, v98
	v_ashrrev_i32_e32 v99, 31, v98
	v_ashrrev_i32_e32 v101, 31, v100
	v_lshl_add_u64 v[96:97], v[98:99], 3, s[0:1]
	v_lshl_add_u64 v[98:99], v[100:101], 3, s[0:1]
	global_load_dwordx2 v[102:103], v[96:97], off
	global_load_dwordx2 v[104:105], v[98:99], off
	s_waitcnt vmcnt(0)
	scratch_store_dwordx4 off, v[102:105], off offset:368
	s_nop 1
	v_add_u32_e32 v102, s9, v100
	v_add_u32_e32 v104, s9, v102
	v_ashrrev_i32_e32 v103, 31, v102
	v_ashrrev_i32_e32 v105, 31, v104
	v_lshl_add_u64 v[100:101], v[102:103], 3, s[0:1]
	v_lshl_add_u64 v[102:103], v[104:105], 3, s[0:1]
	global_load_dwordx2 v[106:107], v[100:101], off
	global_load_dwordx2 v[108:109], v[102:103], off
	s_waitcnt vmcnt(0)
	scratch_store_dwordx4 off, v[106:109], off offset:384
	s_nop 1
	v_add_u32_e32 v106, s9, v104
	v_ashrrev_i32_e32 v107, 31, v106
	v_lshl_add_u64 v[104:105], v[106:107], 3, s[0:1]
	v_add_u32_e32 v106, s9, v106
	v_ashrrev_i32_e32 v107, 31, v106
	v_lshl_add_u64 v[108:109], v[106:107], 3, s[0:1]
	global_load_dwordx2 v[110:111], v[104:105], off
	global_load_dwordx2 v[112:113], v[108:109], off
	v_add_u32_e32 v106, s9, v106
	v_ashrrev_i32_e32 v107, 31, v106
	s_waitcnt vmcnt(0)
	scratch_store_dwordx4 off, v[110:113], off offset:400
	s_nop 1
	v_lshl_add_u64 v[110:111], v[106:107], 3, s[0:1]
	v_add_u32_e32 v106, s9, v106
	v_ashrrev_i32_e32 v107, 31, v106
	v_lshl_add_u64 v[114:115], v[106:107], 3, s[0:1]
	global_load_dwordx2 v[116:117], v[110:111], off
	global_load_dwordx2 v[118:119], v[114:115], off
	v_add_u32_e32 v106, s9, v106
	v_ashrrev_i32_e32 v107, 31, v106
	s_waitcnt vmcnt(0)
	scratch_store_dwordx4 off, v[116:119], off offset:416
	s_nop 1
	;; [unrolled: 11-line block ×4, first 2 shown]
	v_lshl_add_u64 v[124:125], v[106:107], 3, s[0:1]
	v_add_u32_e32 v106, s9, v106
	v_ashrrev_i32_e32 v107, 31, v106
	v_lshl_add_u64 v[126:127], v[106:107], 3, s[0:1]
	global_load_dwordx2 v[128:129], v[124:125], off
	global_load_dwordx2 v[130:131], v[126:127], off
	v_add_u32_e32 v112, s9, v106
	v_ashrrev_i32_e32 v113, 31, v112
	v_lshl_add_u64 v[106:107], v[112:113], 3, s[0:1]
	v_add_u32_e32 v112, s9, v112
	v_ashrrev_i32_e32 v113, 31, v112
	v_lshl_add_u64 v[112:113], v[112:113], 3, s[0:1]
	s_waitcnt vmcnt(0)
	scratch_store_dwordx4 off, v[128:131], off offset:464
	global_load_dwordx2 v[128:129], v[106:107], off
	s_nop 0
	global_load_dwordx2 v[130:131], v[112:113], off
	s_waitcnt vmcnt(0)
	scratch_store_dwordx4 off, v[128:131], off offset:480
	s_nop 1
	v_mov_b64_e32 v[128:129], -1.0
	s_cbranch_scc1 .LBB61_3
; %bb.2:
	scratch_load_dwordx2 v[128:129], v16, off
	s_waitcnt vmcnt(0)
	v_div_scale_f64 v[130:131], s[0:1], v[128:129], v[128:129], 1.0
	v_rcp_f64_e32 v[132:133], v[130:131]
	v_div_scale_f64 v[134:135], vcc, 1.0, v[128:129], 1.0
	v_fma_f64 v[136:137], -v[130:131], v[132:133], 1.0
	v_fmac_f64_e32 v[132:133], v[132:133], v[136:137]
	v_fma_f64 v[136:137], -v[130:131], v[132:133], 1.0
	v_fmac_f64_e32 v[132:133], v[132:133], v[136:137]
	v_mul_f64 v[136:137], v[134:135], v[132:133]
	v_fma_f64 v[130:131], -v[130:131], v[136:137], v[134:135]
	v_div_fmas_f64 v[130:131], v[130:131], v[132:133], v[136:137]
	v_div_fixup_f64 v[128:129], v[130:131], v[128:129], 1.0
	scratch_store_dwordx2 v16, v[128:129], off
	v_xor_b32_e32 v129, 0x80000000, v129
.LBB61_3:
	s_cmpk_eq_i32 s4, 0x79
	v_add_u32_e32 v1, 0x1f0, v16
	v_mov_b32_e32 v17, v16
	s_mov_b64 s[0:1], -1
	ds_write_b64 v16, v[128:129]
	s_cbranch_scc1 .LBB61_607
; %bb.4:
	scratch_load_dwordx2 v[128:129], off, off offset:480
	s_movk_i32 s8, 0x50
	s_movk_i32 s9, 0x60
	;; [unrolled: 1-line block ×25, first 2 shown]
	v_cmp_eq_u32_e64 s[0:1], 61, v0
	s_waitcnt vmcnt(0)
	ds_write_b64 v1, v[128:129]
	s_waitcnt lgkmcnt(0)
	; wave barrier
	s_and_saveexec_b64 s[2:3], s[0:1]
	s_cbranch_execz .LBB61_10
; %bb.5:
	s_and_b64 vcc, exec, s[6:7]
	s_cbranch_vccz .LBB61_7
; %bb.6:
	scratch_load_dwordx2 v[128:129], v17, off
	ds_read_b64 v[130:131], v1
	s_waitcnt vmcnt(0) lgkmcnt(0)
	v_mul_f64 v[128:129], v[128:129], v[130:131]
	s_cbranch_execz .LBB61_8
	s_branch .LBB61_9
.LBB61_7:
                                        ; implicit-def: $vgpr128_vgpr129
.LBB61_8:
	ds_read_b64 v[128:129], v1
.LBB61_9:
	v_mov_b32_e32 v130, 0
	ds_read_b64 v[130:131], v130 offset:480
	s_waitcnt lgkmcnt(0)
	v_mul_f64 v[128:129], v[128:129], v[130:131]
	scratch_store_dwordx2 off, v[128:129], off offset:480
.LBB61_10:
	s_or_b64 exec, exec, s[2:3]
	scratch_load_dwordx2 v[128:129], off, off offset:472
	s_mov_b32 s10, 16
	s_mov_b32 s11, 32
	;; [unrolled: 1-line block ×6, first 2 shown]
	v_cmp_lt_u32_e64 s[2:3], 59, v0
	s_waitcnt vmcnt(0)
	ds_write_b64 v1, v[128:129]
	s_waitcnt lgkmcnt(0)
	; wave barrier
	s_and_saveexec_b64 s[4:5], s[2:3]
	s_cbranch_execz .LBB61_16
; %bb.11:
	s_andn2_b64 vcc, exec, s[6:7]
	s_cbranch_vccnz .LBB61_13
; %bb.12:
	scratch_load_dwordx2 v[128:129], v17, off
	ds_read_b64 v[130:131], v1
	s_waitcnt vmcnt(0) lgkmcnt(0)
	v_mul_f64 v[128:129], v[128:129], v[130:131]
	s_cbranch_execz .LBB61_14
	s_branch .LBB61_15
.LBB61_13:
                                        ; implicit-def: $vgpr128_vgpr129
.LBB61_14:
	ds_read_b64 v[128:129], v1
.LBB61_15:
	scratch_load_dwordx2 v[134:135], off, off offset:480
	v_mov_b32_e32 v130, 0
	ds_read2_b64 v[130:133], v130 offset0:59 offset1:122
	s_waitcnt vmcnt(0) lgkmcnt(0)
	v_fma_f64 v[132:133], v[134:135], v[132:133], v[128:129]
	v_cndmask_b32_e64 v129, v129, v133, s[0:1]
	v_cndmask_b32_e64 v128, v128, v132, s[0:1]
	v_mul_f64 v[128:129], v[128:129], v[130:131]
	scratch_store_dwordx2 off, v[128:129], off offset:472
.LBB61_16:
	s_or_b64 exec, exec, s[4:5]
	scratch_load_dwordx2 v[128:129], off, off offset:464
	v_cmp_lt_u32_e64 s[0:1], 58, v0
	s_waitcnt vmcnt(0)
	ds_write_b64 v1, v[128:129]
	s_waitcnt lgkmcnt(0)
	; wave barrier
	s_and_saveexec_b64 s[4:5], s[0:1]
	s_cbranch_execz .LBB61_26
; %bb.17:
	s_andn2_b64 vcc, exec, s[6:7]
	s_cbranch_vccnz .LBB61_19
; %bb.18:
	scratch_load_dwordx2 v[128:129], v17, off
	ds_read_b64 v[130:131], v1
	s_waitcnt vmcnt(0) lgkmcnt(0)
	v_mul_f64 v[128:129], v[128:129], v[130:131]
	s_cbranch_execz .LBB61_20
	s_branch .LBB61_21
.LBB61_19:
                                        ; implicit-def: $vgpr128_vgpr129
.LBB61_20:
	ds_read_b64 v[128:129], v1
.LBB61_21:
	s_and_saveexec_b64 s[8:9], s[2:3]
	s_cbranch_execz .LBB61_25
; %bb.22:
	s_movk_i32 s40, 0x1d8
	v_subrev_u32_e32 v130, 59, v0
	s_movk_i32 s41, 0x3c8
	s_mov_b64 s[2:3], 0
.LBB61_23:                              ; =>This Inner Loop Header: Depth=1
	scratch_load_dwordx2 v[132:133], off, s40
	v_mov_b32_e32 v131, s41
	ds_read_b64 v[134:135], v131
	v_add_u32_e32 v130, -1, v130
	s_add_i32 s41, s41, 8
	s_add_i32 s40, s40, 8
	v_cmp_eq_u32_e32 vcc, 0, v130
	s_or_b64 s[2:3], vcc, s[2:3]
	s_waitcnt vmcnt(0) lgkmcnt(0)
	v_fmac_f64_e32 v[128:129], v[132:133], v[134:135]
	s_andn2_b64 exec, exec, s[2:3]
	s_cbranch_execnz .LBB61_23
; %bb.24:
	s_or_b64 exec, exec, s[2:3]
.LBB61_25:
	s_or_b64 exec, exec, s[8:9]
	v_mov_b32_e32 v130, 0
	ds_read_b64 v[130:131], v130 offset:464
	s_waitcnt lgkmcnt(0)
	v_mul_f64 v[128:129], v[128:129], v[130:131]
	scratch_store_dwordx2 off, v[128:129], off offset:464
.LBB61_26:
	s_or_b64 exec, exec, s[4:5]
	scratch_load_dwordx2 v[128:129], off, off offset:456
	v_cmp_lt_u32_e64 s[2:3], 57, v0
	s_waitcnt vmcnt(0)
	ds_write_b64 v1, v[128:129]
	s_waitcnt lgkmcnt(0)
	; wave barrier
	s_and_saveexec_b64 s[4:5], s[2:3]
	s_cbranch_execz .LBB61_36
; %bb.27:
	s_andn2_b64 vcc, exec, s[6:7]
	s_cbranch_vccnz .LBB61_29
; %bb.28:
	scratch_load_dwordx2 v[128:129], v17, off
	ds_read_b64 v[130:131], v1
	s_waitcnt vmcnt(0) lgkmcnt(0)
	v_mul_f64 v[128:129], v[128:129], v[130:131]
	s_cbranch_execz .LBB61_30
	s_branch .LBB61_31
.LBB61_29:
                                        ; implicit-def: $vgpr128_vgpr129
.LBB61_30:
	ds_read_b64 v[128:129], v1
.LBB61_31:
	s_and_saveexec_b64 s[8:9], s[0:1]
	s_cbranch_execz .LBB61_35
; %bb.32:
	v_subrev_u32_e32 v130, 58, v0
	s_movk_i32 s40, 0x3c0
	s_mov_b64 s[0:1], 0
.LBB61_33:                              ; =>This Inner Loop Header: Depth=1
	scratch_load_dwordx2 v[132:133], off, s39
	v_mov_b32_e32 v131, s40
	ds_read_b64 v[134:135], v131
	v_add_u32_e32 v130, -1, v130
	s_add_i32 s40, s40, 8
	s_add_i32 s39, s39, 8
	v_cmp_eq_u32_e32 vcc, 0, v130
	s_or_b64 s[0:1], vcc, s[0:1]
	s_waitcnt vmcnt(0) lgkmcnt(0)
	v_fmac_f64_e32 v[128:129], v[132:133], v[134:135]
	s_andn2_b64 exec, exec, s[0:1]
	s_cbranch_execnz .LBB61_33
; %bb.34:
	s_or_b64 exec, exec, s[0:1]
.LBB61_35:
	s_or_b64 exec, exec, s[8:9]
	v_mov_b32_e32 v130, 0
	ds_read_b64 v[130:131], v130 offset:456
	s_waitcnt lgkmcnt(0)
	v_mul_f64 v[128:129], v[128:129], v[130:131]
	scratch_store_dwordx2 off, v[128:129], off offset:456
.LBB61_36:
	s_or_b64 exec, exec, s[4:5]
	scratch_load_dwordx2 v[128:129], off, off offset:448
	v_cmp_lt_u32_e64 s[0:1], 56, v0
	s_waitcnt vmcnt(0)
	ds_write_b64 v1, v[128:129]
	s_waitcnt lgkmcnt(0)
	; wave barrier
	s_and_saveexec_b64 s[4:5], s[0:1]
	s_cbranch_execz .LBB61_46
; %bb.37:
	s_andn2_b64 vcc, exec, s[6:7]
	s_cbranch_vccnz .LBB61_39
; %bb.38:
	scratch_load_dwordx2 v[128:129], v17, off
	ds_read_b64 v[130:131], v1
	s_waitcnt vmcnt(0) lgkmcnt(0)
	v_mul_f64 v[128:129], v[128:129], v[130:131]
	s_cbranch_execz .LBB61_40
	s_branch .LBB61_41
.LBB61_39:
                                        ; implicit-def: $vgpr128_vgpr129
.LBB61_40:
	ds_read_b64 v[128:129], v1
.LBB61_41:
	s_and_saveexec_b64 s[8:9], s[2:3]
	s_cbranch_execz .LBB61_45
; %bb.42:
	s_movk_i32 s39, 0x1c8
	v_subrev_u32_e32 v130, 57, v0
	s_movk_i32 s40, 0x3b8
	s_mov_b64 s[2:3], 0
.LBB61_43:                              ; =>This Inner Loop Header: Depth=1
	scratch_load_dwordx2 v[132:133], off, s39
	v_mov_b32_e32 v131, s40
	ds_read_b64 v[134:135], v131
	v_add_u32_e32 v130, -1, v130
	s_add_i32 s40, s40, 8
	s_add_i32 s39, s39, 8
	v_cmp_eq_u32_e32 vcc, 0, v130
	s_or_b64 s[2:3], vcc, s[2:3]
	s_waitcnt vmcnt(0) lgkmcnt(0)
	v_fmac_f64_e32 v[128:129], v[132:133], v[134:135]
	s_andn2_b64 exec, exec, s[2:3]
	s_cbranch_execnz .LBB61_43
; %bb.44:
	s_or_b64 exec, exec, s[2:3]
.LBB61_45:
	s_or_b64 exec, exec, s[8:9]
	v_mov_b32_e32 v130, 0
	ds_read_b64 v[130:131], v130 offset:448
	s_waitcnt lgkmcnt(0)
	v_mul_f64 v[128:129], v[128:129], v[130:131]
	scratch_store_dwordx2 off, v[128:129], off offset:448
.LBB61_46:
	s_or_b64 exec, exec, s[4:5]
	scratch_load_dwordx2 v[128:129], off, off offset:440
	v_cmp_lt_u32_e64 s[2:3], 55, v0
	s_waitcnt vmcnt(0)
	ds_write_b64 v1, v[128:129]
	s_waitcnt lgkmcnt(0)
	; wave barrier
	s_and_saveexec_b64 s[4:5], s[2:3]
	s_cbranch_execz .LBB61_56
; %bb.47:
	s_andn2_b64 vcc, exec, s[6:7]
	s_cbranch_vccnz .LBB61_49
; %bb.48:
	scratch_load_dwordx2 v[128:129], v17, off
	ds_read_b64 v[130:131], v1
	s_waitcnt vmcnt(0) lgkmcnt(0)
	v_mul_f64 v[128:129], v[128:129], v[130:131]
	s_cbranch_execz .LBB61_50
	s_branch .LBB61_51
.LBB61_49:
                                        ; implicit-def: $vgpr128_vgpr129
.LBB61_50:
	ds_read_b64 v[128:129], v1
.LBB61_51:
	s_and_saveexec_b64 s[8:9], s[0:1]
	s_cbranch_execz .LBB61_55
; %bb.52:
	v_subrev_u32_e32 v130, 56, v0
	s_movk_i32 s39, 0x3b0
	s_mov_b64 s[0:1], 0
.LBB61_53:                              ; =>This Inner Loop Header: Depth=1
	scratch_load_dwordx2 v[132:133], off, s38
	v_mov_b32_e32 v131, s39
	ds_read_b64 v[134:135], v131
	v_add_u32_e32 v130, -1, v130
	s_add_i32 s39, s39, 8
	s_add_i32 s38, s38, 8
	v_cmp_eq_u32_e32 vcc, 0, v130
	s_or_b64 s[0:1], vcc, s[0:1]
	s_waitcnt vmcnt(0) lgkmcnt(0)
	v_fmac_f64_e32 v[128:129], v[132:133], v[134:135]
	s_andn2_b64 exec, exec, s[0:1]
	s_cbranch_execnz .LBB61_53
; %bb.54:
	s_or_b64 exec, exec, s[0:1]
.LBB61_55:
	s_or_b64 exec, exec, s[8:9]
	v_mov_b32_e32 v130, 0
	ds_read_b64 v[130:131], v130 offset:440
	s_waitcnt lgkmcnt(0)
	v_mul_f64 v[128:129], v[128:129], v[130:131]
	scratch_store_dwordx2 off, v[128:129], off offset:440
.LBB61_56:
	s_or_b64 exec, exec, s[4:5]
	scratch_load_dwordx2 v[128:129], off, off offset:432
	v_cmp_lt_u32_e64 s[0:1], 54, v0
	s_waitcnt vmcnt(0)
	ds_write_b64 v1, v[128:129]
	s_waitcnt lgkmcnt(0)
	; wave barrier
	s_and_saveexec_b64 s[4:5], s[0:1]
	s_cbranch_execz .LBB61_66
; %bb.57:
	s_andn2_b64 vcc, exec, s[6:7]
	s_cbranch_vccnz .LBB61_59
; %bb.58:
	scratch_load_dwordx2 v[128:129], v17, off
	ds_read_b64 v[130:131], v1
	s_waitcnt vmcnt(0) lgkmcnt(0)
	v_mul_f64 v[128:129], v[128:129], v[130:131]
	s_cbranch_execz .LBB61_60
	s_branch .LBB61_61
.LBB61_59:
                                        ; implicit-def: $vgpr128_vgpr129
.LBB61_60:
	ds_read_b64 v[128:129], v1
.LBB61_61:
	s_and_saveexec_b64 s[8:9], s[2:3]
	s_cbranch_execz .LBB61_65
; %bb.62:
	s_movk_i32 s38, 0x1b8
	v_subrev_u32_e32 v130, 55, v0
	s_movk_i32 s39, 0x3a8
	s_mov_b64 s[2:3], 0
.LBB61_63:                              ; =>This Inner Loop Header: Depth=1
	scratch_load_dwordx2 v[132:133], off, s38
	v_mov_b32_e32 v131, s39
	ds_read_b64 v[134:135], v131
	v_add_u32_e32 v130, -1, v130
	s_add_i32 s39, s39, 8
	s_add_i32 s38, s38, 8
	v_cmp_eq_u32_e32 vcc, 0, v130
	s_or_b64 s[2:3], vcc, s[2:3]
	s_waitcnt vmcnt(0) lgkmcnt(0)
	v_fmac_f64_e32 v[128:129], v[132:133], v[134:135]
	s_andn2_b64 exec, exec, s[2:3]
	s_cbranch_execnz .LBB61_63
; %bb.64:
	s_or_b64 exec, exec, s[2:3]
.LBB61_65:
	s_or_b64 exec, exec, s[8:9]
	v_mov_b32_e32 v130, 0
	ds_read_b64 v[130:131], v130 offset:432
	s_waitcnt lgkmcnt(0)
	v_mul_f64 v[128:129], v[128:129], v[130:131]
	scratch_store_dwordx2 off, v[128:129], off offset:432
.LBB61_66:
	s_or_b64 exec, exec, s[4:5]
	scratch_load_dwordx2 v[128:129], off, off offset:424
	v_cmp_lt_u32_e64 s[2:3], 53, v0
	s_waitcnt vmcnt(0)
	ds_write_b64 v1, v[128:129]
	s_waitcnt lgkmcnt(0)
	; wave barrier
	s_and_saveexec_b64 s[4:5], s[2:3]
	s_cbranch_execz .LBB61_76
; %bb.67:
	s_andn2_b64 vcc, exec, s[6:7]
	s_cbranch_vccnz .LBB61_69
; %bb.68:
	scratch_load_dwordx2 v[128:129], v17, off
	ds_read_b64 v[130:131], v1
	s_waitcnt vmcnt(0) lgkmcnt(0)
	v_mul_f64 v[128:129], v[128:129], v[130:131]
	s_cbranch_execz .LBB61_70
	s_branch .LBB61_71
.LBB61_69:
                                        ; implicit-def: $vgpr128_vgpr129
.LBB61_70:
	ds_read_b64 v[128:129], v1
.LBB61_71:
	s_and_saveexec_b64 s[8:9], s[0:1]
	s_cbranch_execz .LBB61_75
; %bb.72:
	v_subrev_u32_e32 v130, 54, v0
	s_movk_i32 s38, 0x3a0
	s_mov_b64 s[0:1], 0
.LBB61_73:                              ; =>This Inner Loop Header: Depth=1
	scratch_load_dwordx2 v[132:133], off, s37
	v_mov_b32_e32 v131, s38
	ds_read_b64 v[134:135], v131
	v_add_u32_e32 v130, -1, v130
	s_add_i32 s38, s38, 8
	s_add_i32 s37, s37, 8
	v_cmp_eq_u32_e32 vcc, 0, v130
	s_or_b64 s[0:1], vcc, s[0:1]
	s_waitcnt vmcnt(0) lgkmcnt(0)
	v_fmac_f64_e32 v[128:129], v[132:133], v[134:135]
	s_andn2_b64 exec, exec, s[0:1]
	s_cbranch_execnz .LBB61_73
; %bb.74:
	s_or_b64 exec, exec, s[0:1]
.LBB61_75:
	s_or_b64 exec, exec, s[8:9]
	v_mov_b32_e32 v130, 0
	ds_read_b64 v[130:131], v130 offset:424
	s_waitcnt lgkmcnt(0)
	v_mul_f64 v[128:129], v[128:129], v[130:131]
	scratch_store_dwordx2 off, v[128:129], off offset:424
.LBB61_76:
	s_or_b64 exec, exec, s[4:5]
	scratch_load_dwordx2 v[128:129], off, off offset:416
	v_cmp_lt_u32_e64 s[0:1], 52, v0
	s_waitcnt vmcnt(0)
	ds_write_b64 v1, v[128:129]
	s_waitcnt lgkmcnt(0)
	; wave barrier
	s_and_saveexec_b64 s[4:5], s[0:1]
	s_cbranch_execz .LBB61_86
; %bb.77:
	s_andn2_b64 vcc, exec, s[6:7]
	s_cbranch_vccnz .LBB61_79
; %bb.78:
	scratch_load_dwordx2 v[128:129], v17, off
	ds_read_b64 v[130:131], v1
	s_waitcnt vmcnt(0) lgkmcnt(0)
	v_mul_f64 v[128:129], v[128:129], v[130:131]
	s_cbranch_execz .LBB61_80
	s_branch .LBB61_81
.LBB61_79:
                                        ; implicit-def: $vgpr128_vgpr129
.LBB61_80:
	ds_read_b64 v[128:129], v1
.LBB61_81:
	s_and_saveexec_b64 s[8:9], s[2:3]
	s_cbranch_execz .LBB61_85
; %bb.82:
	s_movk_i32 s37, 0x1a8
	v_subrev_u32_e32 v130, 53, v0
	s_movk_i32 s38, 0x398
	s_mov_b64 s[2:3], 0
.LBB61_83:                              ; =>This Inner Loop Header: Depth=1
	scratch_load_dwordx2 v[132:133], off, s37
	v_mov_b32_e32 v131, s38
	ds_read_b64 v[134:135], v131
	v_add_u32_e32 v130, -1, v130
	s_add_i32 s38, s38, 8
	s_add_i32 s37, s37, 8
	v_cmp_eq_u32_e32 vcc, 0, v130
	s_or_b64 s[2:3], vcc, s[2:3]
	s_waitcnt vmcnt(0) lgkmcnt(0)
	v_fmac_f64_e32 v[128:129], v[132:133], v[134:135]
	s_andn2_b64 exec, exec, s[2:3]
	s_cbranch_execnz .LBB61_83
; %bb.84:
	s_or_b64 exec, exec, s[2:3]
.LBB61_85:
	s_or_b64 exec, exec, s[8:9]
	v_mov_b32_e32 v130, 0
	ds_read_b64 v[130:131], v130 offset:416
	s_waitcnt lgkmcnt(0)
	v_mul_f64 v[128:129], v[128:129], v[130:131]
	scratch_store_dwordx2 off, v[128:129], off offset:416
.LBB61_86:
	s_or_b64 exec, exec, s[4:5]
	scratch_load_dwordx2 v[128:129], off, off offset:408
	v_cmp_lt_u32_e64 s[2:3], 51, v0
	s_waitcnt vmcnt(0)
	ds_write_b64 v1, v[128:129]
	s_waitcnt lgkmcnt(0)
	; wave barrier
	s_and_saveexec_b64 s[4:5], s[2:3]
	s_cbranch_execz .LBB61_96
; %bb.87:
	s_andn2_b64 vcc, exec, s[6:7]
	s_cbranch_vccnz .LBB61_89
; %bb.88:
	scratch_load_dwordx2 v[128:129], v17, off
	ds_read_b64 v[130:131], v1
	s_waitcnt vmcnt(0) lgkmcnt(0)
	v_mul_f64 v[128:129], v[128:129], v[130:131]
	s_cbranch_execz .LBB61_90
	s_branch .LBB61_91
.LBB61_89:
                                        ; implicit-def: $vgpr128_vgpr129
.LBB61_90:
	ds_read_b64 v[128:129], v1
.LBB61_91:
	s_and_saveexec_b64 s[8:9], s[0:1]
	s_cbranch_execz .LBB61_95
; %bb.92:
	v_subrev_u32_e32 v130, 52, v0
	s_movk_i32 s37, 0x390
	s_mov_b64 s[0:1], 0
.LBB61_93:                              ; =>This Inner Loop Header: Depth=1
	scratch_load_dwordx2 v[132:133], off, s36
	v_mov_b32_e32 v131, s37
	ds_read_b64 v[134:135], v131
	v_add_u32_e32 v130, -1, v130
	s_add_i32 s37, s37, 8
	s_add_i32 s36, s36, 8
	v_cmp_eq_u32_e32 vcc, 0, v130
	s_or_b64 s[0:1], vcc, s[0:1]
	s_waitcnt vmcnt(0) lgkmcnt(0)
	v_fmac_f64_e32 v[128:129], v[132:133], v[134:135]
	s_andn2_b64 exec, exec, s[0:1]
	s_cbranch_execnz .LBB61_93
; %bb.94:
	s_or_b64 exec, exec, s[0:1]
.LBB61_95:
	s_or_b64 exec, exec, s[8:9]
	v_mov_b32_e32 v130, 0
	ds_read_b64 v[130:131], v130 offset:408
	s_waitcnt lgkmcnt(0)
	v_mul_f64 v[128:129], v[128:129], v[130:131]
	scratch_store_dwordx2 off, v[128:129], off offset:408
.LBB61_96:
	s_or_b64 exec, exec, s[4:5]
	scratch_load_dwordx2 v[128:129], off, off offset:400
	v_cmp_lt_u32_e64 s[0:1], 50, v0
	s_waitcnt vmcnt(0)
	ds_write_b64 v1, v[128:129]
	s_waitcnt lgkmcnt(0)
	; wave barrier
	s_and_saveexec_b64 s[4:5], s[0:1]
	s_cbranch_execz .LBB61_106
; %bb.97:
	s_andn2_b64 vcc, exec, s[6:7]
	s_cbranch_vccnz .LBB61_99
; %bb.98:
	scratch_load_dwordx2 v[128:129], v17, off
	ds_read_b64 v[130:131], v1
	s_waitcnt vmcnt(0) lgkmcnt(0)
	v_mul_f64 v[128:129], v[128:129], v[130:131]
	s_cbranch_execz .LBB61_100
	s_branch .LBB61_101
.LBB61_99:
                                        ; implicit-def: $vgpr128_vgpr129
.LBB61_100:
	ds_read_b64 v[128:129], v1
.LBB61_101:
	s_and_saveexec_b64 s[8:9], s[2:3]
	s_cbranch_execz .LBB61_105
; %bb.102:
	s_movk_i32 s36, 0x198
	v_subrev_u32_e32 v130, 51, v0
	s_movk_i32 s37, 0x388
	s_mov_b64 s[2:3], 0
.LBB61_103:                             ; =>This Inner Loop Header: Depth=1
	scratch_load_dwordx2 v[132:133], off, s36
	v_mov_b32_e32 v131, s37
	ds_read_b64 v[134:135], v131
	v_add_u32_e32 v130, -1, v130
	s_add_i32 s37, s37, 8
	s_add_i32 s36, s36, 8
	v_cmp_eq_u32_e32 vcc, 0, v130
	s_or_b64 s[2:3], vcc, s[2:3]
	s_waitcnt vmcnt(0) lgkmcnt(0)
	v_fmac_f64_e32 v[128:129], v[132:133], v[134:135]
	s_andn2_b64 exec, exec, s[2:3]
	s_cbranch_execnz .LBB61_103
; %bb.104:
	s_or_b64 exec, exec, s[2:3]
.LBB61_105:
	s_or_b64 exec, exec, s[8:9]
	v_mov_b32_e32 v130, 0
	ds_read_b64 v[130:131], v130 offset:400
	s_waitcnt lgkmcnt(0)
	v_mul_f64 v[128:129], v[128:129], v[130:131]
	scratch_store_dwordx2 off, v[128:129], off offset:400
.LBB61_106:
	s_or_b64 exec, exec, s[4:5]
	scratch_load_dwordx2 v[128:129], off, off offset:392
	v_cmp_lt_u32_e64 s[2:3], 49, v0
	s_waitcnt vmcnt(0)
	ds_write_b64 v1, v[128:129]
	s_waitcnt lgkmcnt(0)
	; wave barrier
	s_and_saveexec_b64 s[4:5], s[2:3]
	s_cbranch_execz .LBB61_116
; %bb.107:
	s_andn2_b64 vcc, exec, s[6:7]
	s_cbranch_vccnz .LBB61_109
; %bb.108:
	scratch_load_dwordx2 v[128:129], v17, off
	ds_read_b64 v[130:131], v1
	s_waitcnt vmcnt(0) lgkmcnt(0)
	v_mul_f64 v[128:129], v[128:129], v[130:131]
	s_cbranch_execz .LBB61_110
	s_branch .LBB61_111
.LBB61_109:
                                        ; implicit-def: $vgpr128_vgpr129
.LBB61_110:
	ds_read_b64 v[128:129], v1
.LBB61_111:
	s_and_saveexec_b64 s[8:9], s[0:1]
	s_cbranch_execz .LBB61_115
; %bb.112:
	v_subrev_u32_e32 v130, 50, v0
	s_movk_i32 s36, 0x380
	s_mov_b64 s[0:1], 0
.LBB61_113:                             ; =>This Inner Loop Header: Depth=1
	scratch_load_dwordx2 v[132:133], off, s35
	v_mov_b32_e32 v131, s36
	ds_read_b64 v[134:135], v131
	v_add_u32_e32 v130, -1, v130
	s_add_i32 s36, s36, 8
	s_add_i32 s35, s35, 8
	v_cmp_eq_u32_e32 vcc, 0, v130
	s_or_b64 s[0:1], vcc, s[0:1]
	s_waitcnt vmcnt(0) lgkmcnt(0)
	v_fmac_f64_e32 v[128:129], v[132:133], v[134:135]
	s_andn2_b64 exec, exec, s[0:1]
	s_cbranch_execnz .LBB61_113
; %bb.114:
	s_or_b64 exec, exec, s[0:1]
.LBB61_115:
	s_or_b64 exec, exec, s[8:9]
	v_mov_b32_e32 v130, 0
	ds_read_b64 v[130:131], v130 offset:392
	s_waitcnt lgkmcnt(0)
	v_mul_f64 v[128:129], v[128:129], v[130:131]
	scratch_store_dwordx2 off, v[128:129], off offset:392
.LBB61_116:
	s_or_b64 exec, exec, s[4:5]
	scratch_load_dwordx2 v[128:129], off, off offset:384
	v_cmp_lt_u32_e64 s[0:1], 48, v0
	s_waitcnt vmcnt(0)
	ds_write_b64 v1, v[128:129]
	s_waitcnt lgkmcnt(0)
	; wave barrier
	s_and_saveexec_b64 s[4:5], s[0:1]
	s_cbranch_execz .LBB61_126
; %bb.117:
	s_andn2_b64 vcc, exec, s[6:7]
	s_cbranch_vccnz .LBB61_119
; %bb.118:
	scratch_load_dwordx2 v[128:129], v17, off
	ds_read_b64 v[130:131], v1
	s_waitcnt vmcnt(0) lgkmcnt(0)
	v_mul_f64 v[128:129], v[128:129], v[130:131]
	s_cbranch_execz .LBB61_120
	s_branch .LBB61_121
.LBB61_119:
                                        ; implicit-def: $vgpr128_vgpr129
.LBB61_120:
	ds_read_b64 v[128:129], v1
.LBB61_121:
	s_and_saveexec_b64 s[8:9], s[2:3]
	s_cbranch_execz .LBB61_125
; %bb.122:
	s_movk_i32 s35, 0x188
	v_subrev_u32_e32 v130, 49, v0
	s_movk_i32 s36, 0x378
	s_mov_b64 s[2:3], 0
.LBB61_123:                             ; =>This Inner Loop Header: Depth=1
	scratch_load_dwordx2 v[132:133], off, s35
	v_mov_b32_e32 v131, s36
	ds_read_b64 v[134:135], v131
	v_add_u32_e32 v130, -1, v130
	s_add_i32 s36, s36, 8
	s_add_i32 s35, s35, 8
	v_cmp_eq_u32_e32 vcc, 0, v130
	s_or_b64 s[2:3], vcc, s[2:3]
	s_waitcnt vmcnt(0) lgkmcnt(0)
	v_fmac_f64_e32 v[128:129], v[132:133], v[134:135]
	s_andn2_b64 exec, exec, s[2:3]
	s_cbranch_execnz .LBB61_123
; %bb.124:
	s_or_b64 exec, exec, s[2:3]
.LBB61_125:
	s_or_b64 exec, exec, s[8:9]
	v_mov_b32_e32 v130, 0
	ds_read_b64 v[130:131], v130 offset:384
	s_waitcnt lgkmcnt(0)
	v_mul_f64 v[128:129], v[128:129], v[130:131]
	scratch_store_dwordx2 off, v[128:129], off offset:384
.LBB61_126:
	s_or_b64 exec, exec, s[4:5]
	scratch_load_dwordx2 v[128:129], off, off offset:376
	v_cmp_lt_u32_e64 s[2:3], 47, v0
	s_waitcnt vmcnt(0)
	ds_write_b64 v1, v[128:129]
	s_waitcnt lgkmcnt(0)
	; wave barrier
	s_and_saveexec_b64 s[4:5], s[2:3]
	s_cbranch_execz .LBB61_136
; %bb.127:
	s_andn2_b64 vcc, exec, s[6:7]
	s_cbranch_vccnz .LBB61_129
; %bb.128:
	scratch_load_dwordx2 v[128:129], v17, off
	ds_read_b64 v[130:131], v1
	s_waitcnt vmcnt(0) lgkmcnt(0)
	v_mul_f64 v[128:129], v[128:129], v[130:131]
	s_cbranch_execz .LBB61_130
	s_branch .LBB61_131
.LBB61_129:
                                        ; implicit-def: $vgpr128_vgpr129
.LBB61_130:
	ds_read_b64 v[128:129], v1
.LBB61_131:
	s_and_saveexec_b64 s[8:9], s[0:1]
	s_cbranch_execz .LBB61_135
; %bb.132:
	v_subrev_u32_e32 v130, 48, v0
	s_movk_i32 s35, 0x370
	s_mov_b64 s[0:1], 0
.LBB61_133:                             ; =>This Inner Loop Header: Depth=1
	scratch_load_dwordx2 v[132:133], off, s34
	v_mov_b32_e32 v131, s35
	ds_read_b64 v[134:135], v131
	v_add_u32_e32 v130, -1, v130
	s_add_i32 s35, s35, 8
	s_add_i32 s34, s34, 8
	v_cmp_eq_u32_e32 vcc, 0, v130
	s_or_b64 s[0:1], vcc, s[0:1]
	s_waitcnt vmcnt(0) lgkmcnt(0)
	v_fmac_f64_e32 v[128:129], v[132:133], v[134:135]
	s_andn2_b64 exec, exec, s[0:1]
	s_cbranch_execnz .LBB61_133
; %bb.134:
	s_or_b64 exec, exec, s[0:1]
.LBB61_135:
	s_or_b64 exec, exec, s[8:9]
	v_mov_b32_e32 v130, 0
	ds_read_b64 v[130:131], v130 offset:376
	s_waitcnt lgkmcnt(0)
	v_mul_f64 v[128:129], v[128:129], v[130:131]
	scratch_store_dwordx2 off, v[128:129], off offset:376
.LBB61_136:
	s_or_b64 exec, exec, s[4:5]
	scratch_load_dwordx2 v[128:129], off, off offset:368
	v_cmp_lt_u32_e64 s[0:1], 46, v0
	s_waitcnt vmcnt(0)
	ds_write_b64 v1, v[128:129]
	s_waitcnt lgkmcnt(0)
	; wave barrier
	s_and_saveexec_b64 s[4:5], s[0:1]
	s_cbranch_execz .LBB61_146
; %bb.137:
	s_andn2_b64 vcc, exec, s[6:7]
	s_cbranch_vccnz .LBB61_139
; %bb.138:
	scratch_load_dwordx2 v[128:129], v17, off
	ds_read_b64 v[130:131], v1
	s_waitcnt vmcnt(0) lgkmcnt(0)
	v_mul_f64 v[128:129], v[128:129], v[130:131]
	s_cbranch_execz .LBB61_140
	s_branch .LBB61_141
.LBB61_139:
                                        ; implicit-def: $vgpr128_vgpr129
.LBB61_140:
	ds_read_b64 v[128:129], v1
.LBB61_141:
	s_and_saveexec_b64 s[8:9], s[2:3]
	s_cbranch_execz .LBB61_145
; %bb.142:
	s_movk_i32 s34, 0x178
	v_subrev_u32_e32 v130, 47, v0
	s_movk_i32 s35, 0x368
	s_mov_b64 s[2:3], 0
.LBB61_143:                             ; =>This Inner Loop Header: Depth=1
	scratch_load_dwordx2 v[132:133], off, s34
	v_mov_b32_e32 v131, s35
	ds_read_b64 v[134:135], v131
	v_add_u32_e32 v130, -1, v130
	s_add_i32 s35, s35, 8
	s_add_i32 s34, s34, 8
	v_cmp_eq_u32_e32 vcc, 0, v130
	s_or_b64 s[2:3], vcc, s[2:3]
	s_waitcnt vmcnt(0) lgkmcnt(0)
	v_fmac_f64_e32 v[128:129], v[132:133], v[134:135]
	s_andn2_b64 exec, exec, s[2:3]
	s_cbranch_execnz .LBB61_143
; %bb.144:
	s_or_b64 exec, exec, s[2:3]
.LBB61_145:
	s_or_b64 exec, exec, s[8:9]
	v_mov_b32_e32 v130, 0
	ds_read_b64 v[130:131], v130 offset:368
	s_waitcnt lgkmcnt(0)
	v_mul_f64 v[128:129], v[128:129], v[130:131]
	scratch_store_dwordx2 off, v[128:129], off offset:368
.LBB61_146:
	s_or_b64 exec, exec, s[4:5]
	scratch_load_dwordx2 v[128:129], off, off offset:360
	v_cmp_lt_u32_e64 s[2:3], 45, v0
	s_waitcnt vmcnt(0)
	ds_write_b64 v1, v[128:129]
	s_waitcnt lgkmcnt(0)
	; wave barrier
	s_and_saveexec_b64 s[4:5], s[2:3]
	s_cbranch_execz .LBB61_156
; %bb.147:
	s_andn2_b64 vcc, exec, s[6:7]
	s_cbranch_vccnz .LBB61_149
; %bb.148:
	scratch_load_dwordx2 v[128:129], v17, off
	ds_read_b64 v[130:131], v1
	s_waitcnt vmcnt(0) lgkmcnt(0)
	v_mul_f64 v[128:129], v[128:129], v[130:131]
	s_cbranch_execz .LBB61_150
	s_branch .LBB61_151
.LBB61_149:
                                        ; implicit-def: $vgpr128_vgpr129
.LBB61_150:
	ds_read_b64 v[128:129], v1
.LBB61_151:
	s_and_saveexec_b64 s[8:9], s[0:1]
	s_cbranch_execz .LBB61_155
; %bb.152:
	v_subrev_u32_e32 v130, 46, v0
	s_movk_i32 s34, 0x360
	s_mov_b64 s[0:1], 0
.LBB61_153:                             ; =>This Inner Loop Header: Depth=1
	scratch_load_dwordx2 v[132:133], off, s33
	v_mov_b32_e32 v131, s34
	ds_read_b64 v[134:135], v131
	v_add_u32_e32 v130, -1, v130
	s_add_i32 s34, s34, 8
	s_add_i32 s33, s33, 8
	v_cmp_eq_u32_e32 vcc, 0, v130
	s_or_b64 s[0:1], vcc, s[0:1]
	s_waitcnt vmcnt(0) lgkmcnt(0)
	v_fmac_f64_e32 v[128:129], v[132:133], v[134:135]
	s_andn2_b64 exec, exec, s[0:1]
	s_cbranch_execnz .LBB61_153
; %bb.154:
	s_or_b64 exec, exec, s[0:1]
.LBB61_155:
	s_or_b64 exec, exec, s[8:9]
	v_mov_b32_e32 v130, 0
	ds_read_b64 v[130:131], v130 offset:360
	s_waitcnt lgkmcnt(0)
	v_mul_f64 v[128:129], v[128:129], v[130:131]
	scratch_store_dwordx2 off, v[128:129], off offset:360
.LBB61_156:
	s_or_b64 exec, exec, s[4:5]
	scratch_load_dwordx2 v[128:129], off, off offset:352
	v_cmp_lt_u32_e64 s[0:1], 44, v0
	s_waitcnt vmcnt(0)
	ds_write_b64 v1, v[128:129]
	s_waitcnt lgkmcnt(0)
	; wave barrier
	s_and_saveexec_b64 s[4:5], s[0:1]
	s_cbranch_execz .LBB61_166
; %bb.157:
	s_andn2_b64 vcc, exec, s[6:7]
	s_cbranch_vccnz .LBB61_159
; %bb.158:
	scratch_load_dwordx2 v[128:129], v17, off
	ds_read_b64 v[130:131], v1
	s_waitcnt vmcnt(0) lgkmcnt(0)
	v_mul_f64 v[128:129], v[128:129], v[130:131]
	s_cbranch_execz .LBB61_160
	s_branch .LBB61_161
.LBB61_159:
                                        ; implicit-def: $vgpr128_vgpr129
.LBB61_160:
	ds_read_b64 v[128:129], v1
.LBB61_161:
	s_and_saveexec_b64 s[8:9], s[2:3]
	s_cbranch_execz .LBB61_165
; %bb.162:
	s_movk_i32 s33, 0x168
	v_subrev_u32_e32 v130, 45, v0
	s_movk_i32 s34, 0x358
	s_mov_b64 s[2:3], 0
.LBB61_163:                             ; =>This Inner Loop Header: Depth=1
	scratch_load_dwordx2 v[132:133], off, s33
	v_mov_b32_e32 v131, s34
	ds_read_b64 v[134:135], v131
	v_add_u32_e32 v130, -1, v130
	s_add_i32 s34, s34, 8
	s_add_i32 s33, s33, 8
	v_cmp_eq_u32_e32 vcc, 0, v130
	s_or_b64 s[2:3], vcc, s[2:3]
	s_waitcnt vmcnt(0) lgkmcnt(0)
	v_fmac_f64_e32 v[128:129], v[132:133], v[134:135]
	s_andn2_b64 exec, exec, s[2:3]
	s_cbranch_execnz .LBB61_163
; %bb.164:
	s_or_b64 exec, exec, s[2:3]
.LBB61_165:
	s_or_b64 exec, exec, s[8:9]
	v_mov_b32_e32 v130, 0
	ds_read_b64 v[130:131], v130 offset:352
	s_waitcnt lgkmcnt(0)
	v_mul_f64 v[128:129], v[128:129], v[130:131]
	scratch_store_dwordx2 off, v[128:129], off offset:352
.LBB61_166:
	s_or_b64 exec, exec, s[4:5]
	scratch_load_dwordx2 v[128:129], off, off offset:344
	v_cmp_lt_u32_e64 s[2:3], 43, v0
	s_waitcnt vmcnt(0)
	ds_write_b64 v1, v[128:129]
	s_waitcnt lgkmcnt(0)
	; wave barrier
	s_and_saveexec_b64 s[4:5], s[2:3]
	s_cbranch_execz .LBB61_176
; %bb.167:
	s_andn2_b64 vcc, exec, s[6:7]
	s_cbranch_vccnz .LBB61_169
; %bb.168:
	scratch_load_dwordx2 v[128:129], v17, off
	ds_read_b64 v[130:131], v1
	s_waitcnt vmcnt(0) lgkmcnt(0)
	v_mul_f64 v[128:129], v[128:129], v[130:131]
	s_cbranch_execz .LBB61_170
	s_branch .LBB61_171
.LBB61_169:
                                        ; implicit-def: $vgpr128_vgpr129
.LBB61_170:
	ds_read_b64 v[128:129], v1
.LBB61_171:
	s_and_saveexec_b64 s[8:9], s[0:1]
	s_cbranch_execz .LBB61_175
; %bb.172:
	v_subrev_u32_e32 v130, 44, v0
	s_movk_i32 s33, 0x350
	s_mov_b64 s[0:1], 0
.LBB61_173:                             ; =>This Inner Loop Header: Depth=1
	scratch_load_dwordx2 v[132:133], off, s31
	v_mov_b32_e32 v131, s33
	ds_read_b64 v[134:135], v131
	v_add_u32_e32 v130, -1, v130
	s_add_i32 s33, s33, 8
	s_add_i32 s31, s31, 8
	v_cmp_eq_u32_e32 vcc, 0, v130
	s_or_b64 s[0:1], vcc, s[0:1]
	s_waitcnt vmcnt(0) lgkmcnt(0)
	v_fmac_f64_e32 v[128:129], v[132:133], v[134:135]
	s_andn2_b64 exec, exec, s[0:1]
	s_cbranch_execnz .LBB61_173
; %bb.174:
	s_or_b64 exec, exec, s[0:1]
.LBB61_175:
	s_or_b64 exec, exec, s[8:9]
	v_mov_b32_e32 v130, 0
	ds_read_b64 v[130:131], v130 offset:344
	s_waitcnt lgkmcnt(0)
	v_mul_f64 v[128:129], v[128:129], v[130:131]
	scratch_store_dwordx2 off, v[128:129], off offset:344
.LBB61_176:
	s_or_b64 exec, exec, s[4:5]
	scratch_load_dwordx2 v[128:129], off, off offset:336
	v_cmp_lt_u32_e64 s[0:1], 42, v0
	s_waitcnt vmcnt(0)
	ds_write_b64 v1, v[128:129]
	s_waitcnt lgkmcnt(0)
	; wave barrier
	s_and_saveexec_b64 s[4:5], s[0:1]
	s_cbranch_execz .LBB61_186
; %bb.177:
	s_andn2_b64 vcc, exec, s[6:7]
	s_cbranch_vccnz .LBB61_179
; %bb.178:
	scratch_load_dwordx2 v[128:129], v17, off
	ds_read_b64 v[130:131], v1
	s_waitcnt vmcnt(0) lgkmcnt(0)
	v_mul_f64 v[128:129], v[128:129], v[130:131]
	s_cbranch_execz .LBB61_180
	s_branch .LBB61_181
.LBB61_179:
                                        ; implicit-def: $vgpr128_vgpr129
.LBB61_180:
	ds_read_b64 v[128:129], v1
.LBB61_181:
	s_and_saveexec_b64 s[8:9], s[2:3]
	s_cbranch_execz .LBB61_185
; %bb.182:
	s_movk_i32 s31, 0x158
	v_subrev_u32_e32 v130, 43, v0
	s_movk_i32 s33, 0x348
	s_mov_b64 s[2:3], 0
.LBB61_183:                             ; =>This Inner Loop Header: Depth=1
	scratch_load_dwordx2 v[132:133], off, s31
	v_mov_b32_e32 v131, s33
	ds_read_b64 v[134:135], v131
	v_add_u32_e32 v130, -1, v130
	s_add_i32 s33, s33, 8
	s_add_i32 s31, s31, 8
	v_cmp_eq_u32_e32 vcc, 0, v130
	s_or_b64 s[2:3], vcc, s[2:3]
	s_waitcnt vmcnt(0) lgkmcnt(0)
	v_fmac_f64_e32 v[128:129], v[132:133], v[134:135]
	s_andn2_b64 exec, exec, s[2:3]
	s_cbranch_execnz .LBB61_183
; %bb.184:
	s_or_b64 exec, exec, s[2:3]
.LBB61_185:
	s_or_b64 exec, exec, s[8:9]
	v_mov_b32_e32 v130, 0
	ds_read_b64 v[130:131], v130 offset:336
	s_waitcnt lgkmcnt(0)
	v_mul_f64 v[128:129], v[128:129], v[130:131]
	scratch_store_dwordx2 off, v[128:129], off offset:336
.LBB61_186:
	s_or_b64 exec, exec, s[4:5]
	scratch_load_dwordx2 v[128:129], off, off offset:328
	v_cmp_lt_u32_e64 s[2:3], 41, v0
	s_waitcnt vmcnt(0)
	ds_write_b64 v1, v[128:129]
	s_waitcnt lgkmcnt(0)
	; wave barrier
	s_and_saveexec_b64 s[4:5], s[2:3]
	s_cbranch_execz .LBB61_196
; %bb.187:
	s_andn2_b64 vcc, exec, s[6:7]
	s_cbranch_vccnz .LBB61_189
; %bb.188:
	scratch_load_dwordx2 v[128:129], v17, off
	ds_read_b64 v[130:131], v1
	s_waitcnt vmcnt(0) lgkmcnt(0)
	v_mul_f64 v[128:129], v[128:129], v[130:131]
	s_cbranch_execz .LBB61_190
	s_branch .LBB61_191
.LBB61_189:
                                        ; implicit-def: $vgpr128_vgpr129
.LBB61_190:
	ds_read_b64 v[128:129], v1
.LBB61_191:
	s_and_saveexec_b64 s[8:9], s[0:1]
	s_cbranch_execz .LBB61_195
; %bb.192:
	v_subrev_u32_e32 v130, 42, v0
	s_movk_i32 s31, 0x340
	s_mov_b64 s[0:1], 0
.LBB61_193:                             ; =>This Inner Loop Header: Depth=1
	scratch_load_dwordx2 v[132:133], off, s30
	v_mov_b32_e32 v131, s31
	ds_read_b64 v[134:135], v131
	v_add_u32_e32 v130, -1, v130
	s_add_i32 s31, s31, 8
	s_add_i32 s30, s30, 8
	v_cmp_eq_u32_e32 vcc, 0, v130
	s_or_b64 s[0:1], vcc, s[0:1]
	s_waitcnt vmcnt(0) lgkmcnt(0)
	v_fmac_f64_e32 v[128:129], v[132:133], v[134:135]
	s_andn2_b64 exec, exec, s[0:1]
	s_cbranch_execnz .LBB61_193
; %bb.194:
	s_or_b64 exec, exec, s[0:1]
.LBB61_195:
	s_or_b64 exec, exec, s[8:9]
	v_mov_b32_e32 v130, 0
	ds_read_b64 v[130:131], v130 offset:328
	s_waitcnt lgkmcnt(0)
	v_mul_f64 v[128:129], v[128:129], v[130:131]
	scratch_store_dwordx2 off, v[128:129], off offset:328
.LBB61_196:
	s_or_b64 exec, exec, s[4:5]
	scratch_load_dwordx2 v[128:129], off, off offset:320
	v_cmp_lt_u32_e64 s[0:1], 40, v0
	s_waitcnt vmcnt(0)
	ds_write_b64 v1, v[128:129]
	s_waitcnt lgkmcnt(0)
	; wave barrier
	s_and_saveexec_b64 s[4:5], s[0:1]
	s_cbranch_execz .LBB61_206
; %bb.197:
	s_andn2_b64 vcc, exec, s[6:7]
	s_cbranch_vccnz .LBB61_199
; %bb.198:
	scratch_load_dwordx2 v[128:129], v17, off
	ds_read_b64 v[130:131], v1
	s_waitcnt vmcnt(0) lgkmcnt(0)
	v_mul_f64 v[128:129], v[128:129], v[130:131]
	s_cbranch_execz .LBB61_200
	s_branch .LBB61_201
.LBB61_199:
                                        ; implicit-def: $vgpr128_vgpr129
.LBB61_200:
	ds_read_b64 v[128:129], v1
.LBB61_201:
	s_and_saveexec_b64 s[8:9], s[2:3]
	s_cbranch_execz .LBB61_205
; %bb.202:
	s_movk_i32 s30, 0x148
	v_subrev_u32_e32 v130, 41, v0
	s_movk_i32 s31, 0x338
	s_mov_b64 s[2:3], 0
.LBB61_203:                             ; =>This Inner Loop Header: Depth=1
	scratch_load_dwordx2 v[132:133], off, s30
	v_mov_b32_e32 v131, s31
	ds_read_b64 v[134:135], v131
	v_add_u32_e32 v130, -1, v130
	s_add_i32 s31, s31, 8
	s_add_i32 s30, s30, 8
	v_cmp_eq_u32_e32 vcc, 0, v130
	s_or_b64 s[2:3], vcc, s[2:3]
	s_waitcnt vmcnt(0) lgkmcnt(0)
	v_fmac_f64_e32 v[128:129], v[132:133], v[134:135]
	s_andn2_b64 exec, exec, s[2:3]
	s_cbranch_execnz .LBB61_203
; %bb.204:
	s_or_b64 exec, exec, s[2:3]
.LBB61_205:
	s_or_b64 exec, exec, s[8:9]
	v_mov_b32_e32 v130, 0
	ds_read_b64 v[130:131], v130 offset:320
	s_waitcnt lgkmcnt(0)
	v_mul_f64 v[128:129], v[128:129], v[130:131]
	scratch_store_dwordx2 off, v[128:129], off offset:320
.LBB61_206:
	s_or_b64 exec, exec, s[4:5]
	scratch_load_dwordx2 v[128:129], off, off offset:312
	v_cmp_lt_u32_e64 s[2:3], 39, v0
	s_waitcnt vmcnt(0)
	ds_write_b64 v1, v[128:129]
	s_waitcnt lgkmcnt(0)
	; wave barrier
	s_and_saveexec_b64 s[4:5], s[2:3]
	s_cbranch_execz .LBB61_216
; %bb.207:
	s_andn2_b64 vcc, exec, s[6:7]
	s_cbranch_vccnz .LBB61_209
; %bb.208:
	scratch_load_dwordx2 v[128:129], v17, off
	ds_read_b64 v[130:131], v1
	s_waitcnt vmcnt(0) lgkmcnt(0)
	v_mul_f64 v[128:129], v[128:129], v[130:131]
	s_cbranch_execz .LBB61_210
	s_branch .LBB61_211
.LBB61_209:
                                        ; implicit-def: $vgpr128_vgpr129
.LBB61_210:
	ds_read_b64 v[128:129], v1
.LBB61_211:
	s_and_saveexec_b64 s[8:9], s[0:1]
	s_cbranch_execz .LBB61_215
; %bb.212:
	v_subrev_u32_e32 v130, 40, v0
	s_movk_i32 s30, 0x330
	s_mov_b64 s[0:1], 0
.LBB61_213:                             ; =>This Inner Loop Header: Depth=1
	scratch_load_dwordx2 v[132:133], off, s29
	v_mov_b32_e32 v131, s30
	ds_read_b64 v[134:135], v131
	v_add_u32_e32 v130, -1, v130
	s_add_i32 s30, s30, 8
	s_add_i32 s29, s29, 8
	v_cmp_eq_u32_e32 vcc, 0, v130
	s_or_b64 s[0:1], vcc, s[0:1]
	s_waitcnt vmcnt(0) lgkmcnt(0)
	v_fmac_f64_e32 v[128:129], v[132:133], v[134:135]
	s_andn2_b64 exec, exec, s[0:1]
	s_cbranch_execnz .LBB61_213
; %bb.214:
	s_or_b64 exec, exec, s[0:1]
.LBB61_215:
	s_or_b64 exec, exec, s[8:9]
	v_mov_b32_e32 v130, 0
	ds_read_b64 v[130:131], v130 offset:312
	s_waitcnt lgkmcnt(0)
	v_mul_f64 v[128:129], v[128:129], v[130:131]
	scratch_store_dwordx2 off, v[128:129], off offset:312
.LBB61_216:
	s_or_b64 exec, exec, s[4:5]
	scratch_load_dwordx2 v[128:129], off, off offset:304
	v_cmp_lt_u32_e64 s[0:1], 38, v0
	s_waitcnt vmcnt(0)
	ds_write_b64 v1, v[128:129]
	s_waitcnt lgkmcnt(0)
	; wave barrier
	s_and_saveexec_b64 s[4:5], s[0:1]
	s_cbranch_execz .LBB61_226
; %bb.217:
	s_andn2_b64 vcc, exec, s[6:7]
	s_cbranch_vccnz .LBB61_219
; %bb.218:
	scratch_load_dwordx2 v[128:129], v17, off
	ds_read_b64 v[130:131], v1
	s_waitcnt vmcnt(0) lgkmcnt(0)
	v_mul_f64 v[128:129], v[128:129], v[130:131]
	s_cbranch_execz .LBB61_220
	s_branch .LBB61_221
.LBB61_219:
                                        ; implicit-def: $vgpr128_vgpr129
.LBB61_220:
	ds_read_b64 v[128:129], v1
.LBB61_221:
	s_and_saveexec_b64 s[8:9], s[2:3]
	s_cbranch_execz .LBB61_225
; %bb.222:
	s_movk_i32 s29, 0x138
	v_subrev_u32_e32 v130, 39, v0
	s_movk_i32 s30, 0x328
	s_mov_b64 s[2:3], 0
.LBB61_223:                             ; =>This Inner Loop Header: Depth=1
	scratch_load_dwordx2 v[132:133], off, s29
	v_mov_b32_e32 v131, s30
	ds_read_b64 v[134:135], v131
	v_add_u32_e32 v130, -1, v130
	s_add_i32 s30, s30, 8
	s_add_i32 s29, s29, 8
	v_cmp_eq_u32_e32 vcc, 0, v130
	s_or_b64 s[2:3], vcc, s[2:3]
	s_waitcnt vmcnt(0) lgkmcnt(0)
	v_fmac_f64_e32 v[128:129], v[132:133], v[134:135]
	s_andn2_b64 exec, exec, s[2:3]
	s_cbranch_execnz .LBB61_223
; %bb.224:
	s_or_b64 exec, exec, s[2:3]
.LBB61_225:
	s_or_b64 exec, exec, s[8:9]
	v_mov_b32_e32 v130, 0
	ds_read_b64 v[130:131], v130 offset:304
	s_waitcnt lgkmcnt(0)
	v_mul_f64 v[128:129], v[128:129], v[130:131]
	scratch_store_dwordx2 off, v[128:129], off offset:304
.LBB61_226:
	s_or_b64 exec, exec, s[4:5]
	scratch_load_dwordx2 v[128:129], off, off offset:296
	v_cmp_lt_u32_e64 s[2:3], 37, v0
	s_waitcnt vmcnt(0)
	ds_write_b64 v1, v[128:129]
	s_waitcnt lgkmcnt(0)
	; wave barrier
	s_and_saveexec_b64 s[4:5], s[2:3]
	s_cbranch_execz .LBB61_236
; %bb.227:
	s_andn2_b64 vcc, exec, s[6:7]
	s_cbranch_vccnz .LBB61_229
; %bb.228:
	scratch_load_dwordx2 v[128:129], v17, off
	ds_read_b64 v[130:131], v1
	s_waitcnt vmcnt(0) lgkmcnt(0)
	v_mul_f64 v[128:129], v[128:129], v[130:131]
	s_cbranch_execz .LBB61_230
	s_branch .LBB61_231
.LBB61_229:
                                        ; implicit-def: $vgpr128_vgpr129
.LBB61_230:
	ds_read_b64 v[128:129], v1
.LBB61_231:
	s_and_saveexec_b64 s[8:9], s[0:1]
	s_cbranch_execz .LBB61_235
; %bb.232:
	v_subrev_u32_e32 v130, 38, v0
	s_movk_i32 s29, 0x320
	s_mov_b64 s[0:1], 0
.LBB61_233:                             ; =>This Inner Loop Header: Depth=1
	scratch_load_dwordx2 v[132:133], off, s28
	v_mov_b32_e32 v131, s29
	ds_read_b64 v[134:135], v131
	v_add_u32_e32 v130, -1, v130
	s_add_i32 s29, s29, 8
	s_add_i32 s28, s28, 8
	v_cmp_eq_u32_e32 vcc, 0, v130
	s_or_b64 s[0:1], vcc, s[0:1]
	s_waitcnt vmcnt(0) lgkmcnt(0)
	v_fmac_f64_e32 v[128:129], v[132:133], v[134:135]
	s_andn2_b64 exec, exec, s[0:1]
	s_cbranch_execnz .LBB61_233
; %bb.234:
	s_or_b64 exec, exec, s[0:1]
.LBB61_235:
	s_or_b64 exec, exec, s[8:9]
	v_mov_b32_e32 v130, 0
	ds_read_b64 v[130:131], v130 offset:296
	s_waitcnt lgkmcnt(0)
	v_mul_f64 v[128:129], v[128:129], v[130:131]
	scratch_store_dwordx2 off, v[128:129], off offset:296
.LBB61_236:
	s_or_b64 exec, exec, s[4:5]
	scratch_load_dwordx2 v[128:129], off, off offset:288
	v_cmp_lt_u32_e64 s[0:1], 36, v0
	s_waitcnt vmcnt(0)
	ds_write_b64 v1, v[128:129]
	s_waitcnt lgkmcnt(0)
	; wave barrier
	s_and_saveexec_b64 s[4:5], s[0:1]
	s_cbranch_execz .LBB61_246
; %bb.237:
	s_andn2_b64 vcc, exec, s[6:7]
	s_cbranch_vccnz .LBB61_239
; %bb.238:
	scratch_load_dwordx2 v[128:129], v17, off
	ds_read_b64 v[130:131], v1
	s_waitcnt vmcnt(0) lgkmcnt(0)
	v_mul_f64 v[128:129], v[128:129], v[130:131]
	s_cbranch_execz .LBB61_240
	s_branch .LBB61_241
.LBB61_239:
                                        ; implicit-def: $vgpr128_vgpr129
.LBB61_240:
	ds_read_b64 v[128:129], v1
.LBB61_241:
	s_and_saveexec_b64 s[8:9], s[2:3]
	s_cbranch_execz .LBB61_245
; %bb.242:
	s_movk_i32 s28, 0x128
	v_subrev_u32_e32 v130, 37, v0
	s_movk_i32 s29, 0x318
	s_mov_b64 s[2:3], 0
.LBB61_243:                             ; =>This Inner Loop Header: Depth=1
	scratch_load_dwordx2 v[132:133], off, s28
	v_mov_b32_e32 v131, s29
	ds_read_b64 v[134:135], v131
	v_add_u32_e32 v130, -1, v130
	s_add_i32 s29, s29, 8
	s_add_i32 s28, s28, 8
	v_cmp_eq_u32_e32 vcc, 0, v130
	s_or_b64 s[2:3], vcc, s[2:3]
	s_waitcnt vmcnt(0) lgkmcnt(0)
	v_fmac_f64_e32 v[128:129], v[132:133], v[134:135]
	s_andn2_b64 exec, exec, s[2:3]
	s_cbranch_execnz .LBB61_243
; %bb.244:
	s_or_b64 exec, exec, s[2:3]
.LBB61_245:
	s_or_b64 exec, exec, s[8:9]
	v_mov_b32_e32 v130, 0
	ds_read_b64 v[130:131], v130 offset:288
	s_waitcnt lgkmcnt(0)
	v_mul_f64 v[128:129], v[128:129], v[130:131]
	scratch_store_dwordx2 off, v[128:129], off offset:288
.LBB61_246:
	s_or_b64 exec, exec, s[4:5]
	scratch_load_dwordx2 v[128:129], off, off offset:280
	v_cmp_lt_u32_e64 s[2:3], 35, v0
	s_waitcnt vmcnt(0)
	ds_write_b64 v1, v[128:129]
	s_waitcnt lgkmcnt(0)
	; wave barrier
	s_and_saveexec_b64 s[4:5], s[2:3]
	s_cbranch_execz .LBB61_256
; %bb.247:
	s_andn2_b64 vcc, exec, s[6:7]
	s_cbranch_vccnz .LBB61_249
; %bb.248:
	scratch_load_dwordx2 v[128:129], v17, off
	ds_read_b64 v[130:131], v1
	s_waitcnt vmcnt(0) lgkmcnt(0)
	v_mul_f64 v[128:129], v[128:129], v[130:131]
	s_cbranch_execz .LBB61_250
	s_branch .LBB61_251
.LBB61_249:
                                        ; implicit-def: $vgpr128_vgpr129
.LBB61_250:
	ds_read_b64 v[128:129], v1
.LBB61_251:
	s_and_saveexec_b64 s[8:9], s[0:1]
	s_cbranch_execz .LBB61_255
; %bb.252:
	v_subrev_u32_e32 v130, 36, v0
	s_movk_i32 s28, 0x310
	s_mov_b64 s[0:1], 0
.LBB61_253:                             ; =>This Inner Loop Header: Depth=1
	scratch_load_dwordx2 v[132:133], off, s27
	v_mov_b32_e32 v131, s28
	ds_read_b64 v[134:135], v131
	v_add_u32_e32 v130, -1, v130
	s_add_i32 s28, s28, 8
	s_add_i32 s27, s27, 8
	v_cmp_eq_u32_e32 vcc, 0, v130
	s_or_b64 s[0:1], vcc, s[0:1]
	s_waitcnt vmcnt(0) lgkmcnt(0)
	v_fmac_f64_e32 v[128:129], v[132:133], v[134:135]
	s_andn2_b64 exec, exec, s[0:1]
	s_cbranch_execnz .LBB61_253
; %bb.254:
	s_or_b64 exec, exec, s[0:1]
.LBB61_255:
	s_or_b64 exec, exec, s[8:9]
	v_mov_b32_e32 v130, 0
	ds_read_b64 v[130:131], v130 offset:280
	s_waitcnt lgkmcnt(0)
	v_mul_f64 v[128:129], v[128:129], v[130:131]
	scratch_store_dwordx2 off, v[128:129], off offset:280
.LBB61_256:
	s_or_b64 exec, exec, s[4:5]
	scratch_load_dwordx2 v[128:129], off, off offset:272
	v_cmp_lt_u32_e64 s[0:1], 34, v0
	s_waitcnt vmcnt(0)
	ds_write_b64 v1, v[128:129]
	s_waitcnt lgkmcnt(0)
	; wave barrier
	s_and_saveexec_b64 s[4:5], s[0:1]
	s_cbranch_execz .LBB61_266
; %bb.257:
	s_andn2_b64 vcc, exec, s[6:7]
	s_cbranch_vccnz .LBB61_259
; %bb.258:
	scratch_load_dwordx2 v[128:129], v17, off
	ds_read_b64 v[130:131], v1
	s_waitcnt vmcnt(0) lgkmcnt(0)
	v_mul_f64 v[128:129], v[128:129], v[130:131]
	s_cbranch_execz .LBB61_260
	s_branch .LBB61_261
.LBB61_259:
                                        ; implicit-def: $vgpr128_vgpr129
.LBB61_260:
	ds_read_b64 v[128:129], v1
.LBB61_261:
	s_and_saveexec_b64 s[8:9], s[2:3]
	s_cbranch_execz .LBB61_265
; %bb.262:
	s_movk_i32 s27, 0x118
	v_subrev_u32_e32 v130, 35, v0
	s_movk_i32 s28, 0x308
	s_mov_b64 s[2:3], 0
.LBB61_263:                             ; =>This Inner Loop Header: Depth=1
	scratch_load_dwordx2 v[132:133], off, s27
	v_mov_b32_e32 v131, s28
	ds_read_b64 v[134:135], v131
	v_add_u32_e32 v130, -1, v130
	s_add_i32 s28, s28, 8
	s_add_i32 s27, s27, 8
	v_cmp_eq_u32_e32 vcc, 0, v130
	s_or_b64 s[2:3], vcc, s[2:3]
	s_waitcnt vmcnt(0) lgkmcnt(0)
	v_fmac_f64_e32 v[128:129], v[132:133], v[134:135]
	s_andn2_b64 exec, exec, s[2:3]
	s_cbranch_execnz .LBB61_263
; %bb.264:
	s_or_b64 exec, exec, s[2:3]
.LBB61_265:
	s_or_b64 exec, exec, s[8:9]
	v_mov_b32_e32 v130, 0
	ds_read_b64 v[130:131], v130 offset:272
	s_waitcnt lgkmcnt(0)
	v_mul_f64 v[128:129], v[128:129], v[130:131]
	scratch_store_dwordx2 off, v[128:129], off offset:272
.LBB61_266:
	s_or_b64 exec, exec, s[4:5]
	scratch_load_dwordx2 v[128:129], off, off offset:264
	v_cmp_lt_u32_e64 s[2:3], 33, v0
	s_waitcnt vmcnt(0)
	ds_write_b64 v1, v[128:129]
	s_waitcnt lgkmcnt(0)
	; wave barrier
	s_and_saveexec_b64 s[4:5], s[2:3]
	s_cbranch_execz .LBB61_276
; %bb.267:
	s_andn2_b64 vcc, exec, s[6:7]
	s_cbranch_vccnz .LBB61_269
; %bb.268:
	scratch_load_dwordx2 v[128:129], v17, off
	ds_read_b64 v[130:131], v1
	s_waitcnt vmcnt(0) lgkmcnt(0)
	v_mul_f64 v[128:129], v[128:129], v[130:131]
	s_cbranch_execz .LBB61_270
	s_branch .LBB61_271
.LBB61_269:
                                        ; implicit-def: $vgpr128_vgpr129
.LBB61_270:
	ds_read_b64 v[128:129], v1
.LBB61_271:
	s_and_saveexec_b64 s[8:9], s[0:1]
	s_cbranch_execz .LBB61_275
; %bb.272:
	v_subrev_u32_e32 v130, 34, v0
	s_movk_i32 s27, 0x300
	s_mov_b64 s[0:1], 0
.LBB61_273:                             ; =>This Inner Loop Header: Depth=1
	scratch_load_dwordx2 v[132:133], off, s26
	v_mov_b32_e32 v131, s27
	ds_read_b64 v[134:135], v131
	v_add_u32_e32 v130, -1, v130
	s_add_i32 s27, s27, 8
	s_add_i32 s26, s26, 8
	v_cmp_eq_u32_e32 vcc, 0, v130
	s_or_b64 s[0:1], vcc, s[0:1]
	s_waitcnt vmcnt(0) lgkmcnt(0)
	v_fmac_f64_e32 v[128:129], v[132:133], v[134:135]
	s_andn2_b64 exec, exec, s[0:1]
	s_cbranch_execnz .LBB61_273
; %bb.274:
	s_or_b64 exec, exec, s[0:1]
.LBB61_275:
	s_or_b64 exec, exec, s[8:9]
	v_mov_b32_e32 v130, 0
	ds_read_b64 v[130:131], v130 offset:264
	s_waitcnt lgkmcnt(0)
	v_mul_f64 v[128:129], v[128:129], v[130:131]
	scratch_store_dwordx2 off, v[128:129], off offset:264
.LBB61_276:
	s_or_b64 exec, exec, s[4:5]
	scratch_load_dwordx2 v[128:129], off, off offset:256
	v_cmp_lt_u32_e64 s[0:1], 32, v0
	s_waitcnt vmcnt(0)
	ds_write_b64 v1, v[128:129]
	s_waitcnt lgkmcnt(0)
	; wave barrier
	s_and_saveexec_b64 s[4:5], s[0:1]
	s_cbranch_execz .LBB61_286
; %bb.277:
	s_andn2_b64 vcc, exec, s[6:7]
	s_cbranch_vccnz .LBB61_279
; %bb.278:
	scratch_load_dwordx2 v[128:129], v17, off
	ds_read_b64 v[130:131], v1
	s_waitcnt vmcnt(0) lgkmcnt(0)
	v_mul_f64 v[128:129], v[128:129], v[130:131]
	s_cbranch_execz .LBB61_280
	s_branch .LBB61_281
.LBB61_279:
                                        ; implicit-def: $vgpr128_vgpr129
.LBB61_280:
	ds_read_b64 v[128:129], v1
.LBB61_281:
	s_and_saveexec_b64 s[8:9], s[2:3]
	s_cbranch_execz .LBB61_285
; %bb.282:
	s_movk_i32 s26, 0x108
	v_subrev_u32_e32 v130, 33, v0
	s_movk_i32 s27, 0x2f8
	s_mov_b64 s[2:3], 0
.LBB61_283:                             ; =>This Inner Loop Header: Depth=1
	scratch_load_dwordx2 v[132:133], off, s26
	v_mov_b32_e32 v131, s27
	ds_read_b64 v[134:135], v131
	v_add_u32_e32 v130, -1, v130
	s_add_i32 s27, s27, 8
	s_add_i32 s26, s26, 8
	v_cmp_eq_u32_e32 vcc, 0, v130
	s_or_b64 s[2:3], vcc, s[2:3]
	s_waitcnt vmcnt(0) lgkmcnt(0)
	v_fmac_f64_e32 v[128:129], v[132:133], v[134:135]
	s_andn2_b64 exec, exec, s[2:3]
	s_cbranch_execnz .LBB61_283
; %bb.284:
	s_or_b64 exec, exec, s[2:3]
.LBB61_285:
	s_or_b64 exec, exec, s[8:9]
	v_mov_b32_e32 v130, 0
	ds_read_b64 v[130:131], v130 offset:256
	s_waitcnt lgkmcnt(0)
	v_mul_f64 v[128:129], v[128:129], v[130:131]
	scratch_store_dwordx2 off, v[128:129], off offset:256
.LBB61_286:
	s_or_b64 exec, exec, s[4:5]
	scratch_load_dwordx2 v[128:129], off, off offset:248
	v_cmp_lt_u32_e64 s[2:3], 31, v0
	s_waitcnt vmcnt(0)
	ds_write_b64 v1, v[128:129]
	s_waitcnt lgkmcnt(0)
	; wave barrier
	s_and_saveexec_b64 s[4:5], s[2:3]
	s_cbranch_execz .LBB61_296
; %bb.287:
	s_andn2_b64 vcc, exec, s[6:7]
	s_cbranch_vccnz .LBB61_289
; %bb.288:
	scratch_load_dwordx2 v[128:129], v17, off
	ds_read_b64 v[130:131], v1
	s_waitcnt vmcnt(0) lgkmcnt(0)
	v_mul_f64 v[128:129], v[128:129], v[130:131]
	s_cbranch_execz .LBB61_290
	s_branch .LBB61_291
.LBB61_289:
                                        ; implicit-def: $vgpr128_vgpr129
.LBB61_290:
	ds_read_b64 v[128:129], v1
.LBB61_291:
	s_and_saveexec_b64 s[8:9], s[0:1]
	s_cbranch_execz .LBB61_295
; %bb.292:
	v_subrev_u32_e32 v130, 32, v0
	s_movk_i32 s26, 0x2f0
	s_mov_b64 s[0:1], 0
.LBB61_293:                             ; =>This Inner Loop Header: Depth=1
	scratch_load_dwordx2 v[132:133], off, s25
	v_mov_b32_e32 v131, s26
	ds_read_b64 v[134:135], v131
	v_add_u32_e32 v130, -1, v130
	s_add_i32 s26, s26, 8
	s_add_i32 s25, s25, 8
	v_cmp_eq_u32_e32 vcc, 0, v130
	s_or_b64 s[0:1], vcc, s[0:1]
	s_waitcnt vmcnt(0) lgkmcnt(0)
	v_fmac_f64_e32 v[128:129], v[132:133], v[134:135]
	s_andn2_b64 exec, exec, s[0:1]
	s_cbranch_execnz .LBB61_293
; %bb.294:
	s_or_b64 exec, exec, s[0:1]
.LBB61_295:
	s_or_b64 exec, exec, s[8:9]
	v_mov_b32_e32 v130, 0
	ds_read_b64 v[130:131], v130 offset:248
	s_waitcnt lgkmcnt(0)
	v_mul_f64 v[128:129], v[128:129], v[130:131]
	scratch_store_dwordx2 off, v[128:129], off offset:248
.LBB61_296:
	s_or_b64 exec, exec, s[4:5]
	scratch_load_dwordx2 v[128:129], off, off offset:240
	v_cmp_lt_u32_e64 s[0:1], 30, v0
	s_waitcnt vmcnt(0)
	ds_write_b64 v1, v[128:129]
	s_waitcnt lgkmcnt(0)
	; wave barrier
	s_and_saveexec_b64 s[4:5], s[0:1]
	s_cbranch_execz .LBB61_306
; %bb.297:
	s_andn2_b64 vcc, exec, s[6:7]
	s_cbranch_vccnz .LBB61_299
; %bb.298:
	scratch_load_dwordx2 v[128:129], v17, off
	ds_read_b64 v[130:131], v1
	s_waitcnt vmcnt(0) lgkmcnt(0)
	v_mul_f64 v[128:129], v[128:129], v[130:131]
	s_cbranch_execz .LBB61_300
	s_branch .LBB61_301
.LBB61_299:
                                        ; implicit-def: $vgpr128_vgpr129
.LBB61_300:
	ds_read_b64 v[128:129], v1
.LBB61_301:
	s_and_saveexec_b64 s[8:9], s[2:3]
	s_cbranch_execz .LBB61_305
; %bb.302:
	s_movk_i32 s25, 0xf8
	v_subrev_u32_e32 v130, 31, v0
	s_movk_i32 s26, 0x2e8
	s_mov_b64 s[2:3], 0
.LBB61_303:                             ; =>This Inner Loop Header: Depth=1
	scratch_load_dwordx2 v[132:133], off, s25
	v_mov_b32_e32 v131, s26
	ds_read_b64 v[134:135], v131
	v_add_u32_e32 v130, -1, v130
	s_add_i32 s26, s26, 8
	s_add_i32 s25, s25, 8
	v_cmp_eq_u32_e32 vcc, 0, v130
	s_or_b64 s[2:3], vcc, s[2:3]
	s_waitcnt vmcnt(0) lgkmcnt(0)
	v_fmac_f64_e32 v[128:129], v[132:133], v[134:135]
	s_andn2_b64 exec, exec, s[2:3]
	s_cbranch_execnz .LBB61_303
; %bb.304:
	s_or_b64 exec, exec, s[2:3]
.LBB61_305:
	s_or_b64 exec, exec, s[8:9]
	v_mov_b32_e32 v130, 0
	ds_read_b64 v[130:131], v130 offset:240
	s_waitcnt lgkmcnt(0)
	v_mul_f64 v[128:129], v[128:129], v[130:131]
	scratch_store_dwordx2 off, v[128:129], off offset:240
.LBB61_306:
	s_or_b64 exec, exec, s[4:5]
	scratch_load_dwordx2 v[128:129], off, off offset:232
	v_cmp_lt_u32_e64 s[2:3], 29, v0
	s_waitcnt vmcnt(0)
	ds_write_b64 v1, v[128:129]
	s_waitcnt lgkmcnt(0)
	; wave barrier
	s_and_saveexec_b64 s[4:5], s[2:3]
	s_cbranch_execz .LBB61_316
; %bb.307:
	s_andn2_b64 vcc, exec, s[6:7]
	s_cbranch_vccnz .LBB61_309
; %bb.308:
	scratch_load_dwordx2 v[128:129], v17, off
	ds_read_b64 v[130:131], v1
	s_waitcnt vmcnt(0) lgkmcnt(0)
	v_mul_f64 v[128:129], v[128:129], v[130:131]
	s_cbranch_execz .LBB61_310
	s_branch .LBB61_311
.LBB61_309:
                                        ; implicit-def: $vgpr128_vgpr129
.LBB61_310:
	ds_read_b64 v[128:129], v1
.LBB61_311:
	s_and_saveexec_b64 s[8:9], s[0:1]
	s_cbranch_execz .LBB61_315
; %bb.312:
	v_subrev_u32_e32 v130, 30, v0
	s_movk_i32 s25, 0x2e0
	s_mov_b64 s[0:1], 0
.LBB61_313:                             ; =>This Inner Loop Header: Depth=1
	scratch_load_dwordx2 v[132:133], off, s24
	v_mov_b32_e32 v131, s25
	ds_read_b64 v[134:135], v131
	v_add_u32_e32 v130, -1, v130
	s_add_i32 s25, s25, 8
	s_add_i32 s24, s24, 8
	v_cmp_eq_u32_e32 vcc, 0, v130
	s_or_b64 s[0:1], vcc, s[0:1]
	s_waitcnt vmcnt(0) lgkmcnt(0)
	v_fmac_f64_e32 v[128:129], v[132:133], v[134:135]
	s_andn2_b64 exec, exec, s[0:1]
	s_cbranch_execnz .LBB61_313
; %bb.314:
	s_or_b64 exec, exec, s[0:1]
.LBB61_315:
	s_or_b64 exec, exec, s[8:9]
	v_mov_b32_e32 v130, 0
	ds_read_b64 v[130:131], v130 offset:232
	s_waitcnt lgkmcnt(0)
	v_mul_f64 v[128:129], v[128:129], v[130:131]
	scratch_store_dwordx2 off, v[128:129], off offset:232
.LBB61_316:
	s_or_b64 exec, exec, s[4:5]
	scratch_load_dwordx2 v[128:129], off, off offset:224
	v_cmp_lt_u32_e64 s[0:1], 28, v0
	s_waitcnt vmcnt(0)
	ds_write_b64 v1, v[128:129]
	s_waitcnt lgkmcnt(0)
	; wave barrier
	s_and_saveexec_b64 s[4:5], s[0:1]
	s_cbranch_execz .LBB61_326
; %bb.317:
	s_andn2_b64 vcc, exec, s[6:7]
	s_cbranch_vccnz .LBB61_319
; %bb.318:
	scratch_load_dwordx2 v[128:129], v17, off
	ds_read_b64 v[130:131], v1
	s_waitcnt vmcnt(0) lgkmcnt(0)
	v_mul_f64 v[128:129], v[128:129], v[130:131]
	s_cbranch_execz .LBB61_320
	s_branch .LBB61_321
.LBB61_319:
                                        ; implicit-def: $vgpr128_vgpr129
.LBB61_320:
	ds_read_b64 v[128:129], v1
.LBB61_321:
	s_and_saveexec_b64 s[8:9], s[2:3]
	s_cbranch_execz .LBB61_325
; %bb.322:
	s_movk_i32 s24, 0xe8
	v_subrev_u32_e32 v130, 29, v0
	s_movk_i32 s25, 0x2d8
	s_mov_b64 s[2:3], 0
.LBB61_323:                             ; =>This Inner Loop Header: Depth=1
	scratch_load_dwordx2 v[132:133], off, s24
	v_mov_b32_e32 v131, s25
	ds_read_b64 v[134:135], v131
	v_add_u32_e32 v130, -1, v130
	s_add_i32 s25, s25, 8
	s_add_i32 s24, s24, 8
	v_cmp_eq_u32_e32 vcc, 0, v130
	s_or_b64 s[2:3], vcc, s[2:3]
	s_waitcnt vmcnt(0) lgkmcnt(0)
	v_fmac_f64_e32 v[128:129], v[132:133], v[134:135]
	s_andn2_b64 exec, exec, s[2:3]
	s_cbranch_execnz .LBB61_323
; %bb.324:
	s_or_b64 exec, exec, s[2:3]
.LBB61_325:
	s_or_b64 exec, exec, s[8:9]
	v_mov_b32_e32 v130, 0
	ds_read_b64 v[130:131], v130 offset:224
	s_waitcnt lgkmcnt(0)
	v_mul_f64 v[128:129], v[128:129], v[130:131]
	scratch_store_dwordx2 off, v[128:129], off offset:224
.LBB61_326:
	s_or_b64 exec, exec, s[4:5]
	scratch_load_dwordx2 v[128:129], off, off offset:216
	v_cmp_lt_u32_e64 s[2:3], 27, v0
	s_waitcnt vmcnt(0)
	ds_write_b64 v1, v[128:129]
	s_waitcnt lgkmcnt(0)
	; wave barrier
	s_and_saveexec_b64 s[4:5], s[2:3]
	s_cbranch_execz .LBB61_336
; %bb.327:
	s_andn2_b64 vcc, exec, s[6:7]
	s_cbranch_vccnz .LBB61_329
; %bb.328:
	scratch_load_dwordx2 v[128:129], v17, off
	ds_read_b64 v[130:131], v1
	s_waitcnt vmcnt(0) lgkmcnt(0)
	v_mul_f64 v[128:129], v[128:129], v[130:131]
	s_cbranch_execz .LBB61_330
	s_branch .LBB61_331
.LBB61_329:
                                        ; implicit-def: $vgpr128_vgpr129
.LBB61_330:
	ds_read_b64 v[128:129], v1
.LBB61_331:
	s_and_saveexec_b64 s[8:9], s[0:1]
	s_cbranch_execz .LBB61_335
; %bb.332:
	v_subrev_u32_e32 v130, 28, v0
	s_movk_i32 s24, 0x2d0
	s_mov_b64 s[0:1], 0
.LBB61_333:                             ; =>This Inner Loop Header: Depth=1
	scratch_load_dwordx2 v[132:133], off, s23
	v_mov_b32_e32 v131, s24
	ds_read_b64 v[134:135], v131
	v_add_u32_e32 v130, -1, v130
	s_add_i32 s24, s24, 8
	s_add_i32 s23, s23, 8
	v_cmp_eq_u32_e32 vcc, 0, v130
	s_or_b64 s[0:1], vcc, s[0:1]
	s_waitcnt vmcnt(0) lgkmcnt(0)
	v_fmac_f64_e32 v[128:129], v[132:133], v[134:135]
	s_andn2_b64 exec, exec, s[0:1]
	s_cbranch_execnz .LBB61_333
; %bb.334:
	s_or_b64 exec, exec, s[0:1]
.LBB61_335:
	s_or_b64 exec, exec, s[8:9]
	v_mov_b32_e32 v130, 0
	ds_read_b64 v[130:131], v130 offset:216
	s_waitcnt lgkmcnt(0)
	v_mul_f64 v[128:129], v[128:129], v[130:131]
	scratch_store_dwordx2 off, v[128:129], off offset:216
.LBB61_336:
	s_or_b64 exec, exec, s[4:5]
	scratch_load_dwordx2 v[128:129], off, off offset:208
	v_cmp_lt_u32_e64 s[0:1], 26, v0
	s_waitcnt vmcnt(0)
	ds_write_b64 v1, v[128:129]
	s_waitcnt lgkmcnt(0)
	; wave barrier
	s_and_saveexec_b64 s[4:5], s[0:1]
	s_cbranch_execz .LBB61_346
; %bb.337:
	s_andn2_b64 vcc, exec, s[6:7]
	s_cbranch_vccnz .LBB61_339
; %bb.338:
	scratch_load_dwordx2 v[128:129], v17, off
	ds_read_b64 v[130:131], v1
	s_waitcnt vmcnt(0) lgkmcnt(0)
	v_mul_f64 v[128:129], v[128:129], v[130:131]
	s_cbranch_execz .LBB61_340
	s_branch .LBB61_341
.LBB61_339:
                                        ; implicit-def: $vgpr128_vgpr129
.LBB61_340:
	ds_read_b64 v[128:129], v1
.LBB61_341:
	s_and_saveexec_b64 s[8:9], s[2:3]
	s_cbranch_execz .LBB61_345
; %bb.342:
	s_movk_i32 s23, 0xd8
	v_subrev_u32_e32 v130, 27, v0
	s_movk_i32 s24, 0x2c8
	s_mov_b64 s[2:3], 0
.LBB61_343:                             ; =>This Inner Loop Header: Depth=1
	scratch_load_dwordx2 v[132:133], off, s23
	v_mov_b32_e32 v131, s24
	ds_read_b64 v[134:135], v131
	v_add_u32_e32 v130, -1, v130
	s_add_i32 s24, s24, 8
	s_add_i32 s23, s23, 8
	v_cmp_eq_u32_e32 vcc, 0, v130
	s_or_b64 s[2:3], vcc, s[2:3]
	s_waitcnt vmcnt(0) lgkmcnt(0)
	v_fmac_f64_e32 v[128:129], v[132:133], v[134:135]
	s_andn2_b64 exec, exec, s[2:3]
	s_cbranch_execnz .LBB61_343
; %bb.344:
	s_or_b64 exec, exec, s[2:3]
.LBB61_345:
	s_or_b64 exec, exec, s[8:9]
	v_mov_b32_e32 v130, 0
	ds_read_b64 v[130:131], v130 offset:208
	s_waitcnt lgkmcnt(0)
	v_mul_f64 v[128:129], v[128:129], v[130:131]
	scratch_store_dwordx2 off, v[128:129], off offset:208
.LBB61_346:
	s_or_b64 exec, exec, s[4:5]
	scratch_load_dwordx2 v[128:129], off, off offset:200
	v_cmp_lt_u32_e64 s[2:3], 25, v0
	s_waitcnt vmcnt(0)
	ds_write_b64 v1, v[128:129]
	s_waitcnt lgkmcnt(0)
	; wave barrier
	s_and_saveexec_b64 s[4:5], s[2:3]
	s_cbranch_execz .LBB61_356
; %bb.347:
	s_andn2_b64 vcc, exec, s[6:7]
	s_cbranch_vccnz .LBB61_349
; %bb.348:
	scratch_load_dwordx2 v[128:129], v17, off
	ds_read_b64 v[130:131], v1
	s_waitcnt vmcnt(0) lgkmcnt(0)
	v_mul_f64 v[128:129], v[128:129], v[130:131]
	s_cbranch_execz .LBB61_350
	s_branch .LBB61_351
.LBB61_349:
                                        ; implicit-def: $vgpr128_vgpr129
.LBB61_350:
	ds_read_b64 v[128:129], v1
.LBB61_351:
	s_and_saveexec_b64 s[8:9], s[0:1]
	s_cbranch_execz .LBB61_355
; %bb.352:
	v_subrev_u32_e32 v130, 26, v0
	s_movk_i32 s23, 0x2c0
	s_mov_b64 s[0:1], 0
.LBB61_353:                             ; =>This Inner Loop Header: Depth=1
	scratch_load_dwordx2 v[132:133], off, s22
	v_mov_b32_e32 v131, s23
	ds_read_b64 v[134:135], v131
	v_add_u32_e32 v130, -1, v130
	s_add_i32 s23, s23, 8
	s_add_i32 s22, s22, 8
	v_cmp_eq_u32_e32 vcc, 0, v130
	s_or_b64 s[0:1], vcc, s[0:1]
	s_waitcnt vmcnt(0) lgkmcnt(0)
	v_fmac_f64_e32 v[128:129], v[132:133], v[134:135]
	s_andn2_b64 exec, exec, s[0:1]
	s_cbranch_execnz .LBB61_353
; %bb.354:
	s_or_b64 exec, exec, s[0:1]
.LBB61_355:
	s_or_b64 exec, exec, s[8:9]
	v_mov_b32_e32 v130, 0
	ds_read_b64 v[130:131], v130 offset:200
	s_waitcnt lgkmcnt(0)
	v_mul_f64 v[128:129], v[128:129], v[130:131]
	scratch_store_dwordx2 off, v[128:129], off offset:200
.LBB61_356:
	s_or_b64 exec, exec, s[4:5]
	scratch_load_dwordx2 v[128:129], off, off offset:192
	v_cmp_lt_u32_e64 s[0:1], 24, v0
	s_waitcnt vmcnt(0)
	ds_write_b64 v1, v[128:129]
	s_waitcnt lgkmcnt(0)
	; wave barrier
	s_and_saveexec_b64 s[4:5], s[0:1]
	s_cbranch_execz .LBB61_366
; %bb.357:
	s_andn2_b64 vcc, exec, s[6:7]
	s_cbranch_vccnz .LBB61_359
; %bb.358:
	scratch_load_dwordx2 v[128:129], v17, off
	ds_read_b64 v[130:131], v1
	s_waitcnt vmcnt(0) lgkmcnt(0)
	v_mul_f64 v[128:129], v[128:129], v[130:131]
	s_cbranch_execz .LBB61_360
	s_branch .LBB61_361
.LBB61_359:
                                        ; implicit-def: $vgpr128_vgpr129
.LBB61_360:
	ds_read_b64 v[128:129], v1
.LBB61_361:
	s_and_saveexec_b64 s[8:9], s[2:3]
	s_cbranch_execz .LBB61_365
; %bb.362:
	s_movk_i32 s22, 0xc8
	v_subrev_u32_e32 v130, 25, v0
	s_movk_i32 s23, 0x2b8
	s_mov_b64 s[2:3], 0
.LBB61_363:                             ; =>This Inner Loop Header: Depth=1
	scratch_load_dwordx2 v[132:133], off, s22
	v_mov_b32_e32 v131, s23
	ds_read_b64 v[134:135], v131
	v_add_u32_e32 v130, -1, v130
	s_add_i32 s23, s23, 8
	s_add_i32 s22, s22, 8
	v_cmp_eq_u32_e32 vcc, 0, v130
	s_or_b64 s[2:3], vcc, s[2:3]
	s_waitcnt vmcnt(0) lgkmcnt(0)
	v_fmac_f64_e32 v[128:129], v[132:133], v[134:135]
	s_andn2_b64 exec, exec, s[2:3]
	s_cbranch_execnz .LBB61_363
; %bb.364:
	s_or_b64 exec, exec, s[2:3]
.LBB61_365:
	s_or_b64 exec, exec, s[8:9]
	v_mov_b32_e32 v130, 0
	ds_read_b64 v[130:131], v130 offset:192
	s_waitcnt lgkmcnt(0)
	v_mul_f64 v[128:129], v[128:129], v[130:131]
	scratch_store_dwordx2 off, v[128:129], off offset:192
.LBB61_366:
	s_or_b64 exec, exec, s[4:5]
	scratch_load_dwordx2 v[128:129], off, off offset:184
	v_cmp_lt_u32_e64 s[2:3], 23, v0
	s_waitcnt vmcnt(0)
	ds_write_b64 v1, v[128:129]
	s_waitcnt lgkmcnt(0)
	; wave barrier
	s_and_saveexec_b64 s[4:5], s[2:3]
	s_cbranch_execz .LBB61_376
; %bb.367:
	s_andn2_b64 vcc, exec, s[6:7]
	s_cbranch_vccnz .LBB61_369
; %bb.368:
	scratch_load_dwordx2 v[128:129], v17, off
	ds_read_b64 v[130:131], v1
	s_waitcnt vmcnt(0) lgkmcnt(0)
	v_mul_f64 v[128:129], v[128:129], v[130:131]
	s_cbranch_execz .LBB61_370
	s_branch .LBB61_371
.LBB61_369:
                                        ; implicit-def: $vgpr128_vgpr129
.LBB61_370:
	ds_read_b64 v[128:129], v1
.LBB61_371:
	s_and_saveexec_b64 s[8:9], s[0:1]
	s_cbranch_execz .LBB61_375
; %bb.372:
	v_subrev_u32_e32 v130, 24, v0
	s_movk_i32 s22, 0x2b0
	s_mov_b64 s[0:1], 0
.LBB61_373:                             ; =>This Inner Loop Header: Depth=1
	scratch_load_dwordx2 v[132:133], off, s21
	v_mov_b32_e32 v131, s22
	ds_read_b64 v[134:135], v131
	v_add_u32_e32 v130, -1, v130
	s_add_i32 s22, s22, 8
	s_add_i32 s21, s21, 8
	v_cmp_eq_u32_e32 vcc, 0, v130
	s_or_b64 s[0:1], vcc, s[0:1]
	s_waitcnt vmcnt(0) lgkmcnt(0)
	v_fmac_f64_e32 v[128:129], v[132:133], v[134:135]
	s_andn2_b64 exec, exec, s[0:1]
	s_cbranch_execnz .LBB61_373
; %bb.374:
	s_or_b64 exec, exec, s[0:1]
.LBB61_375:
	s_or_b64 exec, exec, s[8:9]
	v_mov_b32_e32 v130, 0
	ds_read_b64 v[130:131], v130 offset:184
	s_waitcnt lgkmcnt(0)
	v_mul_f64 v[128:129], v[128:129], v[130:131]
	scratch_store_dwordx2 off, v[128:129], off offset:184
.LBB61_376:
	s_or_b64 exec, exec, s[4:5]
	scratch_load_dwordx2 v[128:129], off, off offset:176
	v_cmp_lt_u32_e64 s[0:1], 22, v0
	s_waitcnt vmcnt(0)
	ds_write_b64 v1, v[128:129]
	s_waitcnt lgkmcnt(0)
	; wave barrier
	s_and_saveexec_b64 s[4:5], s[0:1]
	s_cbranch_execz .LBB61_386
; %bb.377:
	s_andn2_b64 vcc, exec, s[6:7]
	s_cbranch_vccnz .LBB61_379
; %bb.378:
	scratch_load_dwordx2 v[128:129], v17, off
	ds_read_b64 v[130:131], v1
	s_waitcnt vmcnt(0) lgkmcnt(0)
	v_mul_f64 v[128:129], v[128:129], v[130:131]
	s_cbranch_execz .LBB61_380
	s_branch .LBB61_381
.LBB61_379:
                                        ; implicit-def: $vgpr128_vgpr129
.LBB61_380:
	ds_read_b64 v[128:129], v1
.LBB61_381:
	s_and_saveexec_b64 s[8:9], s[2:3]
	s_cbranch_execz .LBB61_385
; %bb.382:
	s_movk_i32 s21, 0xb8
	v_subrev_u32_e32 v130, 23, v0
	s_movk_i32 s22, 0x2a8
	s_mov_b64 s[2:3], 0
.LBB61_383:                             ; =>This Inner Loop Header: Depth=1
	scratch_load_dwordx2 v[132:133], off, s21
	v_mov_b32_e32 v131, s22
	ds_read_b64 v[134:135], v131
	v_add_u32_e32 v130, -1, v130
	s_add_i32 s22, s22, 8
	s_add_i32 s21, s21, 8
	v_cmp_eq_u32_e32 vcc, 0, v130
	s_or_b64 s[2:3], vcc, s[2:3]
	s_waitcnt vmcnt(0) lgkmcnt(0)
	v_fmac_f64_e32 v[128:129], v[132:133], v[134:135]
	s_andn2_b64 exec, exec, s[2:3]
	s_cbranch_execnz .LBB61_383
; %bb.384:
	s_or_b64 exec, exec, s[2:3]
.LBB61_385:
	s_or_b64 exec, exec, s[8:9]
	v_mov_b32_e32 v130, 0
	ds_read_b64 v[130:131], v130 offset:176
	s_waitcnt lgkmcnt(0)
	v_mul_f64 v[128:129], v[128:129], v[130:131]
	scratch_store_dwordx2 off, v[128:129], off offset:176
.LBB61_386:
	s_or_b64 exec, exec, s[4:5]
	scratch_load_dwordx2 v[128:129], off, off offset:168
	v_cmp_lt_u32_e64 s[2:3], 21, v0
	s_waitcnt vmcnt(0)
	ds_write_b64 v1, v[128:129]
	s_waitcnt lgkmcnt(0)
	; wave barrier
	s_and_saveexec_b64 s[4:5], s[2:3]
	s_cbranch_execz .LBB61_396
; %bb.387:
	s_andn2_b64 vcc, exec, s[6:7]
	s_cbranch_vccnz .LBB61_389
; %bb.388:
	scratch_load_dwordx2 v[128:129], v17, off
	ds_read_b64 v[130:131], v1
	s_waitcnt vmcnt(0) lgkmcnt(0)
	v_mul_f64 v[128:129], v[128:129], v[130:131]
	s_cbranch_execz .LBB61_390
	s_branch .LBB61_391
.LBB61_389:
                                        ; implicit-def: $vgpr128_vgpr129
.LBB61_390:
	ds_read_b64 v[128:129], v1
.LBB61_391:
	s_and_saveexec_b64 s[8:9], s[0:1]
	s_cbranch_execz .LBB61_395
; %bb.392:
	v_subrev_u32_e32 v130, 22, v0
	s_movk_i32 s21, 0x2a0
	s_mov_b64 s[0:1], 0
.LBB61_393:                             ; =>This Inner Loop Header: Depth=1
	scratch_load_dwordx2 v[132:133], off, s20
	v_mov_b32_e32 v131, s21
	ds_read_b64 v[134:135], v131
	v_add_u32_e32 v130, -1, v130
	s_add_i32 s21, s21, 8
	s_add_i32 s20, s20, 8
	v_cmp_eq_u32_e32 vcc, 0, v130
	s_or_b64 s[0:1], vcc, s[0:1]
	s_waitcnt vmcnt(0) lgkmcnt(0)
	v_fmac_f64_e32 v[128:129], v[132:133], v[134:135]
	s_andn2_b64 exec, exec, s[0:1]
	s_cbranch_execnz .LBB61_393
; %bb.394:
	s_or_b64 exec, exec, s[0:1]
.LBB61_395:
	s_or_b64 exec, exec, s[8:9]
	v_mov_b32_e32 v130, 0
	ds_read_b64 v[130:131], v130 offset:168
	s_waitcnt lgkmcnt(0)
	v_mul_f64 v[128:129], v[128:129], v[130:131]
	scratch_store_dwordx2 off, v[128:129], off offset:168
.LBB61_396:
	s_or_b64 exec, exec, s[4:5]
	scratch_load_dwordx2 v[128:129], off, off offset:160
	v_cmp_lt_u32_e64 s[0:1], 20, v0
	s_waitcnt vmcnt(0)
	ds_write_b64 v1, v[128:129]
	s_waitcnt lgkmcnt(0)
	; wave barrier
	s_and_saveexec_b64 s[4:5], s[0:1]
	s_cbranch_execz .LBB61_406
; %bb.397:
	s_andn2_b64 vcc, exec, s[6:7]
	s_cbranch_vccnz .LBB61_399
; %bb.398:
	scratch_load_dwordx2 v[128:129], v17, off
	ds_read_b64 v[130:131], v1
	s_waitcnt vmcnt(0) lgkmcnt(0)
	v_mul_f64 v[128:129], v[128:129], v[130:131]
	s_cbranch_execz .LBB61_400
	s_branch .LBB61_401
.LBB61_399:
                                        ; implicit-def: $vgpr128_vgpr129
.LBB61_400:
	ds_read_b64 v[128:129], v1
.LBB61_401:
	s_and_saveexec_b64 s[8:9], s[2:3]
	s_cbranch_execz .LBB61_405
; %bb.402:
	s_movk_i32 s20, 0xa8
	v_subrev_u32_e32 v130, 21, v0
	s_movk_i32 s21, 0x298
	s_mov_b64 s[2:3], 0
.LBB61_403:                             ; =>This Inner Loop Header: Depth=1
	scratch_load_dwordx2 v[132:133], off, s20
	v_mov_b32_e32 v131, s21
	ds_read_b64 v[134:135], v131
	v_add_u32_e32 v130, -1, v130
	s_add_i32 s21, s21, 8
	s_add_i32 s20, s20, 8
	v_cmp_eq_u32_e32 vcc, 0, v130
	s_or_b64 s[2:3], vcc, s[2:3]
	s_waitcnt vmcnt(0) lgkmcnt(0)
	v_fmac_f64_e32 v[128:129], v[132:133], v[134:135]
	s_andn2_b64 exec, exec, s[2:3]
	s_cbranch_execnz .LBB61_403
; %bb.404:
	s_or_b64 exec, exec, s[2:3]
.LBB61_405:
	s_or_b64 exec, exec, s[8:9]
	v_mov_b32_e32 v130, 0
	ds_read_b64 v[130:131], v130 offset:160
	s_waitcnt lgkmcnt(0)
	v_mul_f64 v[128:129], v[128:129], v[130:131]
	scratch_store_dwordx2 off, v[128:129], off offset:160
.LBB61_406:
	s_or_b64 exec, exec, s[4:5]
	scratch_load_dwordx2 v[128:129], off, off offset:152
	v_cmp_lt_u32_e64 s[2:3], 19, v0
	s_waitcnt vmcnt(0)
	ds_write_b64 v1, v[128:129]
	s_waitcnt lgkmcnt(0)
	; wave barrier
	s_and_saveexec_b64 s[4:5], s[2:3]
	s_cbranch_execz .LBB61_416
; %bb.407:
	s_andn2_b64 vcc, exec, s[6:7]
	s_cbranch_vccnz .LBB61_409
; %bb.408:
	scratch_load_dwordx2 v[128:129], v17, off
	ds_read_b64 v[130:131], v1
	s_waitcnt vmcnt(0) lgkmcnt(0)
	v_mul_f64 v[128:129], v[128:129], v[130:131]
	s_cbranch_execz .LBB61_410
	s_branch .LBB61_411
.LBB61_409:
                                        ; implicit-def: $vgpr128_vgpr129
.LBB61_410:
	ds_read_b64 v[128:129], v1
.LBB61_411:
	s_and_saveexec_b64 s[8:9], s[0:1]
	s_cbranch_execz .LBB61_415
; %bb.412:
	v_subrev_u32_e32 v130, 20, v0
	s_movk_i32 s20, 0x290
	s_mov_b64 s[0:1], 0
.LBB61_413:                             ; =>This Inner Loop Header: Depth=1
	scratch_load_dwordx2 v[132:133], off, s19
	v_mov_b32_e32 v131, s20
	ds_read_b64 v[134:135], v131
	v_add_u32_e32 v130, -1, v130
	s_add_i32 s20, s20, 8
	s_add_i32 s19, s19, 8
	v_cmp_eq_u32_e32 vcc, 0, v130
	s_or_b64 s[0:1], vcc, s[0:1]
	s_waitcnt vmcnt(0) lgkmcnt(0)
	v_fmac_f64_e32 v[128:129], v[132:133], v[134:135]
	s_andn2_b64 exec, exec, s[0:1]
	s_cbranch_execnz .LBB61_413
; %bb.414:
	s_or_b64 exec, exec, s[0:1]
.LBB61_415:
	s_or_b64 exec, exec, s[8:9]
	v_mov_b32_e32 v130, 0
	ds_read_b64 v[130:131], v130 offset:152
	s_waitcnt lgkmcnt(0)
	v_mul_f64 v[128:129], v[128:129], v[130:131]
	scratch_store_dwordx2 off, v[128:129], off offset:152
.LBB61_416:
	s_or_b64 exec, exec, s[4:5]
	scratch_load_dwordx2 v[128:129], off, off offset:144
	v_cmp_lt_u32_e64 s[0:1], 18, v0
	s_waitcnt vmcnt(0)
	ds_write_b64 v1, v[128:129]
	s_waitcnt lgkmcnt(0)
	; wave barrier
	s_and_saveexec_b64 s[4:5], s[0:1]
	s_cbranch_execz .LBB61_426
; %bb.417:
	s_andn2_b64 vcc, exec, s[6:7]
	s_cbranch_vccnz .LBB61_419
; %bb.418:
	scratch_load_dwordx2 v[128:129], v17, off
	ds_read_b64 v[130:131], v1
	s_waitcnt vmcnt(0) lgkmcnt(0)
	v_mul_f64 v[128:129], v[128:129], v[130:131]
	s_cbranch_execz .LBB61_420
	s_branch .LBB61_421
.LBB61_419:
                                        ; implicit-def: $vgpr128_vgpr129
.LBB61_420:
	ds_read_b64 v[128:129], v1
.LBB61_421:
	s_and_saveexec_b64 s[8:9], s[2:3]
	s_cbranch_execz .LBB61_425
; %bb.422:
	s_movk_i32 s19, 0x98
	v_subrev_u32_e32 v130, 19, v0
	s_movk_i32 s20, 0x288
	s_mov_b64 s[2:3], 0
.LBB61_423:                             ; =>This Inner Loop Header: Depth=1
	scratch_load_dwordx2 v[132:133], off, s19
	v_mov_b32_e32 v131, s20
	ds_read_b64 v[134:135], v131
	v_add_u32_e32 v130, -1, v130
	s_add_i32 s20, s20, 8
	s_add_i32 s19, s19, 8
	v_cmp_eq_u32_e32 vcc, 0, v130
	s_or_b64 s[2:3], vcc, s[2:3]
	s_waitcnt vmcnt(0) lgkmcnt(0)
	v_fmac_f64_e32 v[128:129], v[132:133], v[134:135]
	s_andn2_b64 exec, exec, s[2:3]
	s_cbranch_execnz .LBB61_423
; %bb.424:
	s_or_b64 exec, exec, s[2:3]
.LBB61_425:
	s_or_b64 exec, exec, s[8:9]
	v_mov_b32_e32 v130, 0
	ds_read_b64 v[130:131], v130 offset:144
	s_waitcnt lgkmcnt(0)
	v_mul_f64 v[128:129], v[128:129], v[130:131]
	scratch_store_dwordx2 off, v[128:129], off offset:144
.LBB61_426:
	s_or_b64 exec, exec, s[4:5]
	scratch_load_dwordx2 v[128:129], off, off offset:136
	v_cmp_lt_u32_e64 s[2:3], 17, v0
	s_waitcnt vmcnt(0)
	ds_write_b64 v1, v[128:129]
	s_waitcnt lgkmcnt(0)
	; wave barrier
	s_and_saveexec_b64 s[4:5], s[2:3]
	s_cbranch_execz .LBB61_436
; %bb.427:
	s_andn2_b64 vcc, exec, s[6:7]
	s_cbranch_vccnz .LBB61_429
; %bb.428:
	scratch_load_dwordx2 v[128:129], v17, off
	ds_read_b64 v[130:131], v1
	s_waitcnt vmcnt(0) lgkmcnt(0)
	v_mul_f64 v[128:129], v[128:129], v[130:131]
	s_cbranch_execz .LBB61_430
	s_branch .LBB61_431
.LBB61_429:
                                        ; implicit-def: $vgpr128_vgpr129
.LBB61_430:
	ds_read_b64 v[128:129], v1
.LBB61_431:
	s_and_saveexec_b64 s[8:9], s[0:1]
	s_cbranch_execz .LBB61_435
; %bb.432:
	v_subrev_u32_e32 v130, 18, v0
	s_movk_i32 s19, 0x280
	s_mov_b64 s[0:1], 0
.LBB61_433:                             ; =>This Inner Loop Header: Depth=1
	scratch_load_dwordx2 v[132:133], off, s18
	v_mov_b32_e32 v131, s19
	ds_read_b64 v[134:135], v131
	v_add_u32_e32 v130, -1, v130
	s_add_i32 s19, s19, 8
	s_add_i32 s18, s18, 8
	v_cmp_eq_u32_e32 vcc, 0, v130
	s_or_b64 s[0:1], vcc, s[0:1]
	s_waitcnt vmcnt(0) lgkmcnt(0)
	v_fmac_f64_e32 v[128:129], v[132:133], v[134:135]
	s_andn2_b64 exec, exec, s[0:1]
	s_cbranch_execnz .LBB61_433
; %bb.434:
	s_or_b64 exec, exec, s[0:1]
.LBB61_435:
	s_or_b64 exec, exec, s[8:9]
	v_mov_b32_e32 v130, 0
	ds_read_b64 v[130:131], v130 offset:136
	s_waitcnt lgkmcnt(0)
	v_mul_f64 v[128:129], v[128:129], v[130:131]
	scratch_store_dwordx2 off, v[128:129], off offset:136
.LBB61_436:
	s_or_b64 exec, exec, s[4:5]
	scratch_load_dwordx2 v[128:129], off, off offset:128
	v_cmp_lt_u32_e64 s[0:1], 16, v0
	s_waitcnt vmcnt(0)
	ds_write_b64 v1, v[128:129]
	s_waitcnt lgkmcnt(0)
	; wave barrier
	s_and_saveexec_b64 s[4:5], s[0:1]
	s_cbranch_execz .LBB61_446
; %bb.437:
	s_andn2_b64 vcc, exec, s[6:7]
	s_cbranch_vccnz .LBB61_439
; %bb.438:
	scratch_load_dwordx2 v[128:129], v17, off
	ds_read_b64 v[130:131], v1
	s_waitcnt vmcnt(0) lgkmcnt(0)
	v_mul_f64 v[128:129], v[128:129], v[130:131]
	s_cbranch_execz .LBB61_440
	s_branch .LBB61_441
.LBB61_439:
                                        ; implicit-def: $vgpr128_vgpr129
.LBB61_440:
	ds_read_b64 v[128:129], v1
.LBB61_441:
	s_and_saveexec_b64 s[8:9], s[2:3]
	s_cbranch_execz .LBB61_445
; %bb.442:
	s_movk_i32 s18, 0x88
	v_subrev_u32_e32 v130, 17, v0
	s_movk_i32 s19, 0x278
	s_mov_b64 s[2:3], 0
.LBB61_443:                             ; =>This Inner Loop Header: Depth=1
	scratch_load_dwordx2 v[132:133], off, s18
	v_mov_b32_e32 v131, s19
	ds_read_b64 v[134:135], v131
	v_add_u32_e32 v130, -1, v130
	s_add_i32 s19, s19, 8
	s_add_i32 s18, s18, 8
	v_cmp_eq_u32_e32 vcc, 0, v130
	s_or_b64 s[2:3], vcc, s[2:3]
	s_waitcnt vmcnt(0) lgkmcnt(0)
	v_fmac_f64_e32 v[128:129], v[132:133], v[134:135]
	s_andn2_b64 exec, exec, s[2:3]
	s_cbranch_execnz .LBB61_443
; %bb.444:
	s_or_b64 exec, exec, s[2:3]
.LBB61_445:
	s_or_b64 exec, exec, s[8:9]
	v_mov_b32_e32 v130, 0
	ds_read_b64 v[130:131], v130 offset:128
	s_waitcnt lgkmcnt(0)
	v_mul_f64 v[128:129], v[128:129], v[130:131]
	scratch_store_dwordx2 off, v[128:129], off offset:128
.LBB61_446:
	s_or_b64 exec, exec, s[4:5]
	scratch_load_dwordx2 v[128:129], off, off offset:120
	v_cmp_lt_u32_e64 s[2:3], 15, v0
	s_waitcnt vmcnt(0)
	ds_write_b64 v1, v[128:129]
	s_waitcnt lgkmcnt(0)
	; wave barrier
	s_and_saveexec_b64 s[4:5], s[2:3]
	s_cbranch_execz .LBB61_456
; %bb.447:
	s_andn2_b64 vcc, exec, s[6:7]
	s_cbranch_vccnz .LBB61_449
; %bb.448:
	scratch_load_dwordx2 v[128:129], v17, off
	ds_read_b64 v[130:131], v1
	s_waitcnt vmcnt(0) lgkmcnt(0)
	v_mul_f64 v[128:129], v[128:129], v[130:131]
	s_cbranch_execz .LBB61_450
	s_branch .LBB61_451
.LBB61_449:
                                        ; implicit-def: $vgpr128_vgpr129
.LBB61_450:
	ds_read_b64 v[128:129], v1
.LBB61_451:
	s_and_saveexec_b64 s[8:9], s[0:1]
	s_cbranch_execz .LBB61_455
; %bb.452:
	v_add_u32_e32 v130, -16, v0
	s_movk_i32 s18, 0x270
	s_mov_b64 s[0:1], 0
.LBB61_453:                             ; =>This Inner Loop Header: Depth=1
	scratch_load_dwordx2 v[132:133], off, s17
	v_mov_b32_e32 v131, s18
	ds_read_b64 v[134:135], v131
	v_add_u32_e32 v130, -1, v130
	s_add_i32 s18, s18, 8
	s_add_i32 s17, s17, 8
	v_cmp_eq_u32_e32 vcc, 0, v130
	s_or_b64 s[0:1], vcc, s[0:1]
	s_waitcnt vmcnt(0) lgkmcnt(0)
	v_fmac_f64_e32 v[128:129], v[132:133], v[134:135]
	s_andn2_b64 exec, exec, s[0:1]
	s_cbranch_execnz .LBB61_453
; %bb.454:
	s_or_b64 exec, exec, s[0:1]
.LBB61_455:
	s_or_b64 exec, exec, s[8:9]
	v_mov_b32_e32 v130, 0
	ds_read_b64 v[130:131], v130 offset:120
	s_waitcnt lgkmcnt(0)
	v_mul_f64 v[128:129], v[128:129], v[130:131]
	scratch_store_dwordx2 off, v[128:129], off offset:120
.LBB61_456:
	s_or_b64 exec, exec, s[4:5]
	scratch_load_dwordx2 v[128:129], off, off offset:112
	v_cmp_lt_u32_e64 s[0:1], 14, v0
	s_waitcnt vmcnt(0)
	ds_write_b64 v1, v[128:129]
	s_waitcnt lgkmcnt(0)
	; wave barrier
	s_and_saveexec_b64 s[4:5], s[0:1]
	s_cbranch_execz .LBB61_466
; %bb.457:
	s_andn2_b64 vcc, exec, s[6:7]
	s_cbranch_vccnz .LBB61_459
; %bb.458:
	scratch_load_dwordx2 v[128:129], v17, off
	ds_read_b64 v[130:131], v1
	s_waitcnt vmcnt(0) lgkmcnt(0)
	v_mul_f64 v[128:129], v[128:129], v[130:131]
	s_cbranch_execz .LBB61_460
	s_branch .LBB61_461
.LBB61_459:
                                        ; implicit-def: $vgpr128_vgpr129
.LBB61_460:
	ds_read_b64 v[128:129], v1
.LBB61_461:
	s_and_saveexec_b64 s[8:9], s[2:3]
	s_cbranch_execz .LBB61_465
; %bb.462:
	s_movk_i32 s17, 0x78
	v_add_u32_e32 v130, -15, v0
	s_movk_i32 s18, 0x268
	s_mov_b64 s[2:3], 0
.LBB61_463:                             ; =>This Inner Loop Header: Depth=1
	scratch_load_dwordx2 v[132:133], off, s17
	v_mov_b32_e32 v131, s18
	ds_read_b64 v[134:135], v131
	v_add_u32_e32 v130, -1, v130
	s_add_i32 s18, s18, 8
	s_add_i32 s17, s17, 8
	v_cmp_eq_u32_e32 vcc, 0, v130
	s_or_b64 s[2:3], vcc, s[2:3]
	s_waitcnt vmcnt(0) lgkmcnt(0)
	v_fmac_f64_e32 v[128:129], v[132:133], v[134:135]
	s_andn2_b64 exec, exec, s[2:3]
	s_cbranch_execnz .LBB61_463
; %bb.464:
	s_or_b64 exec, exec, s[2:3]
.LBB61_465:
	s_or_b64 exec, exec, s[8:9]
	v_mov_b32_e32 v130, 0
	ds_read_b64 v[130:131], v130 offset:112
	s_waitcnt lgkmcnt(0)
	v_mul_f64 v[128:129], v[128:129], v[130:131]
	scratch_store_dwordx2 off, v[128:129], off offset:112
.LBB61_466:
	s_or_b64 exec, exec, s[4:5]
	scratch_load_dwordx2 v[128:129], off, off offset:104
	v_cmp_lt_u32_e64 s[2:3], 13, v0
	s_waitcnt vmcnt(0)
	ds_write_b64 v1, v[128:129]
	s_waitcnt lgkmcnt(0)
	; wave barrier
	s_and_saveexec_b64 s[4:5], s[2:3]
	s_cbranch_execz .LBB61_476
; %bb.467:
	s_andn2_b64 vcc, exec, s[6:7]
	s_cbranch_vccnz .LBB61_469
; %bb.468:
	scratch_load_dwordx2 v[128:129], v17, off
	ds_read_b64 v[130:131], v1
	s_waitcnt vmcnt(0) lgkmcnt(0)
	v_mul_f64 v[128:129], v[128:129], v[130:131]
	s_cbranch_execz .LBB61_470
	s_branch .LBB61_471
.LBB61_469:
                                        ; implicit-def: $vgpr128_vgpr129
.LBB61_470:
	ds_read_b64 v[128:129], v1
.LBB61_471:
	s_and_saveexec_b64 s[8:9], s[0:1]
	s_cbranch_execz .LBB61_475
; %bb.472:
	v_add_u32_e32 v130, -14, v0
	s_movk_i32 s17, 0x260
	s_mov_b64 s[0:1], 0
.LBB61_473:                             ; =>This Inner Loop Header: Depth=1
	scratch_load_dwordx2 v[132:133], off, s16
	v_mov_b32_e32 v131, s17
	ds_read_b64 v[134:135], v131
	v_add_u32_e32 v130, -1, v130
	s_add_i32 s17, s17, 8
	s_add_i32 s16, s16, 8
	v_cmp_eq_u32_e32 vcc, 0, v130
	s_or_b64 s[0:1], vcc, s[0:1]
	s_waitcnt vmcnt(0) lgkmcnt(0)
	v_fmac_f64_e32 v[128:129], v[132:133], v[134:135]
	s_andn2_b64 exec, exec, s[0:1]
	s_cbranch_execnz .LBB61_473
; %bb.474:
	s_or_b64 exec, exec, s[0:1]
.LBB61_475:
	s_or_b64 exec, exec, s[8:9]
	v_mov_b32_e32 v130, 0
	ds_read_b64 v[130:131], v130 offset:104
	s_waitcnt lgkmcnt(0)
	v_mul_f64 v[128:129], v[128:129], v[130:131]
	scratch_store_dwordx2 off, v[128:129], off offset:104
.LBB61_476:
	s_or_b64 exec, exec, s[4:5]
	scratch_load_dwordx2 v[128:129], off, off offset:96
	v_cmp_lt_u32_e64 s[0:1], 12, v0
	s_waitcnt vmcnt(0)
	ds_write_b64 v1, v[128:129]
	s_waitcnt lgkmcnt(0)
	; wave barrier
	s_and_saveexec_b64 s[4:5], s[0:1]
	s_cbranch_execz .LBB61_486
; %bb.477:
	s_andn2_b64 vcc, exec, s[6:7]
	s_cbranch_vccnz .LBB61_479
; %bb.478:
	scratch_load_dwordx2 v[128:129], v17, off
	ds_read_b64 v[130:131], v1
	s_waitcnt vmcnt(0) lgkmcnt(0)
	v_mul_f64 v[128:129], v[128:129], v[130:131]
	s_cbranch_execz .LBB61_480
	s_branch .LBB61_481
.LBB61_479:
                                        ; implicit-def: $vgpr128_vgpr129
.LBB61_480:
	ds_read_b64 v[128:129], v1
.LBB61_481:
	s_and_saveexec_b64 s[8:9], s[2:3]
	s_cbranch_execz .LBB61_485
; %bb.482:
	s_movk_i32 s16, 0x68
	v_add_u32_e32 v130, -13, v0
	s_movk_i32 s17, 0x258
	s_mov_b64 s[2:3], 0
.LBB61_483:                             ; =>This Inner Loop Header: Depth=1
	scratch_load_dwordx2 v[132:133], off, s16
	v_mov_b32_e32 v131, s17
	ds_read_b64 v[134:135], v131
	v_add_u32_e32 v130, -1, v130
	s_add_i32 s17, s17, 8
	s_add_i32 s16, s16, 8
	v_cmp_eq_u32_e32 vcc, 0, v130
	s_or_b64 s[2:3], vcc, s[2:3]
	s_waitcnt vmcnt(0) lgkmcnt(0)
	v_fmac_f64_e32 v[128:129], v[132:133], v[134:135]
	s_andn2_b64 exec, exec, s[2:3]
	s_cbranch_execnz .LBB61_483
; %bb.484:
	s_or_b64 exec, exec, s[2:3]
.LBB61_485:
	s_or_b64 exec, exec, s[8:9]
	v_mov_b32_e32 v130, 0
	ds_read_b64 v[130:131], v130 offset:96
	s_waitcnt lgkmcnt(0)
	v_mul_f64 v[128:129], v[128:129], v[130:131]
	scratch_store_dwordx2 off, v[128:129], off offset:96
.LBB61_486:
	s_or_b64 exec, exec, s[4:5]
	scratch_load_dwordx2 v[128:129], off, off offset:88
	v_cmp_lt_u32_e64 s[2:3], 11, v0
	s_waitcnt vmcnt(0)
	ds_write_b64 v1, v[128:129]
	s_waitcnt lgkmcnt(0)
	; wave barrier
	s_and_saveexec_b64 s[4:5], s[2:3]
	s_cbranch_execz .LBB61_496
; %bb.487:
	s_andn2_b64 vcc, exec, s[6:7]
	s_cbranch_vccnz .LBB61_489
; %bb.488:
	scratch_load_dwordx2 v[128:129], v17, off
	ds_read_b64 v[130:131], v1
	s_waitcnt vmcnt(0) lgkmcnt(0)
	v_mul_f64 v[128:129], v[128:129], v[130:131]
	s_cbranch_execz .LBB61_490
	s_branch .LBB61_491
.LBB61_489:
                                        ; implicit-def: $vgpr128_vgpr129
.LBB61_490:
	ds_read_b64 v[128:129], v1
.LBB61_491:
	s_and_saveexec_b64 s[8:9], s[0:1]
	s_cbranch_execz .LBB61_495
; %bb.492:
	v_add_u32_e32 v130, -12, v0
	s_movk_i32 s16, 0x250
	s_mov_b64 s[0:1], 0
.LBB61_493:                             ; =>This Inner Loop Header: Depth=1
	scratch_load_dwordx2 v[132:133], off, s15
	v_mov_b32_e32 v131, s16
	ds_read_b64 v[134:135], v131
	v_add_u32_e32 v130, -1, v130
	s_add_i32 s16, s16, 8
	s_add_i32 s15, s15, 8
	v_cmp_eq_u32_e32 vcc, 0, v130
	s_or_b64 s[0:1], vcc, s[0:1]
	s_waitcnt vmcnt(0) lgkmcnt(0)
	v_fmac_f64_e32 v[128:129], v[132:133], v[134:135]
	s_andn2_b64 exec, exec, s[0:1]
	s_cbranch_execnz .LBB61_493
; %bb.494:
	s_or_b64 exec, exec, s[0:1]
.LBB61_495:
	s_or_b64 exec, exec, s[8:9]
	v_mov_b32_e32 v130, 0
	ds_read_b64 v[130:131], v130 offset:88
	s_waitcnt lgkmcnt(0)
	v_mul_f64 v[128:129], v[128:129], v[130:131]
	scratch_store_dwordx2 off, v[128:129], off offset:88
.LBB61_496:
	s_or_b64 exec, exec, s[4:5]
	scratch_load_dwordx2 v[128:129], off, off offset:80
	v_cmp_lt_u32_e64 s[0:1], 10, v0
	s_waitcnt vmcnt(0)
	ds_write_b64 v1, v[128:129]
	s_waitcnt lgkmcnt(0)
	; wave barrier
	s_and_saveexec_b64 s[4:5], s[0:1]
	s_cbranch_execz .LBB61_506
; %bb.497:
	s_andn2_b64 vcc, exec, s[6:7]
	s_cbranch_vccnz .LBB61_499
; %bb.498:
	scratch_load_dwordx2 v[128:129], v17, off
	ds_read_b64 v[130:131], v1
	s_waitcnt vmcnt(0) lgkmcnt(0)
	v_mul_f64 v[128:129], v[128:129], v[130:131]
	s_cbranch_execz .LBB61_500
	s_branch .LBB61_501
.LBB61_499:
                                        ; implicit-def: $vgpr128_vgpr129
.LBB61_500:
	ds_read_b64 v[128:129], v1
.LBB61_501:
	s_and_saveexec_b64 s[8:9], s[2:3]
	s_cbranch_execz .LBB61_505
; %bb.502:
	s_movk_i32 s15, 0x58
	v_add_u32_e32 v130, -11, v0
	s_movk_i32 s16, 0x248
	s_mov_b64 s[2:3], 0
.LBB61_503:                             ; =>This Inner Loop Header: Depth=1
	scratch_load_dwordx2 v[132:133], off, s15
	v_mov_b32_e32 v131, s16
	ds_read_b64 v[134:135], v131
	v_add_u32_e32 v130, -1, v130
	s_add_i32 s16, s16, 8
	s_add_i32 s15, s15, 8
	v_cmp_eq_u32_e32 vcc, 0, v130
	s_or_b64 s[2:3], vcc, s[2:3]
	s_waitcnt vmcnt(0) lgkmcnt(0)
	v_fmac_f64_e32 v[128:129], v[132:133], v[134:135]
	s_andn2_b64 exec, exec, s[2:3]
	s_cbranch_execnz .LBB61_503
; %bb.504:
	s_or_b64 exec, exec, s[2:3]
.LBB61_505:
	s_or_b64 exec, exec, s[8:9]
	v_mov_b32_e32 v130, 0
	ds_read_b64 v[130:131], v130 offset:80
	s_waitcnt lgkmcnt(0)
	v_mul_f64 v[128:129], v[128:129], v[130:131]
	scratch_store_dwordx2 off, v[128:129], off offset:80
.LBB61_506:
	s_or_b64 exec, exec, s[4:5]
	scratch_load_dwordx2 v[128:129], off, off offset:72
	v_cmp_lt_u32_e64 s[2:3], 9, v0
	s_waitcnt vmcnt(0)
	ds_write_b64 v1, v[128:129]
	s_waitcnt lgkmcnt(0)
	; wave barrier
	s_and_saveexec_b64 s[4:5], s[2:3]
	s_cbranch_execz .LBB61_516
; %bb.507:
	s_andn2_b64 vcc, exec, s[6:7]
	s_cbranch_vccnz .LBB61_509
; %bb.508:
	scratch_load_dwordx2 v[128:129], v17, off
	ds_read_b64 v[130:131], v1
	s_waitcnt vmcnt(0) lgkmcnt(0)
	v_mul_f64 v[128:129], v[128:129], v[130:131]
	s_cbranch_execz .LBB61_510
	s_branch .LBB61_511
.LBB61_509:
                                        ; implicit-def: $vgpr128_vgpr129
.LBB61_510:
	ds_read_b64 v[128:129], v1
.LBB61_511:
	s_and_saveexec_b64 s[8:9], s[0:1]
	s_cbranch_execz .LBB61_515
; %bb.512:
	v_add_u32_e32 v130, -10, v0
	s_movk_i32 s15, 0x240
	s_mov_b64 s[0:1], 0
.LBB61_513:                             ; =>This Inner Loop Header: Depth=1
	scratch_load_dwordx2 v[132:133], off, s14
	v_mov_b32_e32 v131, s15
	ds_read_b64 v[134:135], v131
	v_add_u32_e32 v130, -1, v130
	s_add_i32 s15, s15, 8
	s_add_i32 s14, s14, 8
	v_cmp_eq_u32_e32 vcc, 0, v130
	s_or_b64 s[0:1], vcc, s[0:1]
	s_waitcnt vmcnt(0) lgkmcnt(0)
	v_fmac_f64_e32 v[128:129], v[132:133], v[134:135]
	s_andn2_b64 exec, exec, s[0:1]
	s_cbranch_execnz .LBB61_513
; %bb.514:
	s_or_b64 exec, exec, s[0:1]
.LBB61_515:
	s_or_b64 exec, exec, s[8:9]
	v_mov_b32_e32 v130, 0
	ds_read_b64 v[130:131], v130 offset:72
	s_waitcnt lgkmcnt(0)
	v_mul_f64 v[128:129], v[128:129], v[130:131]
	scratch_store_dwordx2 off, v[128:129], off offset:72
.LBB61_516:
	s_or_b64 exec, exec, s[4:5]
	scratch_load_dwordx2 v[128:129], off, off offset:64
	v_cmp_lt_u32_e64 s[0:1], 8, v0
	s_waitcnt vmcnt(0)
	ds_write_b64 v1, v[128:129]
	s_waitcnt lgkmcnt(0)
	; wave barrier
	s_and_saveexec_b64 s[4:5], s[0:1]
	s_cbranch_execz .LBB61_526
; %bb.517:
	s_andn2_b64 vcc, exec, s[6:7]
	s_cbranch_vccnz .LBB61_519
; %bb.518:
	scratch_load_dwordx2 v[128:129], v17, off
	ds_read_b64 v[130:131], v1
	s_waitcnt vmcnt(0) lgkmcnt(0)
	v_mul_f64 v[128:129], v[128:129], v[130:131]
	s_cbranch_execz .LBB61_520
	s_branch .LBB61_521
.LBB61_519:
                                        ; implicit-def: $vgpr128_vgpr129
.LBB61_520:
	ds_read_b64 v[128:129], v1
.LBB61_521:
	s_and_saveexec_b64 s[8:9], s[2:3]
	s_cbranch_execz .LBB61_525
; %bb.522:
	s_movk_i32 s14, 0x48
	v_add_u32_e32 v130, -9, v0
	s_movk_i32 s15, 0x238
	s_mov_b64 s[2:3], 0
.LBB61_523:                             ; =>This Inner Loop Header: Depth=1
	scratch_load_dwordx2 v[132:133], off, s14
	v_mov_b32_e32 v131, s15
	ds_read_b64 v[134:135], v131
	v_add_u32_e32 v130, -1, v130
	s_add_i32 s15, s15, 8
	s_add_i32 s14, s14, 8
	v_cmp_eq_u32_e32 vcc, 0, v130
	s_or_b64 s[2:3], vcc, s[2:3]
	s_waitcnt vmcnt(0) lgkmcnt(0)
	v_fmac_f64_e32 v[128:129], v[132:133], v[134:135]
	s_andn2_b64 exec, exec, s[2:3]
	s_cbranch_execnz .LBB61_523
; %bb.524:
	s_or_b64 exec, exec, s[2:3]
.LBB61_525:
	s_or_b64 exec, exec, s[8:9]
	v_mov_b32_e32 v130, 0
	ds_read_b64 v[130:131], v130 offset:64
	s_waitcnt lgkmcnt(0)
	v_mul_f64 v[128:129], v[128:129], v[130:131]
	scratch_store_dwordx2 off, v[128:129], off offset:64
.LBB61_526:
	s_or_b64 exec, exec, s[4:5]
	scratch_load_dwordx2 v[128:129], off, off offset:56
	v_cmp_lt_u32_e64 s[2:3], 7, v0
	s_waitcnt vmcnt(0)
	ds_write_b64 v1, v[128:129]
	s_waitcnt lgkmcnt(0)
	; wave barrier
	s_and_saveexec_b64 s[4:5], s[2:3]
	s_cbranch_execz .LBB61_536
; %bb.527:
	s_andn2_b64 vcc, exec, s[6:7]
	s_cbranch_vccnz .LBB61_529
; %bb.528:
	scratch_load_dwordx2 v[128:129], v17, off
	ds_read_b64 v[130:131], v1
	s_waitcnt vmcnt(0) lgkmcnt(0)
	v_mul_f64 v[128:129], v[128:129], v[130:131]
	s_cbranch_execz .LBB61_530
	s_branch .LBB61_531
.LBB61_529:
                                        ; implicit-def: $vgpr128_vgpr129
.LBB61_530:
	ds_read_b64 v[128:129], v1
.LBB61_531:
	s_and_saveexec_b64 s[8:9], s[0:1]
	s_cbranch_execz .LBB61_535
; %bb.532:
	v_add_u32_e32 v130, -8, v0
	s_movk_i32 s14, 0x230
	s_mov_b64 s[0:1], 0
.LBB61_533:                             ; =>This Inner Loop Header: Depth=1
	scratch_load_dwordx2 v[132:133], off, s13
	v_mov_b32_e32 v131, s14
	ds_read_b64 v[134:135], v131
	v_add_u32_e32 v130, -1, v130
	s_add_i32 s14, s14, 8
	s_add_i32 s13, s13, 8
	v_cmp_eq_u32_e32 vcc, 0, v130
	s_or_b64 s[0:1], vcc, s[0:1]
	s_waitcnt vmcnt(0) lgkmcnt(0)
	v_fmac_f64_e32 v[128:129], v[132:133], v[134:135]
	s_andn2_b64 exec, exec, s[0:1]
	s_cbranch_execnz .LBB61_533
; %bb.534:
	s_or_b64 exec, exec, s[0:1]
.LBB61_535:
	s_or_b64 exec, exec, s[8:9]
	v_mov_b32_e32 v130, 0
	ds_read_b64 v[130:131], v130 offset:56
	s_waitcnt lgkmcnt(0)
	v_mul_f64 v[128:129], v[128:129], v[130:131]
	scratch_store_dwordx2 off, v[128:129], off offset:56
.LBB61_536:
	s_or_b64 exec, exec, s[4:5]
	scratch_load_dwordx2 v[128:129], off, off offset:48
	v_cmp_lt_u32_e64 s[0:1], 6, v0
	s_waitcnt vmcnt(0)
	ds_write_b64 v1, v[128:129]
	s_waitcnt lgkmcnt(0)
	; wave barrier
	s_and_saveexec_b64 s[4:5], s[0:1]
	s_cbranch_execz .LBB61_546
; %bb.537:
	s_andn2_b64 vcc, exec, s[6:7]
	s_cbranch_vccnz .LBB61_539
; %bb.538:
	scratch_load_dwordx2 v[128:129], v17, off
	ds_read_b64 v[130:131], v1
	s_waitcnt vmcnt(0) lgkmcnt(0)
	v_mul_f64 v[128:129], v[128:129], v[130:131]
	s_cbranch_execz .LBB61_540
	s_branch .LBB61_541
.LBB61_539:
                                        ; implicit-def: $vgpr128_vgpr129
.LBB61_540:
	ds_read_b64 v[128:129], v1
.LBB61_541:
	s_and_saveexec_b64 s[8:9], s[2:3]
	s_cbranch_execz .LBB61_545
; %bb.542:
	s_mov_b32 s13, 56
	v_add_u32_e32 v130, -7, v0
	s_movk_i32 s14, 0x228
	s_mov_b64 s[2:3], 0
.LBB61_543:                             ; =>This Inner Loop Header: Depth=1
	scratch_load_dwordx2 v[132:133], off, s13
	v_mov_b32_e32 v131, s14
	ds_read_b64 v[134:135], v131
	v_add_u32_e32 v130, -1, v130
	s_add_i32 s14, s14, 8
	s_add_i32 s13, s13, 8
	v_cmp_eq_u32_e32 vcc, 0, v130
	s_or_b64 s[2:3], vcc, s[2:3]
	s_waitcnt vmcnt(0) lgkmcnt(0)
	v_fmac_f64_e32 v[128:129], v[132:133], v[134:135]
	s_andn2_b64 exec, exec, s[2:3]
	s_cbranch_execnz .LBB61_543
; %bb.544:
	s_or_b64 exec, exec, s[2:3]
.LBB61_545:
	s_or_b64 exec, exec, s[8:9]
	v_mov_b32_e32 v130, 0
	ds_read_b64 v[130:131], v130 offset:48
	s_waitcnt lgkmcnt(0)
	v_mul_f64 v[128:129], v[128:129], v[130:131]
	scratch_store_dwordx2 off, v[128:129], off offset:48
.LBB61_546:
	s_or_b64 exec, exec, s[4:5]
	scratch_load_dwordx2 v[128:129], off, off offset:40
	v_cmp_lt_u32_e64 s[2:3], 5, v0
	s_waitcnt vmcnt(0)
	ds_write_b64 v1, v[128:129]
	s_waitcnt lgkmcnt(0)
	; wave barrier
	s_and_saveexec_b64 s[4:5], s[2:3]
	s_cbranch_execz .LBB61_556
; %bb.547:
	s_andn2_b64 vcc, exec, s[6:7]
	s_cbranch_vccnz .LBB61_549
; %bb.548:
	scratch_load_dwordx2 v[128:129], v17, off
	ds_read_b64 v[130:131], v1
	s_waitcnt vmcnt(0) lgkmcnt(0)
	v_mul_f64 v[128:129], v[128:129], v[130:131]
	s_cbranch_execz .LBB61_550
	s_branch .LBB61_551
.LBB61_549:
                                        ; implicit-def: $vgpr128_vgpr129
.LBB61_550:
	ds_read_b64 v[128:129], v1
.LBB61_551:
	s_and_saveexec_b64 s[8:9], s[0:1]
	s_cbranch_execz .LBB61_555
; %bb.552:
	v_add_u32_e32 v130, -6, v0
	s_movk_i32 s13, 0x220
	s_mov_b64 s[0:1], 0
.LBB61_553:                             ; =>This Inner Loop Header: Depth=1
	scratch_load_dwordx2 v[132:133], off, s12
	v_mov_b32_e32 v131, s13
	ds_read_b64 v[134:135], v131
	v_add_u32_e32 v130, -1, v130
	s_add_i32 s13, s13, 8
	s_add_i32 s12, s12, 8
	v_cmp_eq_u32_e32 vcc, 0, v130
	s_or_b64 s[0:1], vcc, s[0:1]
	s_waitcnt vmcnt(0) lgkmcnt(0)
	v_fmac_f64_e32 v[128:129], v[132:133], v[134:135]
	s_andn2_b64 exec, exec, s[0:1]
	s_cbranch_execnz .LBB61_553
; %bb.554:
	s_or_b64 exec, exec, s[0:1]
.LBB61_555:
	s_or_b64 exec, exec, s[8:9]
	v_mov_b32_e32 v130, 0
	ds_read_b64 v[130:131], v130 offset:40
	s_waitcnt lgkmcnt(0)
	v_mul_f64 v[128:129], v[128:129], v[130:131]
	scratch_store_dwordx2 off, v[128:129], off offset:40
.LBB61_556:
	s_or_b64 exec, exec, s[4:5]
	scratch_load_dwordx2 v[128:129], off, off offset:32
	v_cmp_lt_u32_e64 s[0:1], 4, v0
	s_waitcnt vmcnt(0)
	ds_write_b64 v1, v[128:129]
	s_waitcnt lgkmcnt(0)
	; wave barrier
	s_and_saveexec_b64 s[4:5], s[0:1]
	s_cbranch_execz .LBB61_566
; %bb.557:
	s_andn2_b64 vcc, exec, s[6:7]
	s_cbranch_vccnz .LBB61_559
; %bb.558:
	scratch_load_dwordx2 v[128:129], v17, off
	ds_read_b64 v[130:131], v1
	s_waitcnt vmcnt(0) lgkmcnt(0)
	v_mul_f64 v[128:129], v[128:129], v[130:131]
	s_cbranch_execz .LBB61_560
	s_branch .LBB61_561
.LBB61_559:
                                        ; implicit-def: $vgpr128_vgpr129
.LBB61_560:
	ds_read_b64 v[128:129], v1
.LBB61_561:
	s_and_saveexec_b64 s[8:9], s[2:3]
	s_cbranch_execz .LBB61_565
; %bb.562:
	s_mov_b32 s12, 40
	v_add_u32_e32 v130, -5, v0
	s_movk_i32 s13, 0x218
	s_mov_b64 s[2:3], 0
.LBB61_563:                             ; =>This Inner Loop Header: Depth=1
	scratch_load_dwordx2 v[132:133], off, s12
	v_mov_b32_e32 v131, s13
	ds_read_b64 v[134:135], v131
	v_add_u32_e32 v130, -1, v130
	s_add_i32 s13, s13, 8
	s_add_i32 s12, s12, 8
	v_cmp_eq_u32_e32 vcc, 0, v130
	s_or_b64 s[2:3], vcc, s[2:3]
	s_waitcnt vmcnt(0) lgkmcnt(0)
	v_fmac_f64_e32 v[128:129], v[132:133], v[134:135]
	s_andn2_b64 exec, exec, s[2:3]
	s_cbranch_execnz .LBB61_563
; %bb.564:
	s_or_b64 exec, exec, s[2:3]
.LBB61_565:
	s_or_b64 exec, exec, s[8:9]
	v_mov_b32_e32 v130, 0
	ds_read_b64 v[130:131], v130 offset:32
	s_waitcnt lgkmcnt(0)
	v_mul_f64 v[128:129], v[128:129], v[130:131]
	scratch_store_dwordx2 off, v[128:129], off offset:32
.LBB61_566:
	s_or_b64 exec, exec, s[4:5]
	scratch_load_dwordx2 v[128:129], off, off offset:24
	v_cmp_lt_u32_e64 s[2:3], 3, v0
	s_waitcnt vmcnt(0)
	ds_write_b64 v1, v[128:129]
	s_waitcnt lgkmcnt(0)
	; wave barrier
	s_and_saveexec_b64 s[4:5], s[2:3]
	s_cbranch_execz .LBB61_576
; %bb.567:
	s_andn2_b64 vcc, exec, s[6:7]
	s_cbranch_vccnz .LBB61_569
; %bb.568:
	scratch_load_dwordx2 v[128:129], v17, off
	ds_read_b64 v[130:131], v1
	s_waitcnt vmcnt(0) lgkmcnt(0)
	v_mul_f64 v[128:129], v[128:129], v[130:131]
	s_cbranch_execz .LBB61_570
	s_branch .LBB61_571
.LBB61_569:
                                        ; implicit-def: $vgpr128_vgpr129
.LBB61_570:
	ds_read_b64 v[128:129], v1
.LBB61_571:
	s_and_saveexec_b64 s[8:9], s[0:1]
	s_cbranch_execz .LBB61_575
; %bb.572:
	v_add_u32_e32 v130, -4, v0
	s_movk_i32 s12, 0x210
	s_mov_b64 s[0:1], 0
.LBB61_573:                             ; =>This Inner Loop Header: Depth=1
	scratch_load_dwordx2 v[132:133], off, s11
	v_mov_b32_e32 v131, s12
	ds_read_b64 v[134:135], v131
	v_add_u32_e32 v130, -1, v130
	s_add_i32 s12, s12, 8
	s_add_i32 s11, s11, 8
	v_cmp_eq_u32_e32 vcc, 0, v130
	s_or_b64 s[0:1], vcc, s[0:1]
	s_waitcnt vmcnt(0) lgkmcnt(0)
	v_fmac_f64_e32 v[128:129], v[132:133], v[134:135]
	s_andn2_b64 exec, exec, s[0:1]
	s_cbranch_execnz .LBB61_573
; %bb.574:
	s_or_b64 exec, exec, s[0:1]
.LBB61_575:
	s_or_b64 exec, exec, s[8:9]
	v_mov_b32_e32 v130, 0
	ds_read_b64 v[130:131], v130 offset:24
	s_waitcnt lgkmcnt(0)
	v_mul_f64 v[128:129], v[128:129], v[130:131]
	scratch_store_dwordx2 off, v[128:129], off offset:24
.LBB61_576:
	s_or_b64 exec, exec, s[4:5]
	scratch_load_dwordx2 v[128:129], off, off offset:16
	v_cmp_lt_u32_e64 s[0:1], 2, v0
	s_waitcnt vmcnt(0)
	ds_write_b64 v1, v[128:129]
	s_waitcnt lgkmcnt(0)
	; wave barrier
	s_and_saveexec_b64 s[4:5], s[0:1]
	s_cbranch_execz .LBB61_586
; %bb.577:
	s_andn2_b64 vcc, exec, s[6:7]
	s_cbranch_vccnz .LBB61_579
; %bb.578:
	scratch_load_dwordx2 v[128:129], v17, off
	ds_read_b64 v[130:131], v1
	s_waitcnt vmcnt(0) lgkmcnt(0)
	v_mul_f64 v[128:129], v[128:129], v[130:131]
	s_cbranch_execz .LBB61_580
	s_branch .LBB61_581
.LBB61_579:
                                        ; implicit-def: $vgpr128_vgpr129
.LBB61_580:
	ds_read_b64 v[128:129], v1
.LBB61_581:
	s_and_saveexec_b64 s[8:9], s[2:3]
	s_cbranch_execz .LBB61_585
; %bb.582:
	s_mov_b32 s11, 24
	v_add_u32_e32 v130, -3, v0
	s_movk_i32 s12, 0x208
	s_mov_b64 s[2:3], 0
.LBB61_583:                             ; =>This Inner Loop Header: Depth=1
	scratch_load_dwordx2 v[132:133], off, s11
	v_mov_b32_e32 v131, s12
	ds_read_b64 v[134:135], v131
	v_add_u32_e32 v130, -1, v130
	s_add_i32 s12, s12, 8
	s_add_i32 s11, s11, 8
	v_cmp_eq_u32_e32 vcc, 0, v130
	s_or_b64 s[2:3], vcc, s[2:3]
	s_waitcnt vmcnt(0) lgkmcnt(0)
	v_fmac_f64_e32 v[128:129], v[132:133], v[134:135]
	s_andn2_b64 exec, exec, s[2:3]
	s_cbranch_execnz .LBB61_583
; %bb.584:
	s_or_b64 exec, exec, s[2:3]
.LBB61_585:
	s_or_b64 exec, exec, s[8:9]
	v_mov_b32_e32 v130, 0
	ds_read_b64 v[130:131], v130 offset:16
	s_waitcnt lgkmcnt(0)
	v_mul_f64 v[128:129], v[128:129], v[130:131]
	scratch_store_dwordx2 off, v[128:129], off offset:16
.LBB61_586:
	s_or_b64 exec, exec, s[4:5]
	scratch_load_dwordx2 v[128:129], off, off offset:8
	v_cmp_lt_u32_e64 s[2:3], 1, v0
	s_waitcnt vmcnt(0)
	ds_write_b64 v1, v[128:129]
	s_waitcnt lgkmcnt(0)
	; wave barrier
	s_and_saveexec_b64 s[4:5], s[2:3]
	s_cbranch_execz .LBB61_596
; %bb.587:
	s_andn2_b64 vcc, exec, s[6:7]
	s_cbranch_vccnz .LBB61_589
; %bb.588:
	scratch_load_dwordx2 v[128:129], v17, off
	ds_read_b64 v[130:131], v1
	s_waitcnt vmcnt(0) lgkmcnt(0)
	v_mul_f64 v[128:129], v[128:129], v[130:131]
	s_cbranch_execz .LBB61_590
	s_branch .LBB61_591
.LBB61_589:
                                        ; implicit-def: $vgpr128_vgpr129
.LBB61_590:
	ds_read_b64 v[128:129], v1
.LBB61_591:
	s_and_saveexec_b64 s[8:9], s[0:1]
	s_cbranch_execz .LBB61_595
; %bb.592:
	v_add_u32_e32 v130, -2, v0
	s_movk_i32 s11, 0x200
	s_mov_b64 s[0:1], 0
.LBB61_593:                             ; =>This Inner Loop Header: Depth=1
	scratch_load_dwordx2 v[132:133], off, s10
	v_mov_b32_e32 v131, s11
	ds_read_b64 v[134:135], v131
	v_add_u32_e32 v130, -1, v130
	s_add_i32 s11, s11, 8
	s_add_i32 s10, s10, 8
	v_cmp_eq_u32_e32 vcc, 0, v130
	s_or_b64 s[0:1], vcc, s[0:1]
	s_waitcnt vmcnt(0) lgkmcnt(0)
	v_fmac_f64_e32 v[128:129], v[132:133], v[134:135]
	s_andn2_b64 exec, exec, s[0:1]
	s_cbranch_execnz .LBB61_593
; %bb.594:
	s_or_b64 exec, exec, s[0:1]
.LBB61_595:
	s_or_b64 exec, exec, s[8:9]
	v_mov_b32_e32 v130, 0
	ds_read_b64 v[130:131], v130 offset:8
	s_waitcnt lgkmcnt(0)
	v_mul_f64 v[128:129], v[128:129], v[130:131]
	scratch_store_dwordx2 off, v[128:129], off offset:8
.LBB61_596:
	s_or_b64 exec, exec, s[4:5]
	scratch_load_dwordx2 v[128:129], off, off
	v_cmp_ne_u32_e32 vcc, 0, v0
	s_waitcnt vmcnt(0)
	ds_write_b64 v1, v[128:129]
	s_waitcnt lgkmcnt(0)
	; wave barrier
	s_and_saveexec_b64 s[0:1], vcc
	s_cbranch_execz .LBB61_606
; %bb.597:
	s_andn2_b64 vcc, exec, s[6:7]
	s_cbranch_vccnz .LBB61_599
; %bb.598:
	scratch_load_dwordx2 v[128:129], v17, off
	ds_read_b64 v[130:131], v1
	s_waitcnt vmcnt(0) lgkmcnt(0)
	v_mul_f64 v[128:129], v[128:129], v[130:131]
	s_cbranch_execz .LBB61_600
	s_branch .LBB61_601
.LBB61_599:
                                        ; implicit-def: $vgpr128_vgpr129
.LBB61_600:
	ds_read_b64 v[128:129], v1
.LBB61_601:
	s_and_saveexec_b64 s[4:5], s[2:3]
	s_cbranch_execz .LBB61_605
; %bb.602:
	s_or_b32 s8, 0, 8
	v_add_u32_e32 v130, -1, v0
	s_movk_i32 s9, 0x1f8
	s_mov_b64 s[2:3], 0
.LBB61_603:                             ; =>This Inner Loop Header: Depth=1
	scratch_load_dwordx2 v[132:133], off, s8
	v_mov_b32_e32 v131, s9
	ds_read_b64 v[134:135], v131
	v_add_u32_e32 v130, -1, v130
	s_add_i32 s9, s9, 8
	s_add_i32 s8, s8, 8
	v_cmp_eq_u32_e32 vcc, 0, v130
	s_or_b64 s[2:3], vcc, s[2:3]
	s_waitcnt vmcnt(0) lgkmcnt(0)
	v_fmac_f64_e32 v[128:129], v[132:133], v[134:135]
	s_andn2_b64 exec, exec, s[2:3]
	s_cbranch_execnz .LBB61_603
; %bb.604:
	s_or_b64 exec, exec, s[2:3]
.LBB61_605:
	s_or_b64 exec, exec, s[4:5]
	v_mov_b32_e32 v130, 0
	ds_read_b64 v[130:131], v130
	s_waitcnt lgkmcnt(0)
	v_mul_f64 v[128:129], v[128:129], v[130:131]
	scratch_store_dwordx2 off, v[128:129], off
.LBB61_606:
	s_or_b64 exec, exec, s[0:1]
	s_mov_b64 s[0:1], 0
.LBB61_607:
	s_and_b64 vcc, exec, s[0:1]
	s_cbranch_vccz .LBB61_1209
; %bb.608:
	scratch_load_dwordx2 v[128:129], off, off offset:8
	v_cmp_eq_u32_e64 s[2:3], 0, v0
	s_waitcnt vmcnt(0)
	ds_write_b64 v1, v[128:129]
	s_waitcnt lgkmcnt(0)
	; wave barrier
	s_and_saveexec_b64 s[0:1], s[2:3]
	s_cbranch_execz .LBB61_614
; %bb.609:
	s_and_b64 vcc, exec, s[6:7]
	s_cbranch_vccz .LBB61_611
; %bb.610:
	scratch_load_dwordx2 v[128:129], v17, off
	ds_read_b64 v[130:131], v1
	s_waitcnt vmcnt(0) lgkmcnt(0)
	v_mul_f64 v[128:129], v[128:129], v[130:131]
	s_cbranch_execz .LBB61_612
	s_branch .LBB61_613
.LBB61_611:
                                        ; implicit-def: $vgpr128_vgpr129
.LBB61_612:
	ds_read_b64 v[128:129], v1
.LBB61_613:
	v_mov_b32_e32 v130, 0
	ds_read_b64 v[130:131], v130 offset:8
	s_waitcnt lgkmcnt(0)
	v_mul_f64 v[128:129], v[128:129], v[130:131]
	scratch_store_dwordx2 off, v[128:129], off offset:8
.LBB61_614:
	s_or_b64 exec, exec, s[0:1]
	scratch_load_dwordx2 v[128:129], off, off offset:16
	v_cndmask_b32_e64 v130, 0, 1, s[6:7]
	v_cmp_gt_u32_e32 vcc, 2, v0
	v_cmp_ne_u32_e64 s[0:1], 1, v130
	s_waitcnt vmcnt(0)
	ds_write_b64 v1, v[128:129]
	s_waitcnt lgkmcnt(0)
	; wave barrier
	s_and_saveexec_b64 s[4:5], vcc
	s_cbranch_execz .LBB61_620
; %bb.615:
	s_and_b64 vcc, exec, s[0:1]
	s_cbranch_vccnz .LBB61_617
; %bb.616:
	scratch_load_dwordx2 v[128:129], v17, off
	ds_read_b64 v[130:131], v1
	s_waitcnt vmcnt(0) lgkmcnt(0)
	v_mul_f64 v[128:129], v[128:129], v[130:131]
	s_cbranch_execz .LBB61_618
	s_branch .LBB61_619
.LBB61_617:
                                        ; implicit-def: $vgpr128_vgpr129
.LBB61_618:
	ds_read_b64 v[128:129], v1
.LBB61_619:
	scratch_load_dwordx2 v[134:135], off, off offset:8
	v_mov_b32_e32 v130, 0
	ds_read2_b64 v[130:133], v130 offset0:2 offset1:63
	s_waitcnt vmcnt(0) lgkmcnt(0)
	v_fma_f64 v[132:133], v[134:135], v[132:133], v[128:129]
	v_cndmask_b32_e64 v129, v129, v133, s[2:3]
	v_cndmask_b32_e64 v128, v128, v132, s[2:3]
	v_mul_f64 v[128:129], v[128:129], v[130:131]
	scratch_store_dwordx2 off, v[128:129], off offset:16
.LBB61_620:
	s_or_b64 exec, exec, s[4:5]
	scratch_load_dwordx2 v[128:129], off, off offset:24
	v_cmp_gt_u32_e32 vcc, 3, v0
	s_waitcnt vmcnt(0)
	ds_write_b64 v1, v[128:129]
	s_waitcnt lgkmcnt(0)
	; wave barrier
	s_and_saveexec_b64 s[4:5], vcc
	s_cbranch_execz .LBB61_628
; %bb.621:
	s_and_b64 vcc, exec, s[0:1]
	s_cbranch_vccnz .LBB61_623
; %bb.622:
	scratch_load_dwordx2 v[128:129], v17, off
	ds_read_b64 v[130:131], v1
	s_waitcnt vmcnt(0) lgkmcnt(0)
	v_mul_f64 v[128:129], v[128:129], v[130:131]
	s_cbranch_execz .LBB61_624
	s_branch .LBB61_625
.LBB61_623:
                                        ; implicit-def: $vgpr128_vgpr129
.LBB61_624:
	ds_read_b64 v[128:129], v1
.LBB61_625:
	v_cmp_ne_u32_e32 vcc, 2, v0
	s_and_saveexec_b64 s[6:7], vcc
	s_cbranch_execz .LBB61_627
; %bb.626:
	scratch_load_dwordx2 v[130:131], v17, off offset:8
	scratch_load_dwordx2 v[132:133], off, off offset:16
	ds_read_b64 v[134:135], v1 offset:8
	v_mov_b32_e32 v136, 0
	ds_read_b64 v[136:137], v136 offset:512
	s_waitcnt vmcnt(1) lgkmcnt(1)
	v_fmac_f64_e32 v[128:129], v[130:131], v[134:135]
	s_waitcnt vmcnt(0) lgkmcnt(0)
	v_fma_f64 v[130:131], v[132:133], v[136:137], v[128:129]
	v_cndmask_b32_e64 v129, v129, v131, s[2:3]
	v_cndmask_b32_e64 v128, v128, v130, s[2:3]
.LBB61_627:
	s_or_b64 exec, exec, s[6:7]
	v_mov_b32_e32 v130, 0
	ds_read_b64 v[130:131], v130 offset:24
	s_waitcnt lgkmcnt(0)
	v_mul_f64 v[128:129], v[128:129], v[130:131]
	scratch_store_dwordx2 off, v[128:129], off offset:24
.LBB61_628:
	s_or_b64 exec, exec, s[4:5]
	scratch_load_dwordx2 v[128:129], off, off offset:32
	v_cmp_gt_u32_e32 vcc, 4, v0
	s_waitcnt vmcnt(0)
	ds_write_b64 v1, v[128:129]
	s_waitcnt lgkmcnt(0)
	; wave barrier
	s_and_saveexec_b64 s[2:3], vcc
	s_cbranch_execz .LBB61_638
; %bb.629:
	s_and_b64 vcc, exec, s[0:1]
	s_cbranch_vccnz .LBB61_631
; %bb.630:
	scratch_load_dwordx2 v[128:129], v17, off
	ds_read_b64 v[130:131], v1
	s_waitcnt vmcnt(0) lgkmcnt(0)
	v_mul_f64 v[128:129], v[128:129], v[130:131]
	s_cbranch_execz .LBB61_632
	s_branch .LBB61_633
.LBB61_631:
                                        ; implicit-def: $vgpr128_vgpr129
.LBB61_632:
	ds_read_b64 v[128:129], v1
.LBB61_633:
	v_cmp_ne_u32_e32 vcc, 3, v0
	s_and_saveexec_b64 s[4:5], vcc
	s_cbranch_execz .LBB61_637
; %bb.634:
	s_mov_b32 s6, 0
	v_add_u32_e32 v130, 0x1f8, v16
	v_add3_u32 v131, v16, s6, 8
	s_mov_b64 s[6:7], 0
	v_mov_b32_e32 v132, v0
.LBB61_635:                             ; =>This Inner Loop Header: Depth=1
	scratch_load_dwordx2 v[134:135], v131, off
	ds_read_b64 v[136:137], v130
	v_add_u32_e32 v132, 1, v132
	v_cmp_lt_u32_e32 vcc, 2, v132
	v_add_u32_e32 v130, 8, v130
	v_add_u32_e32 v131, 8, v131
	s_or_b64 s[6:7], vcc, s[6:7]
	s_waitcnt vmcnt(0) lgkmcnt(0)
	v_fmac_f64_e32 v[128:129], v[134:135], v[136:137]
	s_andn2_b64 exec, exec, s[6:7]
	s_cbranch_execnz .LBB61_635
; %bb.636:
	s_or_b64 exec, exec, s[6:7]
.LBB61_637:
	s_or_b64 exec, exec, s[4:5]
	v_mov_b32_e32 v130, 0
	ds_read_b64 v[130:131], v130 offset:32
	s_waitcnt lgkmcnt(0)
	v_mul_f64 v[128:129], v[128:129], v[130:131]
	scratch_store_dwordx2 off, v[128:129], off offset:32
.LBB61_638:
	s_or_b64 exec, exec, s[2:3]
	scratch_load_dwordx2 v[128:129], off, off offset:40
	v_cmp_gt_u32_e32 vcc, 5, v0
	s_waitcnt vmcnt(0)
	ds_write_b64 v1, v[128:129]
	s_waitcnt lgkmcnt(0)
	; wave barrier
	s_and_saveexec_b64 s[2:3], vcc
	s_cbranch_execz .LBB61_648
; %bb.639:
	s_and_b64 vcc, exec, s[0:1]
	s_cbranch_vccnz .LBB61_641
; %bb.640:
	scratch_load_dwordx2 v[128:129], v17, off
	ds_read_b64 v[130:131], v1
	s_waitcnt vmcnt(0) lgkmcnt(0)
	v_mul_f64 v[128:129], v[128:129], v[130:131]
	s_cbranch_execz .LBB61_642
	s_branch .LBB61_643
.LBB61_641:
                                        ; implicit-def: $vgpr128_vgpr129
.LBB61_642:
	ds_read_b64 v[128:129], v1
.LBB61_643:
	v_cmp_ne_u32_e32 vcc, 4, v0
	s_and_saveexec_b64 s[4:5], vcc
	s_cbranch_execz .LBB61_647
; %bb.644:
	s_mov_b32 s6, 0
	v_add_u32_e32 v130, 0x1f8, v16
	v_add3_u32 v131, v16, s6, 8
	s_mov_b64 s[6:7], 0
	v_mov_b32_e32 v132, v0
.LBB61_645:                             ; =>This Inner Loop Header: Depth=1
	scratch_load_dwordx2 v[134:135], v131, off
	ds_read_b64 v[136:137], v130
	v_add_u32_e32 v132, 1, v132
	v_cmp_lt_u32_e32 vcc, 3, v132
	v_add_u32_e32 v130, 8, v130
	v_add_u32_e32 v131, 8, v131
	s_or_b64 s[6:7], vcc, s[6:7]
	s_waitcnt vmcnt(0) lgkmcnt(0)
	v_fmac_f64_e32 v[128:129], v[134:135], v[136:137]
	s_andn2_b64 exec, exec, s[6:7]
	s_cbranch_execnz .LBB61_645
; %bb.646:
	s_or_b64 exec, exec, s[6:7]
.LBB61_647:
	s_or_b64 exec, exec, s[4:5]
	v_mov_b32_e32 v130, 0
	ds_read_b64 v[130:131], v130 offset:40
	s_waitcnt lgkmcnt(0)
	v_mul_f64 v[128:129], v[128:129], v[130:131]
	scratch_store_dwordx2 off, v[128:129], off offset:40
.LBB61_648:
	;; [unrolled: 55-line block ×37, first 2 shown]
	s_or_b64 exec, exec, s[2:3]
	scratch_load_dwordx2 v[128:129], off, off offset:328
	v_cmp_gt_u32_e32 vcc, 41, v0
	s_waitcnt vmcnt(0)
	ds_write_b64 v1, v[128:129]
	s_waitcnt lgkmcnt(0)
	; wave barrier
	s_and_saveexec_b64 s[2:3], vcc
	s_cbranch_execz .LBB61_1008
; %bb.999:
	s_and_b64 vcc, exec, s[0:1]
	s_cbranch_vccnz .LBB61_1001
; %bb.1000:
	scratch_load_dwordx2 v[128:129], v17, off
	ds_read_b64 v[130:131], v1
	s_waitcnt vmcnt(0) lgkmcnt(0)
	v_mul_f64 v[128:129], v[128:129], v[130:131]
	s_cbranch_execz .LBB61_1002
	s_branch .LBB61_1003
.LBB61_1001:
                                        ; implicit-def: $vgpr128_vgpr129
.LBB61_1002:
	ds_read_b64 v[128:129], v1
.LBB61_1003:
	v_cmp_ne_u32_e32 vcc, 40, v0
	s_and_saveexec_b64 s[4:5], vcc
	s_cbranch_execz .LBB61_1007
; %bb.1004:
	s_mov_b32 s6, 0
	v_add_u32_e32 v130, 0x1f8, v16
	v_add3_u32 v131, v16, s6, 8
	s_mov_b64 s[6:7], 0
	v_mov_b32_e32 v132, v0
.LBB61_1005:                            ; =>This Inner Loop Header: Depth=1
	scratch_load_dwordx2 v[134:135], v131, off
	ds_read_b64 v[136:137], v130
	v_add_u32_e32 v132, 1, v132
	v_cmp_lt_u32_e32 vcc, 39, v132
	v_add_u32_e32 v130, 8, v130
	v_add_u32_e32 v131, 8, v131
	s_or_b64 s[6:7], vcc, s[6:7]
	s_waitcnt vmcnt(0) lgkmcnt(0)
	v_fmac_f64_e32 v[128:129], v[134:135], v[136:137]
	s_andn2_b64 exec, exec, s[6:7]
	s_cbranch_execnz .LBB61_1005
; %bb.1006:
	s_or_b64 exec, exec, s[6:7]
.LBB61_1007:
	s_or_b64 exec, exec, s[4:5]
	v_mov_b32_e32 v130, 0
	ds_read_b64 v[130:131], v130 offset:328
	s_waitcnt lgkmcnt(0)
	v_mul_f64 v[128:129], v[128:129], v[130:131]
	scratch_store_dwordx2 off, v[128:129], off offset:328
.LBB61_1008:
	s_or_b64 exec, exec, s[2:3]
	scratch_load_dwordx2 v[128:129], off, off offset:336
	v_cmp_gt_u32_e32 vcc, 42, v0
	s_waitcnt vmcnt(0)
	ds_write_b64 v1, v[128:129]
	s_waitcnt lgkmcnt(0)
	; wave barrier
	s_and_saveexec_b64 s[2:3], vcc
	s_cbranch_execz .LBB61_1018
; %bb.1009:
	s_and_b64 vcc, exec, s[0:1]
	s_cbranch_vccnz .LBB61_1011
; %bb.1010:
	scratch_load_dwordx2 v[128:129], v17, off
	ds_read_b64 v[130:131], v1
	s_waitcnt vmcnt(0) lgkmcnt(0)
	v_mul_f64 v[128:129], v[128:129], v[130:131]
	s_cbranch_execz .LBB61_1012
	s_branch .LBB61_1013
.LBB61_1011:
                                        ; implicit-def: $vgpr128_vgpr129
.LBB61_1012:
	ds_read_b64 v[128:129], v1
.LBB61_1013:
	v_cmp_ne_u32_e32 vcc, 41, v0
	s_and_saveexec_b64 s[4:5], vcc
	s_cbranch_execz .LBB61_1017
; %bb.1014:
	s_mov_b32 s6, 0
	v_add_u32_e32 v130, 0x1f8, v16
	v_add3_u32 v131, v16, s6, 8
	s_mov_b64 s[6:7], 0
	v_mov_b32_e32 v132, v0
.LBB61_1015:                            ; =>This Inner Loop Header: Depth=1
	scratch_load_dwordx2 v[134:135], v131, off
	ds_read_b64 v[136:137], v130
	v_add_u32_e32 v132, 1, v132
	v_cmp_lt_u32_e32 vcc, 40, v132
	v_add_u32_e32 v130, 8, v130
	v_add_u32_e32 v131, 8, v131
	s_or_b64 s[6:7], vcc, s[6:7]
	s_waitcnt vmcnt(0) lgkmcnt(0)
	v_fmac_f64_e32 v[128:129], v[134:135], v[136:137]
	s_andn2_b64 exec, exec, s[6:7]
	s_cbranch_execnz .LBB61_1015
; %bb.1016:
	s_or_b64 exec, exec, s[6:7]
.LBB61_1017:
	s_or_b64 exec, exec, s[4:5]
	v_mov_b32_e32 v130, 0
	ds_read_b64 v[130:131], v130 offset:336
	s_waitcnt lgkmcnt(0)
	v_mul_f64 v[128:129], v[128:129], v[130:131]
	scratch_store_dwordx2 off, v[128:129], off offset:336
.LBB61_1018:
	;; [unrolled: 55-line block ×19, first 2 shown]
	s_or_b64 exec, exec, s[2:3]
	scratch_load_dwordx2 v[128:129], off, off offset:480
	v_cmp_gt_u32_e64 s[2:3], 60, v0
	s_waitcnt vmcnt(0)
	ds_write_b64 v1, v[128:129]
	s_waitcnt lgkmcnt(0)
	; wave barrier
	s_and_saveexec_b64 s[4:5], s[2:3]
	s_cbranch_execz .LBB61_1198
; %bb.1189:
	s_and_b64 vcc, exec, s[0:1]
	s_cbranch_vccnz .LBB61_1191
; %bb.1190:
	scratch_load_dwordx2 v[128:129], v17, off
	ds_read_b64 v[130:131], v1
	s_waitcnt vmcnt(0) lgkmcnt(0)
	v_mul_f64 v[128:129], v[128:129], v[130:131]
	s_cbranch_execz .LBB61_1192
	s_branch .LBB61_1193
.LBB61_1191:
                                        ; implicit-def: $vgpr128_vgpr129
.LBB61_1192:
	ds_read_b64 v[128:129], v1
.LBB61_1193:
	v_cmp_ne_u32_e32 vcc, 59, v0
	s_and_saveexec_b64 s[6:7], vcc
	s_cbranch_execz .LBB61_1197
; %bb.1194:
	s_mov_b32 s8, 0
	v_add_u32_e32 v130, 0x1f8, v16
	v_add3_u32 v131, v16, s8, 8
	s_mov_b64 s[8:9], 0
	v_mov_b32_e32 v132, v0
.LBB61_1195:                            ; =>This Inner Loop Header: Depth=1
	scratch_load_dwordx2 v[134:135], v131, off
	ds_read_b64 v[136:137], v130
	v_add_u32_e32 v132, 1, v132
	v_cmp_lt_u32_e32 vcc, 58, v132
	v_add_u32_e32 v130, 8, v130
	v_add_u32_e32 v131, 8, v131
	s_or_b64 s[8:9], vcc, s[8:9]
	s_waitcnt vmcnt(0) lgkmcnt(0)
	v_fmac_f64_e32 v[128:129], v[134:135], v[136:137]
	s_andn2_b64 exec, exec, s[8:9]
	s_cbranch_execnz .LBB61_1195
; %bb.1196:
	s_or_b64 exec, exec, s[8:9]
.LBB61_1197:
	s_or_b64 exec, exec, s[6:7]
	v_mov_b32_e32 v130, 0
	ds_read_b64 v[130:131], v130 offset:480
	s_waitcnt lgkmcnt(0)
	v_mul_f64 v[128:129], v[128:129], v[130:131]
	scratch_store_dwordx2 off, v[128:129], off offset:480
.LBB61_1198:
	s_or_b64 exec, exec, s[4:5]
	scratch_load_dwordx2 v[128:129], off, off offset:488
	v_cmp_ne_u32_e32 vcc, 61, v0
	s_waitcnt vmcnt(0)
	ds_write_b64 v1, v[128:129]
	s_waitcnt lgkmcnt(0)
	; wave barrier
	s_and_saveexec_b64 s[4:5], vcc
	s_cbranch_execz .LBB61_1208
; %bb.1199:
	s_and_b64 vcc, exec, s[0:1]
	s_cbranch_vccnz .LBB61_1201
; %bb.1200:
	scratch_load_dwordx2 v[128:129], v17, off
	ds_read_b64 v[130:131], v1
	s_waitcnt vmcnt(0) lgkmcnt(0)
	v_mul_f64 v[128:129], v[128:129], v[130:131]
	s_cbranch_execz .LBB61_1202
	s_branch .LBB61_1203
.LBB61_1201:
                                        ; implicit-def: $vgpr128_vgpr129
.LBB61_1202:
	ds_read_b64 v[128:129], v1
.LBB61_1203:
	s_and_saveexec_b64 s[0:1], s[2:3]
	s_cbranch_execz .LBB61_1207
; %bb.1204:
	s_mov_b32 s2, 0
	v_add_u32_e32 v1, 0x1f8, v16
	v_add3_u32 v16, v16, s2, 8
	s_mov_b64 s[2:3], 0
.LBB61_1205:                            ; =>This Inner Loop Header: Depth=1
	scratch_load_dwordx2 v[130:131], v16, off
	ds_read_b64 v[132:133], v1
	v_add_u32_e32 v0, 1, v0
	v_cmp_lt_u32_e32 vcc, 59, v0
	v_add_u32_e32 v1, 8, v1
	v_add_u32_e32 v16, 8, v16
	s_or_b64 s[2:3], vcc, s[2:3]
	s_waitcnt vmcnt(0) lgkmcnt(0)
	v_fmac_f64_e32 v[128:129], v[130:131], v[132:133]
	s_andn2_b64 exec, exec, s[2:3]
	s_cbranch_execnz .LBB61_1205
; %bb.1206:
	s_or_b64 exec, exec, s[2:3]
.LBB61_1207:
	s_or_b64 exec, exec, s[0:1]
	v_mov_b32_e32 v0, 0
	ds_read_b64 v[0:1], v0 offset:488
	s_waitcnt lgkmcnt(0)
	v_mul_f64 v[0:1], v[128:129], v[0:1]
	scratch_store_dwordx2 off, v[0:1], off offset:488
.LBB61_1208:
	s_or_b64 exec, exec, s[4:5]
.LBB61_1209:
	scratch_load_dwordx4 v[128:131], off, off
	s_waitcnt vmcnt(0)
	global_store_dwordx2 v[2:3], v[128:129], off
	global_store_dwordx2 v[4:5], v[130:131], off
	scratch_load_dwordx4 v[0:3], off, off offset:16
	s_waitcnt vmcnt(0)
	global_store_dwordx2 v[6:7], v[0:1], off
	global_store_dwordx2 v[8:9], v[2:3], off
	scratch_load_dwordx4 v[0:3], off, off offset:32
	;; [unrolled: 4-line block ×30, first 2 shown]
	s_waitcnt vmcnt(0)
	global_store_dwordx2 v[106:107], v[0:1], off
	global_store_dwordx2 v[112:113], v[2:3], off
.LBB61_1210:
	s_endpgm
	.section	.rodata,"a",@progbits
	.p2align	6, 0x0
	.amdhsa_kernel _ZN9rocsolver6v33100L18trti2_kernel_smallILi62EdPdEEv13rocblas_fill_17rocblas_diagonal_T1_iil
		.amdhsa_group_segment_fixed_size 992
		.amdhsa_private_segment_fixed_size 512
		.amdhsa_kernarg_size 32
		.amdhsa_user_sgpr_count 2
		.amdhsa_user_sgpr_dispatch_ptr 0
		.amdhsa_user_sgpr_queue_ptr 0
		.amdhsa_user_sgpr_kernarg_segment_ptr 1
		.amdhsa_user_sgpr_dispatch_id 0
		.amdhsa_user_sgpr_kernarg_preload_length 0
		.amdhsa_user_sgpr_kernarg_preload_offset 0
		.amdhsa_user_sgpr_private_segment_size 0
		.amdhsa_uses_dynamic_stack 0
		.amdhsa_enable_private_segment 1
		.amdhsa_system_sgpr_workgroup_id_x 1
		.amdhsa_system_sgpr_workgroup_id_y 0
		.amdhsa_system_sgpr_workgroup_id_z 0
		.amdhsa_system_sgpr_workgroup_info 0
		.amdhsa_system_vgpr_workitem_id 0
		.amdhsa_next_free_vgpr 138
		.amdhsa_next_free_sgpr 42
		.amdhsa_accum_offset 140
		.amdhsa_reserve_vcc 1
		.amdhsa_float_round_mode_32 0
		.amdhsa_float_round_mode_16_64 0
		.amdhsa_float_denorm_mode_32 3
		.amdhsa_float_denorm_mode_16_64 3
		.amdhsa_dx10_clamp 1
		.amdhsa_ieee_mode 1
		.amdhsa_fp16_overflow 0
		.amdhsa_tg_split 0
		.amdhsa_exception_fp_ieee_invalid_op 0
		.amdhsa_exception_fp_denorm_src 0
		.amdhsa_exception_fp_ieee_div_zero 0
		.amdhsa_exception_fp_ieee_overflow 0
		.amdhsa_exception_fp_ieee_underflow 0
		.amdhsa_exception_fp_ieee_inexact 0
		.amdhsa_exception_int_div_zero 0
	.end_amdhsa_kernel
	.section	.text._ZN9rocsolver6v33100L18trti2_kernel_smallILi62EdPdEEv13rocblas_fill_17rocblas_diagonal_T1_iil,"axG",@progbits,_ZN9rocsolver6v33100L18trti2_kernel_smallILi62EdPdEEv13rocblas_fill_17rocblas_diagonal_T1_iil,comdat
.Lfunc_end61:
	.size	_ZN9rocsolver6v33100L18trti2_kernel_smallILi62EdPdEEv13rocblas_fill_17rocblas_diagonal_T1_iil, .Lfunc_end61-_ZN9rocsolver6v33100L18trti2_kernel_smallILi62EdPdEEv13rocblas_fill_17rocblas_diagonal_T1_iil
                                        ; -- End function
	.set _ZN9rocsolver6v33100L18trti2_kernel_smallILi62EdPdEEv13rocblas_fill_17rocblas_diagonal_T1_iil.num_vgpr, 138
	.set _ZN9rocsolver6v33100L18trti2_kernel_smallILi62EdPdEEv13rocblas_fill_17rocblas_diagonal_T1_iil.num_agpr, 0
	.set _ZN9rocsolver6v33100L18trti2_kernel_smallILi62EdPdEEv13rocblas_fill_17rocblas_diagonal_T1_iil.numbered_sgpr, 42
	.set _ZN9rocsolver6v33100L18trti2_kernel_smallILi62EdPdEEv13rocblas_fill_17rocblas_diagonal_T1_iil.num_named_barrier, 0
	.set _ZN9rocsolver6v33100L18trti2_kernel_smallILi62EdPdEEv13rocblas_fill_17rocblas_diagonal_T1_iil.private_seg_size, 512
	.set _ZN9rocsolver6v33100L18trti2_kernel_smallILi62EdPdEEv13rocblas_fill_17rocblas_diagonal_T1_iil.uses_vcc, 1
	.set _ZN9rocsolver6v33100L18trti2_kernel_smallILi62EdPdEEv13rocblas_fill_17rocblas_diagonal_T1_iil.uses_flat_scratch, 0
	.set _ZN9rocsolver6v33100L18trti2_kernel_smallILi62EdPdEEv13rocblas_fill_17rocblas_diagonal_T1_iil.has_dyn_sized_stack, 0
	.set _ZN9rocsolver6v33100L18trti2_kernel_smallILi62EdPdEEv13rocblas_fill_17rocblas_diagonal_T1_iil.has_recursion, 0
	.set _ZN9rocsolver6v33100L18trti2_kernel_smallILi62EdPdEEv13rocblas_fill_17rocblas_diagonal_T1_iil.has_indirect_call, 0
	.section	.AMDGPU.csdata,"",@progbits
; Kernel info:
; codeLenInByte = 29648
; TotalNumSgprs: 48
; NumVgprs: 138
; NumAgprs: 0
; TotalNumVgprs: 138
; ScratchSize: 512
; MemoryBound: 0
; FloatMode: 240
; IeeeMode: 1
; LDSByteSize: 992 bytes/workgroup (compile time only)
; SGPRBlocks: 5
; VGPRBlocks: 17
; NumSGPRsForWavesPerEU: 48
; NumVGPRsForWavesPerEU: 138
; AccumOffset: 140
; Occupancy: 3
; WaveLimiterHint : 0
; COMPUTE_PGM_RSRC2:SCRATCH_EN: 1
; COMPUTE_PGM_RSRC2:USER_SGPR: 2
; COMPUTE_PGM_RSRC2:TRAP_HANDLER: 0
; COMPUTE_PGM_RSRC2:TGID_X_EN: 1
; COMPUTE_PGM_RSRC2:TGID_Y_EN: 0
; COMPUTE_PGM_RSRC2:TGID_Z_EN: 0
; COMPUTE_PGM_RSRC2:TIDIG_COMP_CNT: 0
; COMPUTE_PGM_RSRC3_GFX90A:ACCUM_OFFSET: 34
; COMPUTE_PGM_RSRC3_GFX90A:TG_SPLIT: 0
	.section	.text._ZN9rocsolver6v33100L18trti2_kernel_smallILi63EdPdEEv13rocblas_fill_17rocblas_diagonal_T1_iil,"axG",@progbits,_ZN9rocsolver6v33100L18trti2_kernel_smallILi63EdPdEEv13rocblas_fill_17rocblas_diagonal_T1_iil,comdat
	.globl	_ZN9rocsolver6v33100L18trti2_kernel_smallILi63EdPdEEv13rocblas_fill_17rocblas_diagonal_T1_iil ; -- Begin function _ZN9rocsolver6v33100L18trti2_kernel_smallILi63EdPdEEv13rocblas_fill_17rocblas_diagonal_T1_iil
	.p2align	8
	.type	_ZN9rocsolver6v33100L18trti2_kernel_smallILi63EdPdEEv13rocblas_fill_17rocblas_diagonal_T1_iil,@function
_ZN9rocsolver6v33100L18trti2_kernel_smallILi63EdPdEEv13rocblas_fill_17rocblas_diagonal_T1_iil: ; @_ZN9rocsolver6v33100L18trti2_kernel_smallILi63EdPdEEv13rocblas_fill_17rocblas_diagonal_T1_iil
; %bb.0:
	v_cmp_gt_u32_e32 vcc, 63, v0
	s_and_saveexec_b64 s[4:5], vcc
	s_cbranch_execz .LBB62_1230
; %bb.1:
	s_load_dwordx8 s[4:11], s[0:1], 0x0
	s_ashr_i32 s3, s2, 31
	v_lshlrev_b32_e32 v10, 3, v0
	v_mov_b32_e32 v11, 0
	s_waitcnt lgkmcnt(0)
	s_ashr_i32 s1, s8, 31
	s_mov_b32 s0, s8
	s_mul_hi_u32 s8, s10, s2
	s_mul_i32 s3, s10, s3
	s_add_i32 s3, s8, s3
	s_mul_i32 s8, s11, s2
	s_add_i32 s3, s3, s8
	s_mul_i32 s2, s10, s2
	s_lshl_b64 s[2:3], s[2:3], 3
	s_add_u32 s2, s6, s2
	s_addc_u32 s3, s7, s3
	s_lshl_b64 s[0:1], s[0:1], 3
	s_add_u32 s0, s2, s0
	s_addc_u32 s1, s3, s1
	v_lshl_add_u64 v[2:3], s[0:1], 0, v[10:11]
	s_ashr_i32 s3, s9, 31
	s_mov_b32 s2, s9
	v_lshl_add_u64 v[4:5], s[2:3], 3, v[2:3]
	global_load_dwordx2 v[6:7], v10, s[0:1]
	global_load_dwordx2 v[8:9], v[4:5], off
	s_add_i32 s2, s9, s9
	s_cmpk_lg_i32 s5, 0x84
	s_cselect_b64 s[6:7], -1, 0
	s_cmpk_eq_i32 s5, 0x84
	s_waitcnt vmcnt(0)
	scratch_store_dwordx4 off, v[6:9], off
	s_nop 1
	v_add_u32_e32 v8, s2, v0
	v_add_u32_e32 v12, s9, v8
	v_ashrrev_i32_e32 v9, 31, v8
	v_ashrrev_i32_e32 v13, 31, v12
	v_lshl_add_u64 v[6:7], v[8:9], 3, s[0:1]
	v_lshl_add_u64 v[8:9], v[12:13], 3, s[0:1]
	global_load_dwordx2 v[14:15], v[6:7], off
	global_load_dwordx2 v[16:17], v[8:9], off
	s_waitcnt vmcnt(0)
	scratch_store_dwordx4 off, v[14:17], off offset:16
	s_nop 1
	v_add_u32_e32 v14, s9, v12
	v_add_u32_e32 v16, s9, v14
	v_ashrrev_i32_e32 v15, 31, v14
	v_ashrrev_i32_e32 v17, 31, v16
	v_lshl_add_u64 v[12:13], v[14:15], 3, s[0:1]
	v_lshl_add_u64 v[14:15], v[16:17], 3, s[0:1]
	global_load_dwordx2 v[18:19], v[12:13], off
	global_load_dwordx2 v[20:21], v[14:15], off
	s_waitcnt vmcnt(0)
	scratch_store_dwordx4 off, v[18:21], off offset:32
	;; [unrolled: 11-line block ×27, first 2 shown]
	s_nop 1
	v_add_u32_e32 v118, s9, v116
	v_add_u32_e32 v120, s9, v118
	v_ashrrev_i32_e32 v119, 31, v118
	v_ashrrev_i32_e32 v121, 31, v120
	v_lshl_add_u64 v[116:117], v[118:119], 3, s[0:1]
	v_lshl_add_u64 v[118:119], v[120:121], 3, s[0:1]
	global_load_dwordx2 v[122:123], v[116:117], off
	global_load_dwordx2 v[124:125], v[118:119], off
	v_add_u32_e32 v120, s9, v120
	v_ashrrev_i32_e32 v121, 31, v120
	s_waitcnt vmcnt(0)
	scratch_store_dwordx4 off, v[122:125], off offset:448
	s_nop 1
	v_lshl_add_u64 v[122:123], v[120:121], 3, s[0:1]
	v_add_u32_e32 v120, s9, v120
	v_ashrrev_i32_e32 v121, 31, v120
	v_lshl_add_u64 v[124:125], v[120:121], 3, s[0:1]
	global_load_dwordx2 v[126:127], v[122:123], off
	global_load_dwordx2 v[128:129], v[124:125], off
	v_add_u32_e32 v120, s9, v120
	v_ashrrev_i32_e32 v121, 31, v120
	s_waitcnt vmcnt(0)
	scratch_store_dwordx4 off, v[126:129], off offset:464
	s_nop 1
	v_lshl_add_u64 v[126:127], v[120:121], 3, s[0:1]
	v_add_u32_e32 v120, s9, v120
	v_ashrrev_i32_e32 v121, 31, v120
	v_lshl_add_u64 v[128:129], v[120:121], 3, s[0:1]
	global_load_dwordx2 v[130:131], v[126:127], off
	global_load_dwordx2 v[132:133], v[128:129], off
	v_add_u32_e32 v120, s9, v120
	v_ashrrev_i32_e32 v121, 31, v120
	v_lshl_add_u64 v[120:121], v[120:121], 3, s[0:1]
	s_waitcnt vmcnt(0)
	scratch_store_dwordx4 off, v[130:133], off offset:480
	global_load_dwordx2 v[130:131], v[120:121], off
	s_waitcnt vmcnt(0)
	scratch_store_dwordx2 off, v[130:131], off offset:496
	v_mov_b64_e32 v[130:131], -1.0
	s_cbranch_scc1 .LBB62_3
; %bb.2:
	scratch_load_dwordx2 v[130:131], v10, off
	s_waitcnt vmcnt(0)
	v_div_scale_f64 v[132:133], s[0:1], v[130:131], v[130:131], 1.0
	v_rcp_f64_e32 v[134:135], v[132:133]
	v_div_scale_f64 v[136:137], vcc, 1.0, v[130:131], 1.0
	v_fma_f64 v[138:139], -v[132:133], v[134:135], 1.0
	v_fmac_f64_e32 v[134:135], v[134:135], v[138:139]
	v_fma_f64 v[138:139], -v[132:133], v[134:135], 1.0
	v_fmac_f64_e32 v[134:135], v[134:135], v[138:139]
	v_mul_f64 v[138:139], v[136:137], v[134:135]
	v_fma_f64 v[132:133], -v[132:133], v[138:139], v[136:137]
	v_div_fmas_f64 v[132:133], v[132:133], v[134:135], v[138:139]
	v_div_fixup_f64 v[130:131], v[132:133], v[130:131], 1.0
	scratch_store_dwordx2 v10, v[130:131], off
	v_xor_b32_e32 v131, 0x80000000, v131
.LBB62_3:
	s_cmpk_eq_i32 s4, 0x79
	v_or_b32_e32 v1, 0x200, v10
	v_mov_b32_e32 v11, v10
	s_mov_b64 s[0:1], -1
	ds_write_b64 v10, v[130:131]
	s_cbranch_scc1 .LBB62_617
; %bb.4:
	scratch_load_dwordx2 v[130:131], off, off offset:488
	s_movk_i32 s8, 0x50
	s_movk_i32 s9, 0x60
	s_movk_i32 s16, 0x70
	s_movk_i32 s17, 0x80
	s_movk_i32 s18, 0x90
	s_movk_i32 s19, 0xa0
	s_movk_i32 s20, 0xb0
	s_movk_i32 s21, 0xc0
	s_movk_i32 s22, 0xd0
	s_movk_i32 s23, 0xe0
	s_movk_i32 s24, 0xf0
	s_movk_i32 s25, 0x100
	s_movk_i32 s26, 0x110
	s_movk_i32 s27, 0x120
	s_movk_i32 s28, 0x130
	s_movk_i32 s29, 0x140
	s_movk_i32 s30, 0x150
	s_movk_i32 s31, 0x160
	s_movk_i32 s33, 0x170
	s_movk_i32 s34, 0x180
	s_movk_i32 s35, 0x190
	s_movk_i32 s36, 0x1a0
	s_movk_i32 s37, 0x1b0
	s_movk_i32 s38, 0x1c0
	s_movk_i32 s39, 0x1d0
	s_movk_i32 s40, 0x1e0
	v_cmp_eq_u32_e64 s[0:1], 62, v0
	s_waitcnt vmcnt(0)
	ds_write_b64 v1, v[130:131]
	s_waitcnt lgkmcnt(0)
	; wave barrier
	s_and_saveexec_b64 s[2:3], s[0:1]
	s_cbranch_execz .LBB62_10
; %bb.5:
	s_and_b64 vcc, exec, s[6:7]
	s_cbranch_vccz .LBB62_7
; %bb.6:
	scratch_load_dwordx2 v[130:131], v11, off
	ds_read_b64 v[132:133], v1
	s_waitcnt vmcnt(0) lgkmcnt(0)
	v_mul_f64 v[130:131], v[130:131], v[132:133]
	s_cbranch_execz .LBB62_8
	s_branch .LBB62_9
.LBB62_7:
                                        ; implicit-def: $vgpr130_vgpr131
.LBB62_8:
	ds_read_b64 v[130:131], v1
.LBB62_9:
	v_mov_b32_e32 v132, 0
	ds_read_b64 v[132:133], v132 offset:488
	s_waitcnt lgkmcnt(0)
	v_mul_f64 v[130:131], v[130:131], v[132:133]
	scratch_store_dwordx2 off, v[130:131], off offset:488
.LBB62_10:
	s_or_b64 exec, exec, s[2:3]
	scratch_load_dwordx2 v[130:131], off, off offset:480
	s_mov_b32 s10, 16
	s_mov_b32 s11, 32
	;; [unrolled: 1-line block ×6, first 2 shown]
	v_cmp_lt_u32_e64 s[4:5], 60, v0
	s_waitcnt vmcnt(0)
	ds_write_b64 v1, v[130:131]
	s_waitcnt lgkmcnt(0)
	; wave barrier
	s_and_saveexec_b64 s[2:3], s[4:5]
	s_cbranch_execz .LBB62_16
; %bb.11:
	s_andn2_b64 vcc, exec, s[6:7]
	s_cbranch_vccnz .LBB62_13
; %bb.12:
	scratch_load_dwordx2 v[130:131], v11, off
	ds_read_b64 v[132:133], v1
	s_waitcnt vmcnt(0) lgkmcnt(0)
	v_mul_f64 v[130:131], v[130:131], v[132:133]
	s_cbranch_execz .LBB62_14
	s_branch .LBB62_15
.LBB62_13:
                                        ; implicit-def: $vgpr130_vgpr131
.LBB62_14:
	ds_read_b64 v[130:131], v1
.LBB62_15:
	scratch_load_dwordx2 v[136:137], off, off offset:488
	v_mov_b32_e32 v132, 0
	ds_read2_b64 v[132:135], v132 offset0:60 offset1:125
	s_waitcnt vmcnt(0) lgkmcnt(0)
	v_fma_f64 v[134:135], v[136:137], v[134:135], v[130:131]
	v_cndmask_b32_e64 v131, v131, v135, s[0:1]
	v_cndmask_b32_e64 v130, v130, v134, s[0:1]
	v_mul_f64 v[130:131], v[130:131], v[132:133]
	scratch_store_dwordx2 off, v[130:131], off offset:480
.LBB62_16:
	s_or_b64 exec, exec, s[2:3]
	scratch_load_dwordx2 v[130:131], off, off offset:472
	v_cmp_lt_u32_e64 s[2:3], 59, v0
	s_waitcnt vmcnt(0)
	ds_write_b64 v1, v[130:131]
	s_waitcnt lgkmcnt(0)
	; wave barrier
	s_and_saveexec_b64 s[0:1], s[2:3]
	s_cbranch_execz .LBB62_26
; %bb.17:
	s_andn2_b64 vcc, exec, s[6:7]
	s_cbranch_vccnz .LBB62_19
; %bb.18:
	scratch_load_dwordx2 v[130:131], v11, off
	ds_read_b64 v[132:133], v1
	s_waitcnt vmcnt(0) lgkmcnt(0)
	v_mul_f64 v[130:131], v[130:131], v[132:133]
	s_cbranch_execz .LBB62_20
	s_branch .LBB62_21
.LBB62_19:
                                        ; implicit-def: $vgpr130_vgpr131
.LBB62_20:
	ds_read_b64 v[130:131], v1
.LBB62_21:
	s_and_saveexec_b64 s[8:9], s[4:5]
	s_cbranch_execz .LBB62_25
; %bb.22:
	v_subrev_u32_e32 v132, 60, v0
	s_movk_i32 s41, 0x3e0
	s_mov_b64 s[4:5], 0
.LBB62_23:                              ; =>This Inner Loop Header: Depth=1
	scratch_load_dwordx2 v[134:135], off, s40
	v_mov_b32_e32 v133, s41
	ds_read_b64 v[136:137], v133
	v_add_u32_e32 v132, -1, v132
	s_add_i32 s41, s41, 8
	s_add_i32 s40, s40, 8
	v_cmp_eq_u32_e32 vcc, 0, v132
	s_or_b64 s[4:5], vcc, s[4:5]
	s_waitcnt vmcnt(0) lgkmcnt(0)
	v_fmac_f64_e32 v[130:131], v[134:135], v[136:137]
	s_andn2_b64 exec, exec, s[4:5]
	s_cbranch_execnz .LBB62_23
; %bb.24:
	s_or_b64 exec, exec, s[4:5]
.LBB62_25:
	s_or_b64 exec, exec, s[8:9]
	v_mov_b32_e32 v132, 0
	ds_read_b64 v[132:133], v132 offset:472
	s_waitcnt lgkmcnt(0)
	v_mul_f64 v[130:131], v[130:131], v[132:133]
	scratch_store_dwordx2 off, v[130:131], off offset:472
.LBB62_26:
	s_or_b64 exec, exec, s[0:1]
	scratch_load_dwordx2 v[130:131], off, off offset:464
	v_cmp_lt_u32_e64 s[0:1], 58, v0
	s_waitcnt vmcnt(0)
	ds_write_b64 v1, v[130:131]
	s_waitcnt lgkmcnt(0)
	; wave barrier
	s_and_saveexec_b64 s[4:5], s[0:1]
	s_cbranch_execz .LBB62_36
; %bb.27:
	s_andn2_b64 vcc, exec, s[6:7]
	s_cbranch_vccnz .LBB62_29
; %bb.28:
	scratch_load_dwordx2 v[130:131], v11, off
	ds_read_b64 v[132:133], v1
	s_waitcnt vmcnt(0) lgkmcnt(0)
	v_mul_f64 v[130:131], v[130:131], v[132:133]
	s_cbranch_execz .LBB62_30
	s_branch .LBB62_31
.LBB62_29:
                                        ; implicit-def: $vgpr130_vgpr131
.LBB62_30:
	ds_read_b64 v[130:131], v1
.LBB62_31:
	s_and_saveexec_b64 s[8:9], s[2:3]
	s_cbranch_execz .LBB62_35
; %bb.32:
	s_movk_i32 s40, 0x1d8
	v_subrev_u32_e32 v132, 59, v0
	s_movk_i32 s41, 0x3d8
	s_mov_b64 s[2:3], 0
.LBB62_33:                              ; =>This Inner Loop Header: Depth=1
	scratch_load_dwordx2 v[134:135], off, s40
	v_mov_b32_e32 v133, s41
	ds_read_b64 v[136:137], v133
	v_add_u32_e32 v132, -1, v132
	s_add_i32 s41, s41, 8
	s_add_i32 s40, s40, 8
	v_cmp_eq_u32_e32 vcc, 0, v132
	s_or_b64 s[2:3], vcc, s[2:3]
	s_waitcnt vmcnt(0) lgkmcnt(0)
	v_fmac_f64_e32 v[130:131], v[134:135], v[136:137]
	s_andn2_b64 exec, exec, s[2:3]
	s_cbranch_execnz .LBB62_33
; %bb.34:
	s_or_b64 exec, exec, s[2:3]
.LBB62_35:
	s_or_b64 exec, exec, s[8:9]
	v_mov_b32_e32 v132, 0
	ds_read_b64 v[132:133], v132 offset:464
	s_waitcnt lgkmcnt(0)
	v_mul_f64 v[130:131], v[130:131], v[132:133]
	scratch_store_dwordx2 off, v[130:131], off offset:464
.LBB62_36:
	s_or_b64 exec, exec, s[4:5]
	scratch_load_dwordx2 v[130:131], off, off offset:456
	v_cmp_lt_u32_e64 s[2:3], 57, v0
	s_waitcnt vmcnt(0)
	ds_write_b64 v1, v[130:131]
	s_waitcnt lgkmcnt(0)
	; wave barrier
	s_and_saveexec_b64 s[4:5], s[2:3]
	s_cbranch_execz .LBB62_46
; %bb.37:
	s_andn2_b64 vcc, exec, s[6:7]
	s_cbranch_vccnz .LBB62_39
; %bb.38:
	scratch_load_dwordx2 v[130:131], v11, off
	ds_read_b64 v[132:133], v1
	s_waitcnt vmcnt(0) lgkmcnt(0)
	v_mul_f64 v[130:131], v[130:131], v[132:133]
	s_cbranch_execz .LBB62_40
	s_branch .LBB62_41
.LBB62_39:
                                        ; implicit-def: $vgpr130_vgpr131
.LBB62_40:
	ds_read_b64 v[130:131], v1
.LBB62_41:
	s_and_saveexec_b64 s[8:9], s[0:1]
	s_cbranch_execz .LBB62_45
; %bb.42:
	v_subrev_u32_e32 v132, 58, v0
	s_movk_i32 s40, 0x3d0
	s_mov_b64 s[0:1], 0
.LBB62_43:                              ; =>This Inner Loop Header: Depth=1
	scratch_load_dwordx2 v[134:135], off, s39
	v_mov_b32_e32 v133, s40
	ds_read_b64 v[136:137], v133
	v_add_u32_e32 v132, -1, v132
	s_add_i32 s40, s40, 8
	s_add_i32 s39, s39, 8
	v_cmp_eq_u32_e32 vcc, 0, v132
	s_or_b64 s[0:1], vcc, s[0:1]
	s_waitcnt vmcnt(0) lgkmcnt(0)
	v_fmac_f64_e32 v[130:131], v[134:135], v[136:137]
	s_andn2_b64 exec, exec, s[0:1]
	s_cbranch_execnz .LBB62_43
; %bb.44:
	s_or_b64 exec, exec, s[0:1]
.LBB62_45:
	s_or_b64 exec, exec, s[8:9]
	v_mov_b32_e32 v132, 0
	ds_read_b64 v[132:133], v132 offset:456
	s_waitcnt lgkmcnt(0)
	v_mul_f64 v[130:131], v[130:131], v[132:133]
	scratch_store_dwordx2 off, v[130:131], off offset:456
.LBB62_46:
	s_or_b64 exec, exec, s[4:5]
	scratch_load_dwordx2 v[130:131], off, off offset:448
	v_cmp_lt_u32_e64 s[0:1], 56, v0
	s_waitcnt vmcnt(0)
	ds_write_b64 v1, v[130:131]
	s_waitcnt lgkmcnt(0)
	; wave barrier
	s_and_saveexec_b64 s[4:5], s[0:1]
	s_cbranch_execz .LBB62_56
; %bb.47:
	s_andn2_b64 vcc, exec, s[6:7]
	s_cbranch_vccnz .LBB62_49
; %bb.48:
	scratch_load_dwordx2 v[130:131], v11, off
	ds_read_b64 v[132:133], v1
	s_waitcnt vmcnt(0) lgkmcnt(0)
	v_mul_f64 v[130:131], v[130:131], v[132:133]
	s_cbranch_execz .LBB62_50
	s_branch .LBB62_51
.LBB62_49:
                                        ; implicit-def: $vgpr130_vgpr131
.LBB62_50:
	ds_read_b64 v[130:131], v1
.LBB62_51:
	s_and_saveexec_b64 s[8:9], s[2:3]
	s_cbranch_execz .LBB62_55
; %bb.52:
	s_movk_i32 s39, 0x1c8
	v_subrev_u32_e32 v132, 57, v0
	s_movk_i32 s40, 0x3c8
	s_mov_b64 s[2:3], 0
.LBB62_53:                              ; =>This Inner Loop Header: Depth=1
	scratch_load_dwordx2 v[134:135], off, s39
	v_mov_b32_e32 v133, s40
	ds_read_b64 v[136:137], v133
	v_add_u32_e32 v132, -1, v132
	s_add_i32 s40, s40, 8
	s_add_i32 s39, s39, 8
	v_cmp_eq_u32_e32 vcc, 0, v132
	s_or_b64 s[2:3], vcc, s[2:3]
	s_waitcnt vmcnt(0) lgkmcnt(0)
	v_fmac_f64_e32 v[130:131], v[134:135], v[136:137]
	s_andn2_b64 exec, exec, s[2:3]
	s_cbranch_execnz .LBB62_53
; %bb.54:
	s_or_b64 exec, exec, s[2:3]
.LBB62_55:
	s_or_b64 exec, exec, s[8:9]
	v_mov_b32_e32 v132, 0
	ds_read_b64 v[132:133], v132 offset:448
	s_waitcnt lgkmcnt(0)
	v_mul_f64 v[130:131], v[130:131], v[132:133]
	scratch_store_dwordx2 off, v[130:131], off offset:448
.LBB62_56:
	s_or_b64 exec, exec, s[4:5]
	scratch_load_dwordx2 v[130:131], off, off offset:440
	v_cmp_lt_u32_e64 s[2:3], 55, v0
	s_waitcnt vmcnt(0)
	ds_write_b64 v1, v[130:131]
	s_waitcnt lgkmcnt(0)
	; wave barrier
	s_and_saveexec_b64 s[4:5], s[2:3]
	s_cbranch_execz .LBB62_66
; %bb.57:
	s_andn2_b64 vcc, exec, s[6:7]
	s_cbranch_vccnz .LBB62_59
; %bb.58:
	scratch_load_dwordx2 v[130:131], v11, off
	ds_read_b64 v[132:133], v1
	s_waitcnt vmcnt(0) lgkmcnt(0)
	v_mul_f64 v[130:131], v[130:131], v[132:133]
	s_cbranch_execz .LBB62_60
	s_branch .LBB62_61
.LBB62_59:
                                        ; implicit-def: $vgpr130_vgpr131
.LBB62_60:
	ds_read_b64 v[130:131], v1
.LBB62_61:
	s_and_saveexec_b64 s[8:9], s[0:1]
	s_cbranch_execz .LBB62_65
; %bb.62:
	v_subrev_u32_e32 v132, 56, v0
	s_movk_i32 s39, 0x3c0
	s_mov_b64 s[0:1], 0
.LBB62_63:                              ; =>This Inner Loop Header: Depth=1
	scratch_load_dwordx2 v[134:135], off, s38
	v_mov_b32_e32 v133, s39
	ds_read_b64 v[136:137], v133
	v_add_u32_e32 v132, -1, v132
	s_add_i32 s39, s39, 8
	s_add_i32 s38, s38, 8
	v_cmp_eq_u32_e32 vcc, 0, v132
	s_or_b64 s[0:1], vcc, s[0:1]
	s_waitcnt vmcnt(0) lgkmcnt(0)
	v_fmac_f64_e32 v[130:131], v[134:135], v[136:137]
	s_andn2_b64 exec, exec, s[0:1]
	s_cbranch_execnz .LBB62_63
; %bb.64:
	s_or_b64 exec, exec, s[0:1]
.LBB62_65:
	s_or_b64 exec, exec, s[8:9]
	v_mov_b32_e32 v132, 0
	ds_read_b64 v[132:133], v132 offset:440
	s_waitcnt lgkmcnt(0)
	v_mul_f64 v[130:131], v[130:131], v[132:133]
	scratch_store_dwordx2 off, v[130:131], off offset:440
.LBB62_66:
	s_or_b64 exec, exec, s[4:5]
	scratch_load_dwordx2 v[130:131], off, off offset:432
	v_cmp_lt_u32_e64 s[0:1], 54, v0
	s_waitcnt vmcnt(0)
	ds_write_b64 v1, v[130:131]
	s_waitcnt lgkmcnt(0)
	; wave barrier
	s_and_saveexec_b64 s[4:5], s[0:1]
	s_cbranch_execz .LBB62_76
; %bb.67:
	s_andn2_b64 vcc, exec, s[6:7]
	s_cbranch_vccnz .LBB62_69
; %bb.68:
	scratch_load_dwordx2 v[130:131], v11, off
	ds_read_b64 v[132:133], v1
	s_waitcnt vmcnt(0) lgkmcnt(0)
	v_mul_f64 v[130:131], v[130:131], v[132:133]
	s_cbranch_execz .LBB62_70
	s_branch .LBB62_71
.LBB62_69:
                                        ; implicit-def: $vgpr130_vgpr131
.LBB62_70:
	ds_read_b64 v[130:131], v1
.LBB62_71:
	s_and_saveexec_b64 s[8:9], s[2:3]
	s_cbranch_execz .LBB62_75
; %bb.72:
	s_movk_i32 s38, 0x1b8
	v_subrev_u32_e32 v132, 55, v0
	s_movk_i32 s39, 0x3b8
	s_mov_b64 s[2:3], 0
.LBB62_73:                              ; =>This Inner Loop Header: Depth=1
	scratch_load_dwordx2 v[134:135], off, s38
	v_mov_b32_e32 v133, s39
	ds_read_b64 v[136:137], v133
	v_add_u32_e32 v132, -1, v132
	s_add_i32 s39, s39, 8
	s_add_i32 s38, s38, 8
	v_cmp_eq_u32_e32 vcc, 0, v132
	s_or_b64 s[2:3], vcc, s[2:3]
	s_waitcnt vmcnt(0) lgkmcnt(0)
	v_fmac_f64_e32 v[130:131], v[134:135], v[136:137]
	s_andn2_b64 exec, exec, s[2:3]
	s_cbranch_execnz .LBB62_73
; %bb.74:
	s_or_b64 exec, exec, s[2:3]
.LBB62_75:
	s_or_b64 exec, exec, s[8:9]
	v_mov_b32_e32 v132, 0
	ds_read_b64 v[132:133], v132 offset:432
	s_waitcnt lgkmcnt(0)
	v_mul_f64 v[130:131], v[130:131], v[132:133]
	scratch_store_dwordx2 off, v[130:131], off offset:432
.LBB62_76:
	s_or_b64 exec, exec, s[4:5]
	scratch_load_dwordx2 v[130:131], off, off offset:424
	v_cmp_lt_u32_e64 s[2:3], 53, v0
	s_waitcnt vmcnt(0)
	ds_write_b64 v1, v[130:131]
	s_waitcnt lgkmcnt(0)
	; wave barrier
	s_and_saveexec_b64 s[4:5], s[2:3]
	s_cbranch_execz .LBB62_86
; %bb.77:
	s_andn2_b64 vcc, exec, s[6:7]
	s_cbranch_vccnz .LBB62_79
; %bb.78:
	scratch_load_dwordx2 v[130:131], v11, off
	ds_read_b64 v[132:133], v1
	s_waitcnt vmcnt(0) lgkmcnt(0)
	v_mul_f64 v[130:131], v[130:131], v[132:133]
	s_cbranch_execz .LBB62_80
	s_branch .LBB62_81
.LBB62_79:
                                        ; implicit-def: $vgpr130_vgpr131
.LBB62_80:
	ds_read_b64 v[130:131], v1
.LBB62_81:
	s_and_saveexec_b64 s[8:9], s[0:1]
	s_cbranch_execz .LBB62_85
; %bb.82:
	v_subrev_u32_e32 v132, 54, v0
	s_movk_i32 s38, 0x3b0
	s_mov_b64 s[0:1], 0
.LBB62_83:                              ; =>This Inner Loop Header: Depth=1
	scratch_load_dwordx2 v[134:135], off, s37
	v_mov_b32_e32 v133, s38
	ds_read_b64 v[136:137], v133
	v_add_u32_e32 v132, -1, v132
	s_add_i32 s38, s38, 8
	s_add_i32 s37, s37, 8
	v_cmp_eq_u32_e32 vcc, 0, v132
	s_or_b64 s[0:1], vcc, s[0:1]
	s_waitcnt vmcnt(0) lgkmcnt(0)
	v_fmac_f64_e32 v[130:131], v[134:135], v[136:137]
	s_andn2_b64 exec, exec, s[0:1]
	s_cbranch_execnz .LBB62_83
; %bb.84:
	s_or_b64 exec, exec, s[0:1]
.LBB62_85:
	s_or_b64 exec, exec, s[8:9]
	v_mov_b32_e32 v132, 0
	ds_read_b64 v[132:133], v132 offset:424
	s_waitcnt lgkmcnt(0)
	v_mul_f64 v[130:131], v[130:131], v[132:133]
	scratch_store_dwordx2 off, v[130:131], off offset:424
.LBB62_86:
	s_or_b64 exec, exec, s[4:5]
	scratch_load_dwordx2 v[130:131], off, off offset:416
	v_cmp_lt_u32_e64 s[0:1], 52, v0
	s_waitcnt vmcnt(0)
	ds_write_b64 v1, v[130:131]
	s_waitcnt lgkmcnt(0)
	; wave barrier
	s_and_saveexec_b64 s[4:5], s[0:1]
	s_cbranch_execz .LBB62_96
; %bb.87:
	s_andn2_b64 vcc, exec, s[6:7]
	s_cbranch_vccnz .LBB62_89
; %bb.88:
	scratch_load_dwordx2 v[130:131], v11, off
	ds_read_b64 v[132:133], v1
	s_waitcnt vmcnt(0) lgkmcnt(0)
	v_mul_f64 v[130:131], v[130:131], v[132:133]
	s_cbranch_execz .LBB62_90
	s_branch .LBB62_91
.LBB62_89:
                                        ; implicit-def: $vgpr130_vgpr131
.LBB62_90:
	ds_read_b64 v[130:131], v1
.LBB62_91:
	s_and_saveexec_b64 s[8:9], s[2:3]
	s_cbranch_execz .LBB62_95
; %bb.92:
	s_movk_i32 s37, 0x1a8
	v_subrev_u32_e32 v132, 53, v0
	s_movk_i32 s38, 0x3a8
	s_mov_b64 s[2:3], 0
.LBB62_93:                              ; =>This Inner Loop Header: Depth=1
	scratch_load_dwordx2 v[134:135], off, s37
	v_mov_b32_e32 v133, s38
	ds_read_b64 v[136:137], v133
	v_add_u32_e32 v132, -1, v132
	s_add_i32 s38, s38, 8
	s_add_i32 s37, s37, 8
	v_cmp_eq_u32_e32 vcc, 0, v132
	s_or_b64 s[2:3], vcc, s[2:3]
	s_waitcnt vmcnt(0) lgkmcnt(0)
	v_fmac_f64_e32 v[130:131], v[134:135], v[136:137]
	s_andn2_b64 exec, exec, s[2:3]
	s_cbranch_execnz .LBB62_93
; %bb.94:
	s_or_b64 exec, exec, s[2:3]
.LBB62_95:
	s_or_b64 exec, exec, s[8:9]
	v_mov_b32_e32 v132, 0
	ds_read_b64 v[132:133], v132 offset:416
	s_waitcnt lgkmcnt(0)
	v_mul_f64 v[130:131], v[130:131], v[132:133]
	scratch_store_dwordx2 off, v[130:131], off offset:416
.LBB62_96:
	s_or_b64 exec, exec, s[4:5]
	scratch_load_dwordx2 v[130:131], off, off offset:408
	v_cmp_lt_u32_e64 s[2:3], 51, v0
	s_waitcnt vmcnt(0)
	ds_write_b64 v1, v[130:131]
	s_waitcnt lgkmcnt(0)
	; wave barrier
	s_and_saveexec_b64 s[4:5], s[2:3]
	s_cbranch_execz .LBB62_106
; %bb.97:
	s_andn2_b64 vcc, exec, s[6:7]
	s_cbranch_vccnz .LBB62_99
; %bb.98:
	scratch_load_dwordx2 v[130:131], v11, off
	ds_read_b64 v[132:133], v1
	s_waitcnt vmcnt(0) lgkmcnt(0)
	v_mul_f64 v[130:131], v[130:131], v[132:133]
	s_cbranch_execz .LBB62_100
	s_branch .LBB62_101
.LBB62_99:
                                        ; implicit-def: $vgpr130_vgpr131
.LBB62_100:
	ds_read_b64 v[130:131], v1
.LBB62_101:
	s_and_saveexec_b64 s[8:9], s[0:1]
	s_cbranch_execz .LBB62_105
; %bb.102:
	v_subrev_u32_e32 v132, 52, v0
	s_movk_i32 s37, 0x3a0
	s_mov_b64 s[0:1], 0
.LBB62_103:                             ; =>This Inner Loop Header: Depth=1
	scratch_load_dwordx2 v[134:135], off, s36
	v_mov_b32_e32 v133, s37
	ds_read_b64 v[136:137], v133
	v_add_u32_e32 v132, -1, v132
	s_add_i32 s37, s37, 8
	s_add_i32 s36, s36, 8
	v_cmp_eq_u32_e32 vcc, 0, v132
	s_or_b64 s[0:1], vcc, s[0:1]
	s_waitcnt vmcnt(0) lgkmcnt(0)
	v_fmac_f64_e32 v[130:131], v[134:135], v[136:137]
	s_andn2_b64 exec, exec, s[0:1]
	s_cbranch_execnz .LBB62_103
; %bb.104:
	s_or_b64 exec, exec, s[0:1]
.LBB62_105:
	s_or_b64 exec, exec, s[8:9]
	v_mov_b32_e32 v132, 0
	ds_read_b64 v[132:133], v132 offset:408
	s_waitcnt lgkmcnt(0)
	v_mul_f64 v[130:131], v[130:131], v[132:133]
	scratch_store_dwordx2 off, v[130:131], off offset:408
.LBB62_106:
	s_or_b64 exec, exec, s[4:5]
	scratch_load_dwordx2 v[130:131], off, off offset:400
	v_cmp_lt_u32_e64 s[0:1], 50, v0
	s_waitcnt vmcnt(0)
	ds_write_b64 v1, v[130:131]
	s_waitcnt lgkmcnt(0)
	; wave barrier
	s_and_saveexec_b64 s[4:5], s[0:1]
	s_cbranch_execz .LBB62_116
; %bb.107:
	s_andn2_b64 vcc, exec, s[6:7]
	s_cbranch_vccnz .LBB62_109
; %bb.108:
	scratch_load_dwordx2 v[130:131], v11, off
	ds_read_b64 v[132:133], v1
	s_waitcnt vmcnt(0) lgkmcnt(0)
	v_mul_f64 v[130:131], v[130:131], v[132:133]
	s_cbranch_execz .LBB62_110
	s_branch .LBB62_111
.LBB62_109:
                                        ; implicit-def: $vgpr130_vgpr131
.LBB62_110:
	ds_read_b64 v[130:131], v1
.LBB62_111:
	s_and_saveexec_b64 s[8:9], s[2:3]
	s_cbranch_execz .LBB62_115
; %bb.112:
	s_movk_i32 s36, 0x198
	v_subrev_u32_e32 v132, 51, v0
	s_movk_i32 s37, 0x398
	s_mov_b64 s[2:3], 0
.LBB62_113:                             ; =>This Inner Loop Header: Depth=1
	scratch_load_dwordx2 v[134:135], off, s36
	v_mov_b32_e32 v133, s37
	ds_read_b64 v[136:137], v133
	v_add_u32_e32 v132, -1, v132
	s_add_i32 s37, s37, 8
	s_add_i32 s36, s36, 8
	v_cmp_eq_u32_e32 vcc, 0, v132
	s_or_b64 s[2:3], vcc, s[2:3]
	s_waitcnt vmcnt(0) lgkmcnt(0)
	v_fmac_f64_e32 v[130:131], v[134:135], v[136:137]
	s_andn2_b64 exec, exec, s[2:3]
	s_cbranch_execnz .LBB62_113
; %bb.114:
	s_or_b64 exec, exec, s[2:3]
.LBB62_115:
	s_or_b64 exec, exec, s[8:9]
	v_mov_b32_e32 v132, 0
	ds_read_b64 v[132:133], v132 offset:400
	s_waitcnt lgkmcnt(0)
	v_mul_f64 v[130:131], v[130:131], v[132:133]
	scratch_store_dwordx2 off, v[130:131], off offset:400
.LBB62_116:
	s_or_b64 exec, exec, s[4:5]
	scratch_load_dwordx2 v[130:131], off, off offset:392
	v_cmp_lt_u32_e64 s[2:3], 49, v0
	s_waitcnt vmcnt(0)
	ds_write_b64 v1, v[130:131]
	s_waitcnt lgkmcnt(0)
	; wave barrier
	s_and_saveexec_b64 s[4:5], s[2:3]
	s_cbranch_execz .LBB62_126
; %bb.117:
	s_andn2_b64 vcc, exec, s[6:7]
	s_cbranch_vccnz .LBB62_119
; %bb.118:
	scratch_load_dwordx2 v[130:131], v11, off
	ds_read_b64 v[132:133], v1
	s_waitcnt vmcnt(0) lgkmcnt(0)
	v_mul_f64 v[130:131], v[130:131], v[132:133]
	s_cbranch_execz .LBB62_120
	s_branch .LBB62_121
.LBB62_119:
                                        ; implicit-def: $vgpr130_vgpr131
.LBB62_120:
	ds_read_b64 v[130:131], v1
.LBB62_121:
	s_and_saveexec_b64 s[8:9], s[0:1]
	s_cbranch_execz .LBB62_125
; %bb.122:
	v_subrev_u32_e32 v132, 50, v0
	s_movk_i32 s36, 0x390
	s_mov_b64 s[0:1], 0
.LBB62_123:                             ; =>This Inner Loop Header: Depth=1
	scratch_load_dwordx2 v[134:135], off, s35
	v_mov_b32_e32 v133, s36
	ds_read_b64 v[136:137], v133
	v_add_u32_e32 v132, -1, v132
	s_add_i32 s36, s36, 8
	s_add_i32 s35, s35, 8
	v_cmp_eq_u32_e32 vcc, 0, v132
	s_or_b64 s[0:1], vcc, s[0:1]
	s_waitcnt vmcnt(0) lgkmcnt(0)
	v_fmac_f64_e32 v[130:131], v[134:135], v[136:137]
	s_andn2_b64 exec, exec, s[0:1]
	s_cbranch_execnz .LBB62_123
; %bb.124:
	s_or_b64 exec, exec, s[0:1]
.LBB62_125:
	s_or_b64 exec, exec, s[8:9]
	v_mov_b32_e32 v132, 0
	ds_read_b64 v[132:133], v132 offset:392
	s_waitcnt lgkmcnt(0)
	v_mul_f64 v[130:131], v[130:131], v[132:133]
	scratch_store_dwordx2 off, v[130:131], off offset:392
.LBB62_126:
	s_or_b64 exec, exec, s[4:5]
	scratch_load_dwordx2 v[130:131], off, off offset:384
	v_cmp_lt_u32_e64 s[0:1], 48, v0
	s_waitcnt vmcnt(0)
	ds_write_b64 v1, v[130:131]
	s_waitcnt lgkmcnt(0)
	; wave barrier
	s_and_saveexec_b64 s[4:5], s[0:1]
	s_cbranch_execz .LBB62_136
; %bb.127:
	s_andn2_b64 vcc, exec, s[6:7]
	s_cbranch_vccnz .LBB62_129
; %bb.128:
	scratch_load_dwordx2 v[130:131], v11, off
	ds_read_b64 v[132:133], v1
	s_waitcnt vmcnt(0) lgkmcnt(0)
	v_mul_f64 v[130:131], v[130:131], v[132:133]
	s_cbranch_execz .LBB62_130
	s_branch .LBB62_131
.LBB62_129:
                                        ; implicit-def: $vgpr130_vgpr131
.LBB62_130:
	ds_read_b64 v[130:131], v1
.LBB62_131:
	s_and_saveexec_b64 s[8:9], s[2:3]
	s_cbranch_execz .LBB62_135
; %bb.132:
	s_movk_i32 s35, 0x188
	v_subrev_u32_e32 v132, 49, v0
	s_movk_i32 s36, 0x388
	s_mov_b64 s[2:3], 0
.LBB62_133:                             ; =>This Inner Loop Header: Depth=1
	scratch_load_dwordx2 v[134:135], off, s35
	v_mov_b32_e32 v133, s36
	ds_read_b64 v[136:137], v133
	v_add_u32_e32 v132, -1, v132
	s_add_i32 s36, s36, 8
	s_add_i32 s35, s35, 8
	v_cmp_eq_u32_e32 vcc, 0, v132
	s_or_b64 s[2:3], vcc, s[2:3]
	s_waitcnt vmcnt(0) lgkmcnt(0)
	v_fmac_f64_e32 v[130:131], v[134:135], v[136:137]
	s_andn2_b64 exec, exec, s[2:3]
	s_cbranch_execnz .LBB62_133
; %bb.134:
	s_or_b64 exec, exec, s[2:3]
.LBB62_135:
	s_or_b64 exec, exec, s[8:9]
	v_mov_b32_e32 v132, 0
	ds_read_b64 v[132:133], v132 offset:384
	s_waitcnt lgkmcnt(0)
	v_mul_f64 v[130:131], v[130:131], v[132:133]
	scratch_store_dwordx2 off, v[130:131], off offset:384
.LBB62_136:
	s_or_b64 exec, exec, s[4:5]
	scratch_load_dwordx2 v[130:131], off, off offset:376
	v_cmp_lt_u32_e64 s[2:3], 47, v0
	s_waitcnt vmcnt(0)
	ds_write_b64 v1, v[130:131]
	s_waitcnt lgkmcnt(0)
	; wave barrier
	s_and_saveexec_b64 s[4:5], s[2:3]
	s_cbranch_execz .LBB62_146
; %bb.137:
	s_andn2_b64 vcc, exec, s[6:7]
	s_cbranch_vccnz .LBB62_139
; %bb.138:
	scratch_load_dwordx2 v[130:131], v11, off
	ds_read_b64 v[132:133], v1
	s_waitcnt vmcnt(0) lgkmcnt(0)
	v_mul_f64 v[130:131], v[130:131], v[132:133]
	s_cbranch_execz .LBB62_140
	s_branch .LBB62_141
.LBB62_139:
                                        ; implicit-def: $vgpr130_vgpr131
.LBB62_140:
	ds_read_b64 v[130:131], v1
.LBB62_141:
	s_and_saveexec_b64 s[8:9], s[0:1]
	s_cbranch_execz .LBB62_145
; %bb.142:
	v_subrev_u32_e32 v132, 48, v0
	s_movk_i32 s35, 0x380
	s_mov_b64 s[0:1], 0
.LBB62_143:                             ; =>This Inner Loop Header: Depth=1
	scratch_load_dwordx2 v[134:135], off, s34
	v_mov_b32_e32 v133, s35
	ds_read_b64 v[136:137], v133
	v_add_u32_e32 v132, -1, v132
	s_add_i32 s35, s35, 8
	s_add_i32 s34, s34, 8
	v_cmp_eq_u32_e32 vcc, 0, v132
	s_or_b64 s[0:1], vcc, s[0:1]
	s_waitcnt vmcnt(0) lgkmcnt(0)
	v_fmac_f64_e32 v[130:131], v[134:135], v[136:137]
	s_andn2_b64 exec, exec, s[0:1]
	s_cbranch_execnz .LBB62_143
; %bb.144:
	s_or_b64 exec, exec, s[0:1]
.LBB62_145:
	s_or_b64 exec, exec, s[8:9]
	v_mov_b32_e32 v132, 0
	ds_read_b64 v[132:133], v132 offset:376
	s_waitcnt lgkmcnt(0)
	v_mul_f64 v[130:131], v[130:131], v[132:133]
	scratch_store_dwordx2 off, v[130:131], off offset:376
.LBB62_146:
	s_or_b64 exec, exec, s[4:5]
	scratch_load_dwordx2 v[130:131], off, off offset:368
	v_cmp_lt_u32_e64 s[0:1], 46, v0
	s_waitcnt vmcnt(0)
	ds_write_b64 v1, v[130:131]
	s_waitcnt lgkmcnt(0)
	; wave barrier
	s_and_saveexec_b64 s[4:5], s[0:1]
	s_cbranch_execz .LBB62_156
; %bb.147:
	s_andn2_b64 vcc, exec, s[6:7]
	s_cbranch_vccnz .LBB62_149
; %bb.148:
	scratch_load_dwordx2 v[130:131], v11, off
	ds_read_b64 v[132:133], v1
	s_waitcnt vmcnt(0) lgkmcnt(0)
	v_mul_f64 v[130:131], v[130:131], v[132:133]
	s_cbranch_execz .LBB62_150
	s_branch .LBB62_151
.LBB62_149:
                                        ; implicit-def: $vgpr130_vgpr131
.LBB62_150:
	ds_read_b64 v[130:131], v1
.LBB62_151:
	s_and_saveexec_b64 s[8:9], s[2:3]
	s_cbranch_execz .LBB62_155
; %bb.152:
	s_movk_i32 s34, 0x178
	v_subrev_u32_e32 v132, 47, v0
	s_movk_i32 s35, 0x378
	s_mov_b64 s[2:3], 0
.LBB62_153:                             ; =>This Inner Loop Header: Depth=1
	scratch_load_dwordx2 v[134:135], off, s34
	v_mov_b32_e32 v133, s35
	ds_read_b64 v[136:137], v133
	v_add_u32_e32 v132, -1, v132
	s_add_i32 s35, s35, 8
	s_add_i32 s34, s34, 8
	v_cmp_eq_u32_e32 vcc, 0, v132
	s_or_b64 s[2:3], vcc, s[2:3]
	s_waitcnt vmcnt(0) lgkmcnt(0)
	v_fmac_f64_e32 v[130:131], v[134:135], v[136:137]
	s_andn2_b64 exec, exec, s[2:3]
	s_cbranch_execnz .LBB62_153
; %bb.154:
	s_or_b64 exec, exec, s[2:3]
.LBB62_155:
	s_or_b64 exec, exec, s[8:9]
	v_mov_b32_e32 v132, 0
	ds_read_b64 v[132:133], v132 offset:368
	s_waitcnt lgkmcnt(0)
	v_mul_f64 v[130:131], v[130:131], v[132:133]
	scratch_store_dwordx2 off, v[130:131], off offset:368
.LBB62_156:
	s_or_b64 exec, exec, s[4:5]
	scratch_load_dwordx2 v[130:131], off, off offset:360
	v_cmp_lt_u32_e64 s[2:3], 45, v0
	s_waitcnt vmcnt(0)
	ds_write_b64 v1, v[130:131]
	s_waitcnt lgkmcnt(0)
	; wave barrier
	s_and_saveexec_b64 s[4:5], s[2:3]
	s_cbranch_execz .LBB62_166
; %bb.157:
	s_andn2_b64 vcc, exec, s[6:7]
	s_cbranch_vccnz .LBB62_159
; %bb.158:
	scratch_load_dwordx2 v[130:131], v11, off
	ds_read_b64 v[132:133], v1
	s_waitcnt vmcnt(0) lgkmcnt(0)
	v_mul_f64 v[130:131], v[130:131], v[132:133]
	s_cbranch_execz .LBB62_160
	s_branch .LBB62_161
.LBB62_159:
                                        ; implicit-def: $vgpr130_vgpr131
.LBB62_160:
	ds_read_b64 v[130:131], v1
.LBB62_161:
	s_and_saveexec_b64 s[8:9], s[0:1]
	s_cbranch_execz .LBB62_165
; %bb.162:
	v_subrev_u32_e32 v132, 46, v0
	s_movk_i32 s34, 0x370
	s_mov_b64 s[0:1], 0
.LBB62_163:                             ; =>This Inner Loop Header: Depth=1
	scratch_load_dwordx2 v[134:135], off, s33
	v_mov_b32_e32 v133, s34
	ds_read_b64 v[136:137], v133
	v_add_u32_e32 v132, -1, v132
	s_add_i32 s34, s34, 8
	s_add_i32 s33, s33, 8
	v_cmp_eq_u32_e32 vcc, 0, v132
	s_or_b64 s[0:1], vcc, s[0:1]
	s_waitcnt vmcnt(0) lgkmcnt(0)
	v_fmac_f64_e32 v[130:131], v[134:135], v[136:137]
	s_andn2_b64 exec, exec, s[0:1]
	s_cbranch_execnz .LBB62_163
; %bb.164:
	s_or_b64 exec, exec, s[0:1]
.LBB62_165:
	s_or_b64 exec, exec, s[8:9]
	v_mov_b32_e32 v132, 0
	ds_read_b64 v[132:133], v132 offset:360
	s_waitcnt lgkmcnt(0)
	v_mul_f64 v[130:131], v[130:131], v[132:133]
	scratch_store_dwordx2 off, v[130:131], off offset:360
.LBB62_166:
	s_or_b64 exec, exec, s[4:5]
	scratch_load_dwordx2 v[130:131], off, off offset:352
	v_cmp_lt_u32_e64 s[0:1], 44, v0
	s_waitcnt vmcnt(0)
	ds_write_b64 v1, v[130:131]
	s_waitcnt lgkmcnt(0)
	; wave barrier
	s_and_saveexec_b64 s[4:5], s[0:1]
	s_cbranch_execz .LBB62_176
; %bb.167:
	s_andn2_b64 vcc, exec, s[6:7]
	s_cbranch_vccnz .LBB62_169
; %bb.168:
	scratch_load_dwordx2 v[130:131], v11, off
	ds_read_b64 v[132:133], v1
	s_waitcnt vmcnt(0) lgkmcnt(0)
	v_mul_f64 v[130:131], v[130:131], v[132:133]
	s_cbranch_execz .LBB62_170
	s_branch .LBB62_171
.LBB62_169:
                                        ; implicit-def: $vgpr130_vgpr131
.LBB62_170:
	ds_read_b64 v[130:131], v1
.LBB62_171:
	s_and_saveexec_b64 s[8:9], s[2:3]
	s_cbranch_execz .LBB62_175
; %bb.172:
	s_movk_i32 s33, 0x168
	v_subrev_u32_e32 v132, 45, v0
	s_movk_i32 s34, 0x368
	s_mov_b64 s[2:3], 0
.LBB62_173:                             ; =>This Inner Loop Header: Depth=1
	scratch_load_dwordx2 v[134:135], off, s33
	v_mov_b32_e32 v133, s34
	ds_read_b64 v[136:137], v133
	v_add_u32_e32 v132, -1, v132
	s_add_i32 s34, s34, 8
	s_add_i32 s33, s33, 8
	v_cmp_eq_u32_e32 vcc, 0, v132
	s_or_b64 s[2:3], vcc, s[2:3]
	s_waitcnt vmcnt(0) lgkmcnt(0)
	v_fmac_f64_e32 v[130:131], v[134:135], v[136:137]
	s_andn2_b64 exec, exec, s[2:3]
	s_cbranch_execnz .LBB62_173
; %bb.174:
	s_or_b64 exec, exec, s[2:3]
.LBB62_175:
	s_or_b64 exec, exec, s[8:9]
	v_mov_b32_e32 v132, 0
	ds_read_b64 v[132:133], v132 offset:352
	s_waitcnt lgkmcnt(0)
	v_mul_f64 v[130:131], v[130:131], v[132:133]
	scratch_store_dwordx2 off, v[130:131], off offset:352
.LBB62_176:
	s_or_b64 exec, exec, s[4:5]
	scratch_load_dwordx2 v[130:131], off, off offset:344
	v_cmp_lt_u32_e64 s[2:3], 43, v0
	s_waitcnt vmcnt(0)
	ds_write_b64 v1, v[130:131]
	s_waitcnt lgkmcnt(0)
	; wave barrier
	s_and_saveexec_b64 s[4:5], s[2:3]
	s_cbranch_execz .LBB62_186
; %bb.177:
	s_andn2_b64 vcc, exec, s[6:7]
	s_cbranch_vccnz .LBB62_179
; %bb.178:
	scratch_load_dwordx2 v[130:131], v11, off
	ds_read_b64 v[132:133], v1
	s_waitcnt vmcnt(0) lgkmcnt(0)
	v_mul_f64 v[130:131], v[130:131], v[132:133]
	s_cbranch_execz .LBB62_180
	s_branch .LBB62_181
.LBB62_179:
                                        ; implicit-def: $vgpr130_vgpr131
.LBB62_180:
	ds_read_b64 v[130:131], v1
.LBB62_181:
	s_and_saveexec_b64 s[8:9], s[0:1]
	s_cbranch_execz .LBB62_185
; %bb.182:
	v_subrev_u32_e32 v132, 44, v0
	s_movk_i32 s33, 0x360
	s_mov_b64 s[0:1], 0
.LBB62_183:                             ; =>This Inner Loop Header: Depth=1
	scratch_load_dwordx2 v[134:135], off, s31
	v_mov_b32_e32 v133, s33
	ds_read_b64 v[136:137], v133
	v_add_u32_e32 v132, -1, v132
	s_add_i32 s33, s33, 8
	s_add_i32 s31, s31, 8
	v_cmp_eq_u32_e32 vcc, 0, v132
	s_or_b64 s[0:1], vcc, s[0:1]
	s_waitcnt vmcnt(0) lgkmcnt(0)
	v_fmac_f64_e32 v[130:131], v[134:135], v[136:137]
	s_andn2_b64 exec, exec, s[0:1]
	s_cbranch_execnz .LBB62_183
; %bb.184:
	s_or_b64 exec, exec, s[0:1]
.LBB62_185:
	s_or_b64 exec, exec, s[8:9]
	v_mov_b32_e32 v132, 0
	ds_read_b64 v[132:133], v132 offset:344
	s_waitcnt lgkmcnt(0)
	v_mul_f64 v[130:131], v[130:131], v[132:133]
	scratch_store_dwordx2 off, v[130:131], off offset:344
.LBB62_186:
	s_or_b64 exec, exec, s[4:5]
	scratch_load_dwordx2 v[130:131], off, off offset:336
	v_cmp_lt_u32_e64 s[0:1], 42, v0
	s_waitcnt vmcnt(0)
	ds_write_b64 v1, v[130:131]
	s_waitcnt lgkmcnt(0)
	; wave barrier
	s_and_saveexec_b64 s[4:5], s[0:1]
	s_cbranch_execz .LBB62_196
; %bb.187:
	s_andn2_b64 vcc, exec, s[6:7]
	s_cbranch_vccnz .LBB62_189
; %bb.188:
	scratch_load_dwordx2 v[130:131], v11, off
	ds_read_b64 v[132:133], v1
	s_waitcnt vmcnt(0) lgkmcnt(0)
	v_mul_f64 v[130:131], v[130:131], v[132:133]
	s_cbranch_execz .LBB62_190
	s_branch .LBB62_191
.LBB62_189:
                                        ; implicit-def: $vgpr130_vgpr131
.LBB62_190:
	ds_read_b64 v[130:131], v1
.LBB62_191:
	s_and_saveexec_b64 s[8:9], s[2:3]
	s_cbranch_execz .LBB62_195
; %bb.192:
	s_movk_i32 s31, 0x158
	v_subrev_u32_e32 v132, 43, v0
	s_movk_i32 s33, 0x358
	s_mov_b64 s[2:3], 0
.LBB62_193:                             ; =>This Inner Loop Header: Depth=1
	scratch_load_dwordx2 v[134:135], off, s31
	v_mov_b32_e32 v133, s33
	ds_read_b64 v[136:137], v133
	v_add_u32_e32 v132, -1, v132
	s_add_i32 s33, s33, 8
	s_add_i32 s31, s31, 8
	v_cmp_eq_u32_e32 vcc, 0, v132
	s_or_b64 s[2:3], vcc, s[2:3]
	s_waitcnt vmcnt(0) lgkmcnt(0)
	v_fmac_f64_e32 v[130:131], v[134:135], v[136:137]
	s_andn2_b64 exec, exec, s[2:3]
	s_cbranch_execnz .LBB62_193
; %bb.194:
	s_or_b64 exec, exec, s[2:3]
.LBB62_195:
	s_or_b64 exec, exec, s[8:9]
	v_mov_b32_e32 v132, 0
	ds_read_b64 v[132:133], v132 offset:336
	s_waitcnt lgkmcnt(0)
	v_mul_f64 v[130:131], v[130:131], v[132:133]
	scratch_store_dwordx2 off, v[130:131], off offset:336
.LBB62_196:
	s_or_b64 exec, exec, s[4:5]
	scratch_load_dwordx2 v[130:131], off, off offset:328
	v_cmp_lt_u32_e64 s[2:3], 41, v0
	s_waitcnt vmcnt(0)
	ds_write_b64 v1, v[130:131]
	s_waitcnt lgkmcnt(0)
	; wave barrier
	s_and_saveexec_b64 s[4:5], s[2:3]
	s_cbranch_execz .LBB62_206
; %bb.197:
	s_andn2_b64 vcc, exec, s[6:7]
	s_cbranch_vccnz .LBB62_199
; %bb.198:
	scratch_load_dwordx2 v[130:131], v11, off
	ds_read_b64 v[132:133], v1
	s_waitcnt vmcnt(0) lgkmcnt(0)
	v_mul_f64 v[130:131], v[130:131], v[132:133]
	s_cbranch_execz .LBB62_200
	s_branch .LBB62_201
.LBB62_199:
                                        ; implicit-def: $vgpr130_vgpr131
.LBB62_200:
	ds_read_b64 v[130:131], v1
.LBB62_201:
	s_and_saveexec_b64 s[8:9], s[0:1]
	s_cbranch_execz .LBB62_205
; %bb.202:
	v_subrev_u32_e32 v132, 42, v0
	s_movk_i32 s31, 0x350
	s_mov_b64 s[0:1], 0
.LBB62_203:                             ; =>This Inner Loop Header: Depth=1
	scratch_load_dwordx2 v[134:135], off, s30
	v_mov_b32_e32 v133, s31
	ds_read_b64 v[136:137], v133
	v_add_u32_e32 v132, -1, v132
	s_add_i32 s31, s31, 8
	s_add_i32 s30, s30, 8
	v_cmp_eq_u32_e32 vcc, 0, v132
	s_or_b64 s[0:1], vcc, s[0:1]
	s_waitcnt vmcnt(0) lgkmcnt(0)
	v_fmac_f64_e32 v[130:131], v[134:135], v[136:137]
	s_andn2_b64 exec, exec, s[0:1]
	s_cbranch_execnz .LBB62_203
; %bb.204:
	s_or_b64 exec, exec, s[0:1]
.LBB62_205:
	s_or_b64 exec, exec, s[8:9]
	v_mov_b32_e32 v132, 0
	ds_read_b64 v[132:133], v132 offset:328
	s_waitcnt lgkmcnt(0)
	v_mul_f64 v[130:131], v[130:131], v[132:133]
	scratch_store_dwordx2 off, v[130:131], off offset:328
.LBB62_206:
	s_or_b64 exec, exec, s[4:5]
	scratch_load_dwordx2 v[130:131], off, off offset:320
	v_cmp_lt_u32_e64 s[0:1], 40, v0
	s_waitcnt vmcnt(0)
	ds_write_b64 v1, v[130:131]
	s_waitcnt lgkmcnt(0)
	; wave barrier
	s_and_saveexec_b64 s[4:5], s[0:1]
	s_cbranch_execz .LBB62_216
; %bb.207:
	s_andn2_b64 vcc, exec, s[6:7]
	s_cbranch_vccnz .LBB62_209
; %bb.208:
	scratch_load_dwordx2 v[130:131], v11, off
	ds_read_b64 v[132:133], v1
	s_waitcnt vmcnt(0) lgkmcnt(0)
	v_mul_f64 v[130:131], v[130:131], v[132:133]
	s_cbranch_execz .LBB62_210
	s_branch .LBB62_211
.LBB62_209:
                                        ; implicit-def: $vgpr130_vgpr131
.LBB62_210:
	ds_read_b64 v[130:131], v1
.LBB62_211:
	s_and_saveexec_b64 s[8:9], s[2:3]
	s_cbranch_execz .LBB62_215
; %bb.212:
	s_movk_i32 s30, 0x148
	v_subrev_u32_e32 v132, 41, v0
	s_movk_i32 s31, 0x348
	s_mov_b64 s[2:3], 0
.LBB62_213:                             ; =>This Inner Loop Header: Depth=1
	scratch_load_dwordx2 v[134:135], off, s30
	v_mov_b32_e32 v133, s31
	ds_read_b64 v[136:137], v133
	v_add_u32_e32 v132, -1, v132
	s_add_i32 s31, s31, 8
	s_add_i32 s30, s30, 8
	v_cmp_eq_u32_e32 vcc, 0, v132
	s_or_b64 s[2:3], vcc, s[2:3]
	s_waitcnt vmcnt(0) lgkmcnt(0)
	v_fmac_f64_e32 v[130:131], v[134:135], v[136:137]
	s_andn2_b64 exec, exec, s[2:3]
	s_cbranch_execnz .LBB62_213
; %bb.214:
	s_or_b64 exec, exec, s[2:3]
.LBB62_215:
	s_or_b64 exec, exec, s[8:9]
	v_mov_b32_e32 v132, 0
	ds_read_b64 v[132:133], v132 offset:320
	s_waitcnt lgkmcnt(0)
	v_mul_f64 v[130:131], v[130:131], v[132:133]
	scratch_store_dwordx2 off, v[130:131], off offset:320
.LBB62_216:
	s_or_b64 exec, exec, s[4:5]
	scratch_load_dwordx2 v[130:131], off, off offset:312
	v_cmp_lt_u32_e64 s[2:3], 39, v0
	s_waitcnt vmcnt(0)
	ds_write_b64 v1, v[130:131]
	s_waitcnt lgkmcnt(0)
	; wave barrier
	s_and_saveexec_b64 s[4:5], s[2:3]
	s_cbranch_execz .LBB62_226
; %bb.217:
	s_andn2_b64 vcc, exec, s[6:7]
	s_cbranch_vccnz .LBB62_219
; %bb.218:
	scratch_load_dwordx2 v[130:131], v11, off
	ds_read_b64 v[132:133], v1
	s_waitcnt vmcnt(0) lgkmcnt(0)
	v_mul_f64 v[130:131], v[130:131], v[132:133]
	s_cbranch_execz .LBB62_220
	s_branch .LBB62_221
.LBB62_219:
                                        ; implicit-def: $vgpr130_vgpr131
.LBB62_220:
	ds_read_b64 v[130:131], v1
.LBB62_221:
	s_and_saveexec_b64 s[8:9], s[0:1]
	s_cbranch_execz .LBB62_225
; %bb.222:
	v_subrev_u32_e32 v132, 40, v0
	s_movk_i32 s30, 0x340
	s_mov_b64 s[0:1], 0
.LBB62_223:                             ; =>This Inner Loop Header: Depth=1
	scratch_load_dwordx2 v[134:135], off, s29
	v_mov_b32_e32 v133, s30
	ds_read_b64 v[136:137], v133
	v_add_u32_e32 v132, -1, v132
	s_add_i32 s30, s30, 8
	s_add_i32 s29, s29, 8
	v_cmp_eq_u32_e32 vcc, 0, v132
	s_or_b64 s[0:1], vcc, s[0:1]
	s_waitcnt vmcnt(0) lgkmcnt(0)
	v_fmac_f64_e32 v[130:131], v[134:135], v[136:137]
	s_andn2_b64 exec, exec, s[0:1]
	s_cbranch_execnz .LBB62_223
; %bb.224:
	s_or_b64 exec, exec, s[0:1]
.LBB62_225:
	s_or_b64 exec, exec, s[8:9]
	v_mov_b32_e32 v132, 0
	ds_read_b64 v[132:133], v132 offset:312
	s_waitcnt lgkmcnt(0)
	v_mul_f64 v[130:131], v[130:131], v[132:133]
	scratch_store_dwordx2 off, v[130:131], off offset:312
.LBB62_226:
	s_or_b64 exec, exec, s[4:5]
	scratch_load_dwordx2 v[130:131], off, off offset:304
	v_cmp_lt_u32_e64 s[0:1], 38, v0
	s_waitcnt vmcnt(0)
	ds_write_b64 v1, v[130:131]
	s_waitcnt lgkmcnt(0)
	; wave barrier
	s_and_saveexec_b64 s[4:5], s[0:1]
	s_cbranch_execz .LBB62_236
; %bb.227:
	s_andn2_b64 vcc, exec, s[6:7]
	s_cbranch_vccnz .LBB62_229
; %bb.228:
	scratch_load_dwordx2 v[130:131], v11, off
	ds_read_b64 v[132:133], v1
	s_waitcnt vmcnt(0) lgkmcnt(0)
	v_mul_f64 v[130:131], v[130:131], v[132:133]
	s_cbranch_execz .LBB62_230
	s_branch .LBB62_231
.LBB62_229:
                                        ; implicit-def: $vgpr130_vgpr131
.LBB62_230:
	ds_read_b64 v[130:131], v1
.LBB62_231:
	s_and_saveexec_b64 s[8:9], s[2:3]
	s_cbranch_execz .LBB62_235
; %bb.232:
	s_movk_i32 s29, 0x138
	v_subrev_u32_e32 v132, 39, v0
	s_movk_i32 s30, 0x338
	s_mov_b64 s[2:3], 0
.LBB62_233:                             ; =>This Inner Loop Header: Depth=1
	scratch_load_dwordx2 v[134:135], off, s29
	v_mov_b32_e32 v133, s30
	ds_read_b64 v[136:137], v133
	v_add_u32_e32 v132, -1, v132
	s_add_i32 s30, s30, 8
	s_add_i32 s29, s29, 8
	v_cmp_eq_u32_e32 vcc, 0, v132
	s_or_b64 s[2:3], vcc, s[2:3]
	s_waitcnt vmcnt(0) lgkmcnt(0)
	v_fmac_f64_e32 v[130:131], v[134:135], v[136:137]
	s_andn2_b64 exec, exec, s[2:3]
	s_cbranch_execnz .LBB62_233
; %bb.234:
	s_or_b64 exec, exec, s[2:3]
.LBB62_235:
	s_or_b64 exec, exec, s[8:9]
	v_mov_b32_e32 v132, 0
	ds_read_b64 v[132:133], v132 offset:304
	s_waitcnt lgkmcnt(0)
	v_mul_f64 v[130:131], v[130:131], v[132:133]
	scratch_store_dwordx2 off, v[130:131], off offset:304
.LBB62_236:
	s_or_b64 exec, exec, s[4:5]
	scratch_load_dwordx2 v[130:131], off, off offset:296
	v_cmp_lt_u32_e64 s[2:3], 37, v0
	s_waitcnt vmcnt(0)
	ds_write_b64 v1, v[130:131]
	s_waitcnt lgkmcnt(0)
	; wave barrier
	s_and_saveexec_b64 s[4:5], s[2:3]
	s_cbranch_execz .LBB62_246
; %bb.237:
	s_andn2_b64 vcc, exec, s[6:7]
	s_cbranch_vccnz .LBB62_239
; %bb.238:
	scratch_load_dwordx2 v[130:131], v11, off
	ds_read_b64 v[132:133], v1
	s_waitcnt vmcnt(0) lgkmcnt(0)
	v_mul_f64 v[130:131], v[130:131], v[132:133]
	s_cbranch_execz .LBB62_240
	s_branch .LBB62_241
.LBB62_239:
                                        ; implicit-def: $vgpr130_vgpr131
.LBB62_240:
	ds_read_b64 v[130:131], v1
.LBB62_241:
	s_and_saveexec_b64 s[8:9], s[0:1]
	s_cbranch_execz .LBB62_245
; %bb.242:
	v_subrev_u32_e32 v132, 38, v0
	s_movk_i32 s29, 0x330
	s_mov_b64 s[0:1], 0
.LBB62_243:                             ; =>This Inner Loop Header: Depth=1
	scratch_load_dwordx2 v[134:135], off, s28
	v_mov_b32_e32 v133, s29
	ds_read_b64 v[136:137], v133
	v_add_u32_e32 v132, -1, v132
	s_add_i32 s29, s29, 8
	s_add_i32 s28, s28, 8
	v_cmp_eq_u32_e32 vcc, 0, v132
	s_or_b64 s[0:1], vcc, s[0:1]
	s_waitcnt vmcnt(0) lgkmcnt(0)
	v_fmac_f64_e32 v[130:131], v[134:135], v[136:137]
	s_andn2_b64 exec, exec, s[0:1]
	s_cbranch_execnz .LBB62_243
; %bb.244:
	s_or_b64 exec, exec, s[0:1]
.LBB62_245:
	s_or_b64 exec, exec, s[8:9]
	v_mov_b32_e32 v132, 0
	ds_read_b64 v[132:133], v132 offset:296
	s_waitcnt lgkmcnt(0)
	v_mul_f64 v[130:131], v[130:131], v[132:133]
	scratch_store_dwordx2 off, v[130:131], off offset:296
.LBB62_246:
	s_or_b64 exec, exec, s[4:5]
	scratch_load_dwordx2 v[130:131], off, off offset:288
	v_cmp_lt_u32_e64 s[0:1], 36, v0
	s_waitcnt vmcnt(0)
	ds_write_b64 v1, v[130:131]
	s_waitcnt lgkmcnt(0)
	; wave barrier
	s_and_saveexec_b64 s[4:5], s[0:1]
	s_cbranch_execz .LBB62_256
; %bb.247:
	s_andn2_b64 vcc, exec, s[6:7]
	s_cbranch_vccnz .LBB62_249
; %bb.248:
	scratch_load_dwordx2 v[130:131], v11, off
	ds_read_b64 v[132:133], v1
	s_waitcnt vmcnt(0) lgkmcnt(0)
	v_mul_f64 v[130:131], v[130:131], v[132:133]
	s_cbranch_execz .LBB62_250
	s_branch .LBB62_251
.LBB62_249:
                                        ; implicit-def: $vgpr130_vgpr131
.LBB62_250:
	ds_read_b64 v[130:131], v1
.LBB62_251:
	s_and_saveexec_b64 s[8:9], s[2:3]
	s_cbranch_execz .LBB62_255
; %bb.252:
	s_movk_i32 s28, 0x128
	v_subrev_u32_e32 v132, 37, v0
	s_movk_i32 s29, 0x328
	s_mov_b64 s[2:3], 0
.LBB62_253:                             ; =>This Inner Loop Header: Depth=1
	scratch_load_dwordx2 v[134:135], off, s28
	v_mov_b32_e32 v133, s29
	ds_read_b64 v[136:137], v133
	v_add_u32_e32 v132, -1, v132
	s_add_i32 s29, s29, 8
	s_add_i32 s28, s28, 8
	v_cmp_eq_u32_e32 vcc, 0, v132
	s_or_b64 s[2:3], vcc, s[2:3]
	s_waitcnt vmcnt(0) lgkmcnt(0)
	v_fmac_f64_e32 v[130:131], v[134:135], v[136:137]
	s_andn2_b64 exec, exec, s[2:3]
	s_cbranch_execnz .LBB62_253
; %bb.254:
	s_or_b64 exec, exec, s[2:3]
.LBB62_255:
	s_or_b64 exec, exec, s[8:9]
	v_mov_b32_e32 v132, 0
	ds_read_b64 v[132:133], v132 offset:288
	s_waitcnt lgkmcnt(0)
	v_mul_f64 v[130:131], v[130:131], v[132:133]
	scratch_store_dwordx2 off, v[130:131], off offset:288
.LBB62_256:
	s_or_b64 exec, exec, s[4:5]
	scratch_load_dwordx2 v[130:131], off, off offset:280
	v_cmp_lt_u32_e64 s[2:3], 35, v0
	s_waitcnt vmcnt(0)
	ds_write_b64 v1, v[130:131]
	s_waitcnt lgkmcnt(0)
	; wave barrier
	s_and_saveexec_b64 s[4:5], s[2:3]
	s_cbranch_execz .LBB62_266
; %bb.257:
	s_andn2_b64 vcc, exec, s[6:7]
	s_cbranch_vccnz .LBB62_259
; %bb.258:
	scratch_load_dwordx2 v[130:131], v11, off
	ds_read_b64 v[132:133], v1
	s_waitcnt vmcnt(0) lgkmcnt(0)
	v_mul_f64 v[130:131], v[130:131], v[132:133]
	s_cbranch_execz .LBB62_260
	s_branch .LBB62_261
.LBB62_259:
                                        ; implicit-def: $vgpr130_vgpr131
.LBB62_260:
	ds_read_b64 v[130:131], v1
.LBB62_261:
	s_and_saveexec_b64 s[8:9], s[0:1]
	s_cbranch_execz .LBB62_265
; %bb.262:
	v_subrev_u32_e32 v132, 36, v0
	s_movk_i32 s28, 0x320
	s_mov_b64 s[0:1], 0
.LBB62_263:                             ; =>This Inner Loop Header: Depth=1
	scratch_load_dwordx2 v[134:135], off, s27
	v_mov_b32_e32 v133, s28
	ds_read_b64 v[136:137], v133
	v_add_u32_e32 v132, -1, v132
	s_add_i32 s28, s28, 8
	s_add_i32 s27, s27, 8
	v_cmp_eq_u32_e32 vcc, 0, v132
	s_or_b64 s[0:1], vcc, s[0:1]
	s_waitcnt vmcnt(0) lgkmcnt(0)
	v_fmac_f64_e32 v[130:131], v[134:135], v[136:137]
	s_andn2_b64 exec, exec, s[0:1]
	s_cbranch_execnz .LBB62_263
; %bb.264:
	s_or_b64 exec, exec, s[0:1]
.LBB62_265:
	s_or_b64 exec, exec, s[8:9]
	v_mov_b32_e32 v132, 0
	ds_read_b64 v[132:133], v132 offset:280
	s_waitcnt lgkmcnt(0)
	v_mul_f64 v[130:131], v[130:131], v[132:133]
	scratch_store_dwordx2 off, v[130:131], off offset:280
.LBB62_266:
	s_or_b64 exec, exec, s[4:5]
	scratch_load_dwordx2 v[130:131], off, off offset:272
	v_cmp_lt_u32_e64 s[0:1], 34, v0
	s_waitcnt vmcnt(0)
	ds_write_b64 v1, v[130:131]
	s_waitcnt lgkmcnt(0)
	; wave barrier
	s_and_saveexec_b64 s[4:5], s[0:1]
	s_cbranch_execz .LBB62_276
; %bb.267:
	s_andn2_b64 vcc, exec, s[6:7]
	s_cbranch_vccnz .LBB62_269
; %bb.268:
	scratch_load_dwordx2 v[130:131], v11, off
	ds_read_b64 v[132:133], v1
	s_waitcnt vmcnt(0) lgkmcnt(0)
	v_mul_f64 v[130:131], v[130:131], v[132:133]
	s_cbranch_execz .LBB62_270
	s_branch .LBB62_271
.LBB62_269:
                                        ; implicit-def: $vgpr130_vgpr131
.LBB62_270:
	ds_read_b64 v[130:131], v1
.LBB62_271:
	s_and_saveexec_b64 s[8:9], s[2:3]
	s_cbranch_execz .LBB62_275
; %bb.272:
	s_movk_i32 s27, 0x118
	v_subrev_u32_e32 v132, 35, v0
	s_movk_i32 s28, 0x318
	s_mov_b64 s[2:3], 0
.LBB62_273:                             ; =>This Inner Loop Header: Depth=1
	scratch_load_dwordx2 v[134:135], off, s27
	v_mov_b32_e32 v133, s28
	ds_read_b64 v[136:137], v133
	v_add_u32_e32 v132, -1, v132
	s_add_i32 s28, s28, 8
	s_add_i32 s27, s27, 8
	v_cmp_eq_u32_e32 vcc, 0, v132
	s_or_b64 s[2:3], vcc, s[2:3]
	s_waitcnt vmcnt(0) lgkmcnt(0)
	v_fmac_f64_e32 v[130:131], v[134:135], v[136:137]
	s_andn2_b64 exec, exec, s[2:3]
	s_cbranch_execnz .LBB62_273
; %bb.274:
	s_or_b64 exec, exec, s[2:3]
.LBB62_275:
	s_or_b64 exec, exec, s[8:9]
	v_mov_b32_e32 v132, 0
	ds_read_b64 v[132:133], v132 offset:272
	s_waitcnt lgkmcnt(0)
	v_mul_f64 v[130:131], v[130:131], v[132:133]
	scratch_store_dwordx2 off, v[130:131], off offset:272
.LBB62_276:
	s_or_b64 exec, exec, s[4:5]
	scratch_load_dwordx2 v[130:131], off, off offset:264
	v_cmp_lt_u32_e64 s[2:3], 33, v0
	s_waitcnt vmcnt(0)
	ds_write_b64 v1, v[130:131]
	s_waitcnt lgkmcnt(0)
	; wave barrier
	s_and_saveexec_b64 s[4:5], s[2:3]
	s_cbranch_execz .LBB62_286
; %bb.277:
	s_andn2_b64 vcc, exec, s[6:7]
	s_cbranch_vccnz .LBB62_279
; %bb.278:
	scratch_load_dwordx2 v[130:131], v11, off
	ds_read_b64 v[132:133], v1
	s_waitcnt vmcnt(0) lgkmcnt(0)
	v_mul_f64 v[130:131], v[130:131], v[132:133]
	s_cbranch_execz .LBB62_280
	s_branch .LBB62_281
.LBB62_279:
                                        ; implicit-def: $vgpr130_vgpr131
.LBB62_280:
	ds_read_b64 v[130:131], v1
.LBB62_281:
	s_and_saveexec_b64 s[8:9], s[0:1]
	s_cbranch_execz .LBB62_285
; %bb.282:
	v_subrev_u32_e32 v132, 34, v0
	s_movk_i32 s27, 0x310
	s_mov_b64 s[0:1], 0
.LBB62_283:                             ; =>This Inner Loop Header: Depth=1
	scratch_load_dwordx2 v[134:135], off, s26
	v_mov_b32_e32 v133, s27
	ds_read_b64 v[136:137], v133
	v_add_u32_e32 v132, -1, v132
	s_add_i32 s27, s27, 8
	s_add_i32 s26, s26, 8
	v_cmp_eq_u32_e32 vcc, 0, v132
	s_or_b64 s[0:1], vcc, s[0:1]
	s_waitcnt vmcnt(0) lgkmcnt(0)
	v_fmac_f64_e32 v[130:131], v[134:135], v[136:137]
	s_andn2_b64 exec, exec, s[0:1]
	s_cbranch_execnz .LBB62_283
; %bb.284:
	s_or_b64 exec, exec, s[0:1]
.LBB62_285:
	s_or_b64 exec, exec, s[8:9]
	v_mov_b32_e32 v132, 0
	ds_read_b64 v[132:133], v132 offset:264
	s_waitcnt lgkmcnt(0)
	v_mul_f64 v[130:131], v[130:131], v[132:133]
	scratch_store_dwordx2 off, v[130:131], off offset:264
.LBB62_286:
	s_or_b64 exec, exec, s[4:5]
	scratch_load_dwordx2 v[130:131], off, off offset:256
	v_cmp_lt_u32_e64 s[0:1], 32, v0
	s_waitcnt vmcnt(0)
	ds_write_b64 v1, v[130:131]
	s_waitcnt lgkmcnt(0)
	; wave barrier
	s_and_saveexec_b64 s[4:5], s[0:1]
	s_cbranch_execz .LBB62_296
; %bb.287:
	s_andn2_b64 vcc, exec, s[6:7]
	s_cbranch_vccnz .LBB62_289
; %bb.288:
	scratch_load_dwordx2 v[130:131], v11, off
	ds_read_b64 v[132:133], v1
	s_waitcnt vmcnt(0) lgkmcnt(0)
	v_mul_f64 v[130:131], v[130:131], v[132:133]
	s_cbranch_execz .LBB62_290
	s_branch .LBB62_291
.LBB62_289:
                                        ; implicit-def: $vgpr130_vgpr131
.LBB62_290:
	ds_read_b64 v[130:131], v1
.LBB62_291:
	s_and_saveexec_b64 s[8:9], s[2:3]
	s_cbranch_execz .LBB62_295
; %bb.292:
	s_movk_i32 s26, 0x108
	v_subrev_u32_e32 v132, 33, v0
	s_movk_i32 s27, 0x308
	s_mov_b64 s[2:3], 0
.LBB62_293:                             ; =>This Inner Loop Header: Depth=1
	scratch_load_dwordx2 v[134:135], off, s26
	v_mov_b32_e32 v133, s27
	ds_read_b64 v[136:137], v133
	v_add_u32_e32 v132, -1, v132
	s_add_i32 s27, s27, 8
	s_add_i32 s26, s26, 8
	v_cmp_eq_u32_e32 vcc, 0, v132
	s_or_b64 s[2:3], vcc, s[2:3]
	s_waitcnt vmcnt(0) lgkmcnt(0)
	v_fmac_f64_e32 v[130:131], v[134:135], v[136:137]
	s_andn2_b64 exec, exec, s[2:3]
	s_cbranch_execnz .LBB62_293
; %bb.294:
	s_or_b64 exec, exec, s[2:3]
.LBB62_295:
	s_or_b64 exec, exec, s[8:9]
	v_mov_b32_e32 v132, 0
	ds_read_b64 v[132:133], v132 offset:256
	s_waitcnt lgkmcnt(0)
	v_mul_f64 v[130:131], v[130:131], v[132:133]
	scratch_store_dwordx2 off, v[130:131], off offset:256
.LBB62_296:
	s_or_b64 exec, exec, s[4:5]
	scratch_load_dwordx2 v[130:131], off, off offset:248
	v_cmp_lt_u32_e64 s[2:3], 31, v0
	s_waitcnt vmcnt(0)
	ds_write_b64 v1, v[130:131]
	s_waitcnt lgkmcnt(0)
	; wave barrier
	s_and_saveexec_b64 s[4:5], s[2:3]
	s_cbranch_execz .LBB62_306
; %bb.297:
	s_andn2_b64 vcc, exec, s[6:7]
	s_cbranch_vccnz .LBB62_299
; %bb.298:
	scratch_load_dwordx2 v[130:131], v11, off
	ds_read_b64 v[132:133], v1
	s_waitcnt vmcnt(0) lgkmcnt(0)
	v_mul_f64 v[130:131], v[130:131], v[132:133]
	s_cbranch_execz .LBB62_300
	s_branch .LBB62_301
.LBB62_299:
                                        ; implicit-def: $vgpr130_vgpr131
.LBB62_300:
	ds_read_b64 v[130:131], v1
.LBB62_301:
	s_and_saveexec_b64 s[8:9], s[0:1]
	s_cbranch_execz .LBB62_305
; %bb.302:
	v_subrev_u32_e32 v132, 32, v0
	s_movk_i32 s26, 0x300
	s_mov_b64 s[0:1], 0
.LBB62_303:                             ; =>This Inner Loop Header: Depth=1
	scratch_load_dwordx2 v[134:135], off, s25
	v_mov_b32_e32 v133, s26
	ds_read_b64 v[136:137], v133
	v_add_u32_e32 v132, -1, v132
	s_add_i32 s26, s26, 8
	s_add_i32 s25, s25, 8
	v_cmp_eq_u32_e32 vcc, 0, v132
	s_or_b64 s[0:1], vcc, s[0:1]
	s_waitcnt vmcnt(0) lgkmcnt(0)
	v_fmac_f64_e32 v[130:131], v[134:135], v[136:137]
	s_andn2_b64 exec, exec, s[0:1]
	s_cbranch_execnz .LBB62_303
; %bb.304:
	s_or_b64 exec, exec, s[0:1]
.LBB62_305:
	s_or_b64 exec, exec, s[8:9]
	v_mov_b32_e32 v132, 0
	ds_read_b64 v[132:133], v132 offset:248
	s_waitcnt lgkmcnt(0)
	v_mul_f64 v[130:131], v[130:131], v[132:133]
	scratch_store_dwordx2 off, v[130:131], off offset:248
.LBB62_306:
	s_or_b64 exec, exec, s[4:5]
	scratch_load_dwordx2 v[130:131], off, off offset:240
	v_cmp_lt_u32_e64 s[0:1], 30, v0
	s_waitcnt vmcnt(0)
	ds_write_b64 v1, v[130:131]
	s_waitcnt lgkmcnt(0)
	; wave barrier
	s_and_saveexec_b64 s[4:5], s[0:1]
	s_cbranch_execz .LBB62_316
; %bb.307:
	s_andn2_b64 vcc, exec, s[6:7]
	s_cbranch_vccnz .LBB62_309
; %bb.308:
	scratch_load_dwordx2 v[130:131], v11, off
	ds_read_b64 v[132:133], v1
	s_waitcnt vmcnt(0) lgkmcnt(0)
	v_mul_f64 v[130:131], v[130:131], v[132:133]
	s_cbranch_execz .LBB62_310
	s_branch .LBB62_311
.LBB62_309:
                                        ; implicit-def: $vgpr130_vgpr131
.LBB62_310:
	ds_read_b64 v[130:131], v1
.LBB62_311:
	s_and_saveexec_b64 s[8:9], s[2:3]
	s_cbranch_execz .LBB62_315
; %bb.312:
	s_movk_i32 s25, 0xf8
	v_subrev_u32_e32 v132, 31, v0
	s_movk_i32 s26, 0x2f8
	s_mov_b64 s[2:3], 0
.LBB62_313:                             ; =>This Inner Loop Header: Depth=1
	scratch_load_dwordx2 v[134:135], off, s25
	v_mov_b32_e32 v133, s26
	ds_read_b64 v[136:137], v133
	v_add_u32_e32 v132, -1, v132
	s_add_i32 s26, s26, 8
	s_add_i32 s25, s25, 8
	v_cmp_eq_u32_e32 vcc, 0, v132
	s_or_b64 s[2:3], vcc, s[2:3]
	s_waitcnt vmcnt(0) lgkmcnt(0)
	v_fmac_f64_e32 v[130:131], v[134:135], v[136:137]
	s_andn2_b64 exec, exec, s[2:3]
	s_cbranch_execnz .LBB62_313
; %bb.314:
	s_or_b64 exec, exec, s[2:3]
.LBB62_315:
	s_or_b64 exec, exec, s[8:9]
	v_mov_b32_e32 v132, 0
	ds_read_b64 v[132:133], v132 offset:240
	s_waitcnt lgkmcnt(0)
	v_mul_f64 v[130:131], v[130:131], v[132:133]
	scratch_store_dwordx2 off, v[130:131], off offset:240
.LBB62_316:
	s_or_b64 exec, exec, s[4:5]
	scratch_load_dwordx2 v[130:131], off, off offset:232
	v_cmp_lt_u32_e64 s[2:3], 29, v0
	s_waitcnt vmcnt(0)
	ds_write_b64 v1, v[130:131]
	s_waitcnt lgkmcnt(0)
	; wave barrier
	s_and_saveexec_b64 s[4:5], s[2:3]
	s_cbranch_execz .LBB62_326
; %bb.317:
	s_andn2_b64 vcc, exec, s[6:7]
	s_cbranch_vccnz .LBB62_319
; %bb.318:
	scratch_load_dwordx2 v[130:131], v11, off
	ds_read_b64 v[132:133], v1
	s_waitcnt vmcnt(0) lgkmcnt(0)
	v_mul_f64 v[130:131], v[130:131], v[132:133]
	s_cbranch_execz .LBB62_320
	s_branch .LBB62_321
.LBB62_319:
                                        ; implicit-def: $vgpr130_vgpr131
.LBB62_320:
	ds_read_b64 v[130:131], v1
.LBB62_321:
	s_and_saveexec_b64 s[8:9], s[0:1]
	s_cbranch_execz .LBB62_325
; %bb.322:
	v_subrev_u32_e32 v132, 30, v0
	s_movk_i32 s25, 0x2f0
	s_mov_b64 s[0:1], 0
.LBB62_323:                             ; =>This Inner Loop Header: Depth=1
	scratch_load_dwordx2 v[134:135], off, s24
	v_mov_b32_e32 v133, s25
	ds_read_b64 v[136:137], v133
	v_add_u32_e32 v132, -1, v132
	s_add_i32 s25, s25, 8
	s_add_i32 s24, s24, 8
	v_cmp_eq_u32_e32 vcc, 0, v132
	s_or_b64 s[0:1], vcc, s[0:1]
	s_waitcnt vmcnt(0) lgkmcnt(0)
	v_fmac_f64_e32 v[130:131], v[134:135], v[136:137]
	s_andn2_b64 exec, exec, s[0:1]
	s_cbranch_execnz .LBB62_323
; %bb.324:
	s_or_b64 exec, exec, s[0:1]
.LBB62_325:
	s_or_b64 exec, exec, s[8:9]
	v_mov_b32_e32 v132, 0
	ds_read_b64 v[132:133], v132 offset:232
	s_waitcnt lgkmcnt(0)
	v_mul_f64 v[130:131], v[130:131], v[132:133]
	scratch_store_dwordx2 off, v[130:131], off offset:232
.LBB62_326:
	s_or_b64 exec, exec, s[4:5]
	scratch_load_dwordx2 v[130:131], off, off offset:224
	v_cmp_lt_u32_e64 s[0:1], 28, v0
	s_waitcnt vmcnt(0)
	ds_write_b64 v1, v[130:131]
	s_waitcnt lgkmcnt(0)
	; wave barrier
	s_and_saveexec_b64 s[4:5], s[0:1]
	s_cbranch_execz .LBB62_336
; %bb.327:
	s_andn2_b64 vcc, exec, s[6:7]
	s_cbranch_vccnz .LBB62_329
; %bb.328:
	scratch_load_dwordx2 v[130:131], v11, off
	ds_read_b64 v[132:133], v1
	s_waitcnt vmcnt(0) lgkmcnt(0)
	v_mul_f64 v[130:131], v[130:131], v[132:133]
	s_cbranch_execz .LBB62_330
	s_branch .LBB62_331
.LBB62_329:
                                        ; implicit-def: $vgpr130_vgpr131
.LBB62_330:
	ds_read_b64 v[130:131], v1
.LBB62_331:
	s_and_saveexec_b64 s[8:9], s[2:3]
	s_cbranch_execz .LBB62_335
; %bb.332:
	s_movk_i32 s24, 0xe8
	v_subrev_u32_e32 v132, 29, v0
	s_movk_i32 s25, 0x2e8
	s_mov_b64 s[2:3], 0
.LBB62_333:                             ; =>This Inner Loop Header: Depth=1
	scratch_load_dwordx2 v[134:135], off, s24
	v_mov_b32_e32 v133, s25
	ds_read_b64 v[136:137], v133
	v_add_u32_e32 v132, -1, v132
	s_add_i32 s25, s25, 8
	s_add_i32 s24, s24, 8
	v_cmp_eq_u32_e32 vcc, 0, v132
	s_or_b64 s[2:3], vcc, s[2:3]
	s_waitcnt vmcnt(0) lgkmcnt(0)
	v_fmac_f64_e32 v[130:131], v[134:135], v[136:137]
	s_andn2_b64 exec, exec, s[2:3]
	s_cbranch_execnz .LBB62_333
; %bb.334:
	s_or_b64 exec, exec, s[2:3]
.LBB62_335:
	s_or_b64 exec, exec, s[8:9]
	v_mov_b32_e32 v132, 0
	ds_read_b64 v[132:133], v132 offset:224
	s_waitcnt lgkmcnt(0)
	v_mul_f64 v[130:131], v[130:131], v[132:133]
	scratch_store_dwordx2 off, v[130:131], off offset:224
.LBB62_336:
	s_or_b64 exec, exec, s[4:5]
	scratch_load_dwordx2 v[130:131], off, off offset:216
	v_cmp_lt_u32_e64 s[2:3], 27, v0
	s_waitcnt vmcnt(0)
	ds_write_b64 v1, v[130:131]
	s_waitcnt lgkmcnt(0)
	; wave barrier
	s_and_saveexec_b64 s[4:5], s[2:3]
	s_cbranch_execz .LBB62_346
; %bb.337:
	s_andn2_b64 vcc, exec, s[6:7]
	s_cbranch_vccnz .LBB62_339
; %bb.338:
	scratch_load_dwordx2 v[130:131], v11, off
	ds_read_b64 v[132:133], v1
	s_waitcnt vmcnt(0) lgkmcnt(0)
	v_mul_f64 v[130:131], v[130:131], v[132:133]
	s_cbranch_execz .LBB62_340
	s_branch .LBB62_341
.LBB62_339:
                                        ; implicit-def: $vgpr130_vgpr131
.LBB62_340:
	ds_read_b64 v[130:131], v1
.LBB62_341:
	s_and_saveexec_b64 s[8:9], s[0:1]
	s_cbranch_execz .LBB62_345
; %bb.342:
	v_subrev_u32_e32 v132, 28, v0
	s_movk_i32 s24, 0x2e0
	s_mov_b64 s[0:1], 0
.LBB62_343:                             ; =>This Inner Loop Header: Depth=1
	scratch_load_dwordx2 v[134:135], off, s23
	v_mov_b32_e32 v133, s24
	ds_read_b64 v[136:137], v133
	v_add_u32_e32 v132, -1, v132
	s_add_i32 s24, s24, 8
	s_add_i32 s23, s23, 8
	v_cmp_eq_u32_e32 vcc, 0, v132
	s_or_b64 s[0:1], vcc, s[0:1]
	s_waitcnt vmcnt(0) lgkmcnt(0)
	v_fmac_f64_e32 v[130:131], v[134:135], v[136:137]
	s_andn2_b64 exec, exec, s[0:1]
	s_cbranch_execnz .LBB62_343
; %bb.344:
	s_or_b64 exec, exec, s[0:1]
.LBB62_345:
	s_or_b64 exec, exec, s[8:9]
	v_mov_b32_e32 v132, 0
	ds_read_b64 v[132:133], v132 offset:216
	s_waitcnt lgkmcnt(0)
	v_mul_f64 v[130:131], v[130:131], v[132:133]
	scratch_store_dwordx2 off, v[130:131], off offset:216
.LBB62_346:
	s_or_b64 exec, exec, s[4:5]
	scratch_load_dwordx2 v[130:131], off, off offset:208
	v_cmp_lt_u32_e64 s[0:1], 26, v0
	s_waitcnt vmcnt(0)
	ds_write_b64 v1, v[130:131]
	s_waitcnt lgkmcnt(0)
	; wave barrier
	s_and_saveexec_b64 s[4:5], s[0:1]
	s_cbranch_execz .LBB62_356
; %bb.347:
	s_andn2_b64 vcc, exec, s[6:7]
	s_cbranch_vccnz .LBB62_349
; %bb.348:
	scratch_load_dwordx2 v[130:131], v11, off
	ds_read_b64 v[132:133], v1
	s_waitcnt vmcnt(0) lgkmcnt(0)
	v_mul_f64 v[130:131], v[130:131], v[132:133]
	s_cbranch_execz .LBB62_350
	s_branch .LBB62_351
.LBB62_349:
                                        ; implicit-def: $vgpr130_vgpr131
.LBB62_350:
	ds_read_b64 v[130:131], v1
.LBB62_351:
	s_and_saveexec_b64 s[8:9], s[2:3]
	s_cbranch_execz .LBB62_355
; %bb.352:
	s_movk_i32 s23, 0xd8
	v_subrev_u32_e32 v132, 27, v0
	s_movk_i32 s24, 0x2d8
	s_mov_b64 s[2:3], 0
.LBB62_353:                             ; =>This Inner Loop Header: Depth=1
	scratch_load_dwordx2 v[134:135], off, s23
	v_mov_b32_e32 v133, s24
	ds_read_b64 v[136:137], v133
	v_add_u32_e32 v132, -1, v132
	s_add_i32 s24, s24, 8
	s_add_i32 s23, s23, 8
	v_cmp_eq_u32_e32 vcc, 0, v132
	s_or_b64 s[2:3], vcc, s[2:3]
	s_waitcnt vmcnt(0) lgkmcnt(0)
	v_fmac_f64_e32 v[130:131], v[134:135], v[136:137]
	s_andn2_b64 exec, exec, s[2:3]
	s_cbranch_execnz .LBB62_353
; %bb.354:
	s_or_b64 exec, exec, s[2:3]
.LBB62_355:
	s_or_b64 exec, exec, s[8:9]
	v_mov_b32_e32 v132, 0
	ds_read_b64 v[132:133], v132 offset:208
	s_waitcnt lgkmcnt(0)
	v_mul_f64 v[130:131], v[130:131], v[132:133]
	scratch_store_dwordx2 off, v[130:131], off offset:208
.LBB62_356:
	s_or_b64 exec, exec, s[4:5]
	scratch_load_dwordx2 v[130:131], off, off offset:200
	v_cmp_lt_u32_e64 s[2:3], 25, v0
	s_waitcnt vmcnt(0)
	ds_write_b64 v1, v[130:131]
	s_waitcnt lgkmcnt(0)
	; wave barrier
	s_and_saveexec_b64 s[4:5], s[2:3]
	s_cbranch_execz .LBB62_366
; %bb.357:
	s_andn2_b64 vcc, exec, s[6:7]
	s_cbranch_vccnz .LBB62_359
; %bb.358:
	scratch_load_dwordx2 v[130:131], v11, off
	ds_read_b64 v[132:133], v1
	s_waitcnt vmcnt(0) lgkmcnt(0)
	v_mul_f64 v[130:131], v[130:131], v[132:133]
	s_cbranch_execz .LBB62_360
	s_branch .LBB62_361
.LBB62_359:
                                        ; implicit-def: $vgpr130_vgpr131
.LBB62_360:
	ds_read_b64 v[130:131], v1
.LBB62_361:
	s_and_saveexec_b64 s[8:9], s[0:1]
	s_cbranch_execz .LBB62_365
; %bb.362:
	v_subrev_u32_e32 v132, 26, v0
	s_movk_i32 s23, 0x2d0
	s_mov_b64 s[0:1], 0
.LBB62_363:                             ; =>This Inner Loop Header: Depth=1
	scratch_load_dwordx2 v[134:135], off, s22
	v_mov_b32_e32 v133, s23
	ds_read_b64 v[136:137], v133
	v_add_u32_e32 v132, -1, v132
	s_add_i32 s23, s23, 8
	s_add_i32 s22, s22, 8
	v_cmp_eq_u32_e32 vcc, 0, v132
	s_or_b64 s[0:1], vcc, s[0:1]
	s_waitcnt vmcnt(0) lgkmcnt(0)
	v_fmac_f64_e32 v[130:131], v[134:135], v[136:137]
	s_andn2_b64 exec, exec, s[0:1]
	s_cbranch_execnz .LBB62_363
; %bb.364:
	s_or_b64 exec, exec, s[0:1]
.LBB62_365:
	s_or_b64 exec, exec, s[8:9]
	v_mov_b32_e32 v132, 0
	ds_read_b64 v[132:133], v132 offset:200
	s_waitcnt lgkmcnt(0)
	v_mul_f64 v[130:131], v[130:131], v[132:133]
	scratch_store_dwordx2 off, v[130:131], off offset:200
.LBB62_366:
	s_or_b64 exec, exec, s[4:5]
	scratch_load_dwordx2 v[130:131], off, off offset:192
	v_cmp_lt_u32_e64 s[0:1], 24, v0
	s_waitcnt vmcnt(0)
	ds_write_b64 v1, v[130:131]
	s_waitcnt lgkmcnt(0)
	; wave barrier
	s_and_saveexec_b64 s[4:5], s[0:1]
	s_cbranch_execz .LBB62_376
; %bb.367:
	s_andn2_b64 vcc, exec, s[6:7]
	s_cbranch_vccnz .LBB62_369
; %bb.368:
	scratch_load_dwordx2 v[130:131], v11, off
	ds_read_b64 v[132:133], v1
	s_waitcnt vmcnt(0) lgkmcnt(0)
	v_mul_f64 v[130:131], v[130:131], v[132:133]
	s_cbranch_execz .LBB62_370
	s_branch .LBB62_371
.LBB62_369:
                                        ; implicit-def: $vgpr130_vgpr131
.LBB62_370:
	ds_read_b64 v[130:131], v1
.LBB62_371:
	s_and_saveexec_b64 s[8:9], s[2:3]
	s_cbranch_execz .LBB62_375
; %bb.372:
	s_movk_i32 s22, 0xc8
	v_subrev_u32_e32 v132, 25, v0
	s_movk_i32 s23, 0x2c8
	s_mov_b64 s[2:3], 0
.LBB62_373:                             ; =>This Inner Loop Header: Depth=1
	scratch_load_dwordx2 v[134:135], off, s22
	v_mov_b32_e32 v133, s23
	ds_read_b64 v[136:137], v133
	v_add_u32_e32 v132, -1, v132
	s_add_i32 s23, s23, 8
	s_add_i32 s22, s22, 8
	v_cmp_eq_u32_e32 vcc, 0, v132
	s_or_b64 s[2:3], vcc, s[2:3]
	s_waitcnt vmcnt(0) lgkmcnt(0)
	v_fmac_f64_e32 v[130:131], v[134:135], v[136:137]
	s_andn2_b64 exec, exec, s[2:3]
	s_cbranch_execnz .LBB62_373
; %bb.374:
	s_or_b64 exec, exec, s[2:3]
.LBB62_375:
	s_or_b64 exec, exec, s[8:9]
	v_mov_b32_e32 v132, 0
	ds_read_b64 v[132:133], v132 offset:192
	s_waitcnt lgkmcnt(0)
	v_mul_f64 v[130:131], v[130:131], v[132:133]
	scratch_store_dwordx2 off, v[130:131], off offset:192
.LBB62_376:
	s_or_b64 exec, exec, s[4:5]
	scratch_load_dwordx2 v[130:131], off, off offset:184
	v_cmp_lt_u32_e64 s[2:3], 23, v0
	s_waitcnt vmcnt(0)
	ds_write_b64 v1, v[130:131]
	s_waitcnt lgkmcnt(0)
	; wave barrier
	s_and_saveexec_b64 s[4:5], s[2:3]
	s_cbranch_execz .LBB62_386
; %bb.377:
	s_andn2_b64 vcc, exec, s[6:7]
	s_cbranch_vccnz .LBB62_379
; %bb.378:
	scratch_load_dwordx2 v[130:131], v11, off
	ds_read_b64 v[132:133], v1
	s_waitcnt vmcnt(0) lgkmcnt(0)
	v_mul_f64 v[130:131], v[130:131], v[132:133]
	s_cbranch_execz .LBB62_380
	s_branch .LBB62_381
.LBB62_379:
                                        ; implicit-def: $vgpr130_vgpr131
.LBB62_380:
	ds_read_b64 v[130:131], v1
.LBB62_381:
	s_and_saveexec_b64 s[8:9], s[0:1]
	s_cbranch_execz .LBB62_385
; %bb.382:
	v_subrev_u32_e32 v132, 24, v0
	s_movk_i32 s22, 0x2c0
	s_mov_b64 s[0:1], 0
.LBB62_383:                             ; =>This Inner Loop Header: Depth=1
	scratch_load_dwordx2 v[134:135], off, s21
	v_mov_b32_e32 v133, s22
	ds_read_b64 v[136:137], v133
	v_add_u32_e32 v132, -1, v132
	s_add_i32 s22, s22, 8
	s_add_i32 s21, s21, 8
	v_cmp_eq_u32_e32 vcc, 0, v132
	s_or_b64 s[0:1], vcc, s[0:1]
	s_waitcnt vmcnt(0) lgkmcnt(0)
	v_fmac_f64_e32 v[130:131], v[134:135], v[136:137]
	s_andn2_b64 exec, exec, s[0:1]
	s_cbranch_execnz .LBB62_383
; %bb.384:
	s_or_b64 exec, exec, s[0:1]
.LBB62_385:
	s_or_b64 exec, exec, s[8:9]
	v_mov_b32_e32 v132, 0
	ds_read_b64 v[132:133], v132 offset:184
	s_waitcnt lgkmcnt(0)
	v_mul_f64 v[130:131], v[130:131], v[132:133]
	scratch_store_dwordx2 off, v[130:131], off offset:184
.LBB62_386:
	s_or_b64 exec, exec, s[4:5]
	scratch_load_dwordx2 v[130:131], off, off offset:176
	v_cmp_lt_u32_e64 s[0:1], 22, v0
	s_waitcnt vmcnt(0)
	ds_write_b64 v1, v[130:131]
	s_waitcnt lgkmcnt(0)
	; wave barrier
	s_and_saveexec_b64 s[4:5], s[0:1]
	s_cbranch_execz .LBB62_396
; %bb.387:
	s_andn2_b64 vcc, exec, s[6:7]
	s_cbranch_vccnz .LBB62_389
; %bb.388:
	scratch_load_dwordx2 v[130:131], v11, off
	ds_read_b64 v[132:133], v1
	s_waitcnt vmcnt(0) lgkmcnt(0)
	v_mul_f64 v[130:131], v[130:131], v[132:133]
	s_cbranch_execz .LBB62_390
	s_branch .LBB62_391
.LBB62_389:
                                        ; implicit-def: $vgpr130_vgpr131
.LBB62_390:
	ds_read_b64 v[130:131], v1
.LBB62_391:
	s_and_saveexec_b64 s[8:9], s[2:3]
	s_cbranch_execz .LBB62_395
; %bb.392:
	s_movk_i32 s21, 0xb8
	v_subrev_u32_e32 v132, 23, v0
	s_movk_i32 s22, 0x2b8
	s_mov_b64 s[2:3], 0
.LBB62_393:                             ; =>This Inner Loop Header: Depth=1
	scratch_load_dwordx2 v[134:135], off, s21
	v_mov_b32_e32 v133, s22
	ds_read_b64 v[136:137], v133
	v_add_u32_e32 v132, -1, v132
	s_add_i32 s22, s22, 8
	s_add_i32 s21, s21, 8
	v_cmp_eq_u32_e32 vcc, 0, v132
	s_or_b64 s[2:3], vcc, s[2:3]
	s_waitcnt vmcnt(0) lgkmcnt(0)
	v_fmac_f64_e32 v[130:131], v[134:135], v[136:137]
	s_andn2_b64 exec, exec, s[2:3]
	s_cbranch_execnz .LBB62_393
; %bb.394:
	s_or_b64 exec, exec, s[2:3]
.LBB62_395:
	s_or_b64 exec, exec, s[8:9]
	v_mov_b32_e32 v132, 0
	ds_read_b64 v[132:133], v132 offset:176
	s_waitcnt lgkmcnt(0)
	v_mul_f64 v[130:131], v[130:131], v[132:133]
	scratch_store_dwordx2 off, v[130:131], off offset:176
.LBB62_396:
	s_or_b64 exec, exec, s[4:5]
	scratch_load_dwordx2 v[130:131], off, off offset:168
	v_cmp_lt_u32_e64 s[2:3], 21, v0
	s_waitcnt vmcnt(0)
	ds_write_b64 v1, v[130:131]
	s_waitcnt lgkmcnt(0)
	; wave barrier
	s_and_saveexec_b64 s[4:5], s[2:3]
	s_cbranch_execz .LBB62_406
; %bb.397:
	s_andn2_b64 vcc, exec, s[6:7]
	s_cbranch_vccnz .LBB62_399
; %bb.398:
	scratch_load_dwordx2 v[130:131], v11, off
	ds_read_b64 v[132:133], v1
	s_waitcnt vmcnt(0) lgkmcnt(0)
	v_mul_f64 v[130:131], v[130:131], v[132:133]
	s_cbranch_execz .LBB62_400
	s_branch .LBB62_401
.LBB62_399:
                                        ; implicit-def: $vgpr130_vgpr131
.LBB62_400:
	ds_read_b64 v[130:131], v1
.LBB62_401:
	s_and_saveexec_b64 s[8:9], s[0:1]
	s_cbranch_execz .LBB62_405
; %bb.402:
	v_subrev_u32_e32 v132, 22, v0
	s_movk_i32 s21, 0x2b0
	s_mov_b64 s[0:1], 0
.LBB62_403:                             ; =>This Inner Loop Header: Depth=1
	scratch_load_dwordx2 v[134:135], off, s20
	v_mov_b32_e32 v133, s21
	ds_read_b64 v[136:137], v133
	v_add_u32_e32 v132, -1, v132
	s_add_i32 s21, s21, 8
	s_add_i32 s20, s20, 8
	v_cmp_eq_u32_e32 vcc, 0, v132
	s_or_b64 s[0:1], vcc, s[0:1]
	s_waitcnt vmcnt(0) lgkmcnt(0)
	v_fmac_f64_e32 v[130:131], v[134:135], v[136:137]
	s_andn2_b64 exec, exec, s[0:1]
	s_cbranch_execnz .LBB62_403
; %bb.404:
	s_or_b64 exec, exec, s[0:1]
.LBB62_405:
	s_or_b64 exec, exec, s[8:9]
	v_mov_b32_e32 v132, 0
	ds_read_b64 v[132:133], v132 offset:168
	s_waitcnt lgkmcnt(0)
	v_mul_f64 v[130:131], v[130:131], v[132:133]
	scratch_store_dwordx2 off, v[130:131], off offset:168
.LBB62_406:
	s_or_b64 exec, exec, s[4:5]
	scratch_load_dwordx2 v[130:131], off, off offset:160
	v_cmp_lt_u32_e64 s[0:1], 20, v0
	s_waitcnt vmcnt(0)
	ds_write_b64 v1, v[130:131]
	s_waitcnt lgkmcnt(0)
	; wave barrier
	s_and_saveexec_b64 s[4:5], s[0:1]
	s_cbranch_execz .LBB62_416
; %bb.407:
	s_andn2_b64 vcc, exec, s[6:7]
	s_cbranch_vccnz .LBB62_409
; %bb.408:
	scratch_load_dwordx2 v[130:131], v11, off
	ds_read_b64 v[132:133], v1
	s_waitcnt vmcnt(0) lgkmcnt(0)
	v_mul_f64 v[130:131], v[130:131], v[132:133]
	s_cbranch_execz .LBB62_410
	s_branch .LBB62_411
.LBB62_409:
                                        ; implicit-def: $vgpr130_vgpr131
.LBB62_410:
	ds_read_b64 v[130:131], v1
.LBB62_411:
	s_and_saveexec_b64 s[8:9], s[2:3]
	s_cbranch_execz .LBB62_415
; %bb.412:
	s_movk_i32 s20, 0xa8
	v_subrev_u32_e32 v132, 21, v0
	s_movk_i32 s21, 0x2a8
	s_mov_b64 s[2:3], 0
.LBB62_413:                             ; =>This Inner Loop Header: Depth=1
	scratch_load_dwordx2 v[134:135], off, s20
	v_mov_b32_e32 v133, s21
	ds_read_b64 v[136:137], v133
	v_add_u32_e32 v132, -1, v132
	s_add_i32 s21, s21, 8
	s_add_i32 s20, s20, 8
	v_cmp_eq_u32_e32 vcc, 0, v132
	s_or_b64 s[2:3], vcc, s[2:3]
	s_waitcnt vmcnt(0) lgkmcnt(0)
	v_fmac_f64_e32 v[130:131], v[134:135], v[136:137]
	s_andn2_b64 exec, exec, s[2:3]
	s_cbranch_execnz .LBB62_413
; %bb.414:
	s_or_b64 exec, exec, s[2:3]
.LBB62_415:
	s_or_b64 exec, exec, s[8:9]
	v_mov_b32_e32 v132, 0
	ds_read_b64 v[132:133], v132 offset:160
	s_waitcnt lgkmcnt(0)
	v_mul_f64 v[130:131], v[130:131], v[132:133]
	scratch_store_dwordx2 off, v[130:131], off offset:160
.LBB62_416:
	s_or_b64 exec, exec, s[4:5]
	scratch_load_dwordx2 v[130:131], off, off offset:152
	v_cmp_lt_u32_e64 s[2:3], 19, v0
	s_waitcnt vmcnt(0)
	ds_write_b64 v1, v[130:131]
	s_waitcnt lgkmcnt(0)
	; wave barrier
	s_and_saveexec_b64 s[4:5], s[2:3]
	s_cbranch_execz .LBB62_426
; %bb.417:
	s_andn2_b64 vcc, exec, s[6:7]
	s_cbranch_vccnz .LBB62_419
; %bb.418:
	scratch_load_dwordx2 v[130:131], v11, off
	ds_read_b64 v[132:133], v1
	s_waitcnt vmcnt(0) lgkmcnt(0)
	v_mul_f64 v[130:131], v[130:131], v[132:133]
	s_cbranch_execz .LBB62_420
	s_branch .LBB62_421
.LBB62_419:
                                        ; implicit-def: $vgpr130_vgpr131
.LBB62_420:
	ds_read_b64 v[130:131], v1
.LBB62_421:
	s_and_saveexec_b64 s[8:9], s[0:1]
	s_cbranch_execz .LBB62_425
; %bb.422:
	v_subrev_u32_e32 v132, 20, v0
	s_movk_i32 s20, 0x2a0
	s_mov_b64 s[0:1], 0
.LBB62_423:                             ; =>This Inner Loop Header: Depth=1
	scratch_load_dwordx2 v[134:135], off, s19
	v_mov_b32_e32 v133, s20
	ds_read_b64 v[136:137], v133
	v_add_u32_e32 v132, -1, v132
	s_add_i32 s20, s20, 8
	s_add_i32 s19, s19, 8
	v_cmp_eq_u32_e32 vcc, 0, v132
	s_or_b64 s[0:1], vcc, s[0:1]
	s_waitcnt vmcnt(0) lgkmcnt(0)
	v_fmac_f64_e32 v[130:131], v[134:135], v[136:137]
	s_andn2_b64 exec, exec, s[0:1]
	s_cbranch_execnz .LBB62_423
; %bb.424:
	s_or_b64 exec, exec, s[0:1]
.LBB62_425:
	s_or_b64 exec, exec, s[8:9]
	v_mov_b32_e32 v132, 0
	ds_read_b64 v[132:133], v132 offset:152
	s_waitcnt lgkmcnt(0)
	v_mul_f64 v[130:131], v[130:131], v[132:133]
	scratch_store_dwordx2 off, v[130:131], off offset:152
.LBB62_426:
	s_or_b64 exec, exec, s[4:5]
	scratch_load_dwordx2 v[130:131], off, off offset:144
	v_cmp_lt_u32_e64 s[0:1], 18, v0
	s_waitcnt vmcnt(0)
	ds_write_b64 v1, v[130:131]
	s_waitcnt lgkmcnt(0)
	; wave barrier
	s_and_saveexec_b64 s[4:5], s[0:1]
	s_cbranch_execz .LBB62_436
; %bb.427:
	s_andn2_b64 vcc, exec, s[6:7]
	s_cbranch_vccnz .LBB62_429
; %bb.428:
	scratch_load_dwordx2 v[130:131], v11, off
	ds_read_b64 v[132:133], v1
	s_waitcnt vmcnt(0) lgkmcnt(0)
	v_mul_f64 v[130:131], v[130:131], v[132:133]
	s_cbranch_execz .LBB62_430
	s_branch .LBB62_431
.LBB62_429:
                                        ; implicit-def: $vgpr130_vgpr131
.LBB62_430:
	ds_read_b64 v[130:131], v1
.LBB62_431:
	s_and_saveexec_b64 s[8:9], s[2:3]
	s_cbranch_execz .LBB62_435
; %bb.432:
	s_movk_i32 s19, 0x98
	v_subrev_u32_e32 v132, 19, v0
	s_movk_i32 s20, 0x298
	s_mov_b64 s[2:3], 0
.LBB62_433:                             ; =>This Inner Loop Header: Depth=1
	scratch_load_dwordx2 v[134:135], off, s19
	v_mov_b32_e32 v133, s20
	ds_read_b64 v[136:137], v133
	v_add_u32_e32 v132, -1, v132
	s_add_i32 s20, s20, 8
	s_add_i32 s19, s19, 8
	v_cmp_eq_u32_e32 vcc, 0, v132
	s_or_b64 s[2:3], vcc, s[2:3]
	s_waitcnt vmcnt(0) lgkmcnt(0)
	v_fmac_f64_e32 v[130:131], v[134:135], v[136:137]
	s_andn2_b64 exec, exec, s[2:3]
	s_cbranch_execnz .LBB62_433
; %bb.434:
	s_or_b64 exec, exec, s[2:3]
.LBB62_435:
	s_or_b64 exec, exec, s[8:9]
	v_mov_b32_e32 v132, 0
	ds_read_b64 v[132:133], v132 offset:144
	s_waitcnt lgkmcnt(0)
	v_mul_f64 v[130:131], v[130:131], v[132:133]
	scratch_store_dwordx2 off, v[130:131], off offset:144
.LBB62_436:
	s_or_b64 exec, exec, s[4:5]
	scratch_load_dwordx2 v[130:131], off, off offset:136
	v_cmp_lt_u32_e64 s[2:3], 17, v0
	s_waitcnt vmcnt(0)
	ds_write_b64 v1, v[130:131]
	s_waitcnt lgkmcnt(0)
	; wave barrier
	s_and_saveexec_b64 s[4:5], s[2:3]
	s_cbranch_execz .LBB62_446
; %bb.437:
	s_andn2_b64 vcc, exec, s[6:7]
	s_cbranch_vccnz .LBB62_439
; %bb.438:
	scratch_load_dwordx2 v[130:131], v11, off
	ds_read_b64 v[132:133], v1
	s_waitcnt vmcnt(0) lgkmcnt(0)
	v_mul_f64 v[130:131], v[130:131], v[132:133]
	s_cbranch_execz .LBB62_440
	s_branch .LBB62_441
.LBB62_439:
                                        ; implicit-def: $vgpr130_vgpr131
.LBB62_440:
	ds_read_b64 v[130:131], v1
.LBB62_441:
	s_and_saveexec_b64 s[8:9], s[0:1]
	s_cbranch_execz .LBB62_445
; %bb.442:
	v_subrev_u32_e32 v132, 18, v0
	s_movk_i32 s19, 0x290
	s_mov_b64 s[0:1], 0
.LBB62_443:                             ; =>This Inner Loop Header: Depth=1
	scratch_load_dwordx2 v[134:135], off, s18
	v_mov_b32_e32 v133, s19
	ds_read_b64 v[136:137], v133
	v_add_u32_e32 v132, -1, v132
	s_add_i32 s19, s19, 8
	s_add_i32 s18, s18, 8
	v_cmp_eq_u32_e32 vcc, 0, v132
	s_or_b64 s[0:1], vcc, s[0:1]
	s_waitcnt vmcnt(0) lgkmcnt(0)
	v_fmac_f64_e32 v[130:131], v[134:135], v[136:137]
	s_andn2_b64 exec, exec, s[0:1]
	s_cbranch_execnz .LBB62_443
; %bb.444:
	s_or_b64 exec, exec, s[0:1]
.LBB62_445:
	s_or_b64 exec, exec, s[8:9]
	v_mov_b32_e32 v132, 0
	ds_read_b64 v[132:133], v132 offset:136
	s_waitcnt lgkmcnt(0)
	v_mul_f64 v[130:131], v[130:131], v[132:133]
	scratch_store_dwordx2 off, v[130:131], off offset:136
.LBB62_446:
	s_or_b64 exec, exec, s[4:5]
	scratch_load_dwordx2 v[130:131], off, off offset:128
	v_cmp_lt_u32_e64 s[0:1], 16, v0
	s_waitcnt vmcnt(0)
	ds_write_b64 v1, v[130:131]
	s_waitcnt lgkmcnt(0)
	; wave barrier
	s_and_saveexec_b64 s[4:5], s[0:1]
	s_cbranch_execz .LBB62_456
; %bb.447:
	s_andn2_b64 vcc, exec, s[6:7]
	s_cbranch_vccnz .LBB62_449
; %bb.448:
	scratch_load_dwordx2 v[130:131], v11, off
	ds_read_b64 v[132:133], v1
	s_waitcnt vmcnt(0) lgkmcnt(0)
	v_mul_f64 v[130:131], v[130:131], v[132:133]
	s_cbranch_execz .LBB62_450
	s_branch .LBB62_451
.LBB62_449:
                                        ; implicit-def: $vgpr130_vgpr131
.LBB62_450:
	ds_read_b64 v[130:131], v1
.LBB62_451:
	s_and_saveexec_b64 s[8:9], s[2:3]
	s_cbranch_execz .LBB62_455
; %bb.452:
	s_movk_i32 s18, 0x88
	v_subrev_u32_e32 v132, 17, v0
	s_movk_i32 s19, 0x288
	s_mov_b64 s[2:3], 0
.LBB62_453:                             ; =>This Inner Loop Header: Depth=1
	scratch_load_dwordx2 v[134:135], off, s18
	v_mov_b32_e32 v133, s19
	ds_read_b64 v[136:137], v133
	v_add_u32_e32 v132, -1, v132
	s_add_i32 s19, s19, 8
	s_add_i32 s18, s18, 8
	v_cmp_eq_u32_e32 vcc, 0, v132
	s_or_b64 s[2:3], vcc, s[2:3]
	s_waitcnt vmcnt(0) lgkmcnt(0)
	v_fmac_f64_e32 v[130:131], v[134:135], v[136:137]
	s_andn2_b64 exec, exec, s[2:3]
	s_cbranch_execnz .LBB62_453
; %bb.454:
	s_or_b64 exec, exec, s[2:3]
.LBB62_455:
	s_or_b64 exec, exec, s[8:9]
	v_mov_b32_e32 v132, 0
	ds_read_b64 v[132:133], v132 offset:128
	s_waitcnt lgkmcnt(0)
	v_mul_f64 v[130:131], v[130:131], v[132:133]
	scratch_store_dwordx2 off, v[130:131], off offset:128
.LBB62_456:
	s_or_b64 exec, exec, s[4:5]
	scratch_load_dwordx2 v[130:131], off, off offset:120
	v_cmp_lt_u32_e64 s[2:3], 15, v0
	s_waitcnt vmcnt(0)
	ds_write_b64 v1, v[130:131]
	s_waitcnt lgkmcnt(0)
	; wave barrier
	s_and_saveexec_b64 s[4:5], s[2:3]
	s_cbranch_execz .LBB62_466
; %bb.457:
	s_andn2_b64 vcc, exec, s[6:7]
	s_cbranch_vccnz .LBB62_459
; %bb.458:
	scratch_load_dwordx2 v[130:131], v11, off
	ds_read_b64 v[132:133], v1
	s_waitcnt vmcnt(0) lgkmcnt(0)
	v_mul_f64 v[130:131], v[130:131], v[132:133]
	s_cbranch_execz .LBB62_460
	s_branch .LBB62_461
.LBB62_459:
                                        ; implicit-def: $vgpr130_vgpr131
.LBB62_460:
	ds_read_b64 v[130:131], v1
.LBB62_461:
	s_and_saveexec_b64 s[8:9], s[0:1]
	s_cbranch_execz .LBB62_465
; %bb.462:
	v_add_u32_e32 v132, -16, v0
	s_movk_i32 s18, 0x280
	s_mov_b64 s[0:1], 0
.LBB62_463:                             ; =>This Inner Loop Header: Depth=1
	scratch_load_dwordx2 v[134:135], off, s17
	v_mov_b32_e32 v133, s18
	ds_read_b64 v[136:137], v133
	v_add_u32_e32 v132, -1, v132
	s_add_i32 s18, s18, 8
	s_add_i32 s17, s17, 8
	v_cmp_eq_u32_e32 vcc, 0, v132
	s_or_b64 s[0:1], vcc, s[0:1]
	s_waitcnt vmcnt(0) lgkmcnt(0)
	v_fmac_f64_e32 v[130:131], v[134:135], v[136:137]
	s_andn2_b64 exec, exec, s[0:1]
	s_cbranch_execnz .LBB62_463
; %bb.464:
	s_or_b64 exec, exec, s[0:1]
.LBB62_465:
	s_or_b64 exec, exec, s[8:9]
	v_mov_b32_e32 v132, 0
	ds_read_b64 v[132:133], v132 offset:120
	s_waitcnt lgkmcnt(0)
	v_mul_f64 v[130:131], v[130:131], v[132:133]
	scratch_store_dwordx2 off, v[130:131], off offset:120
.LBB62_466:
	s_or_b64 exec, exec, s[4:5]
	scratch_load_dwordx2 v[130:131], off, off offset:112
	v_cmp_lt_u32_e64 s[0:1], 14, v0
	s_waitcnt vmcnt(0)
	ds_write_b64 v1, v[130:131]
	s_waitcnt lgkmcnt(0)
	; wave barrier
	s_and_saveexec_b64 s[4:5], s[0:1]
	s_cbranch_execz .LBB62_476
; %bb.467:
	s_andn2_b64 vcc, exec, s[6:7]
	s_cbranch_vccnz .LBB62_469
; %bb.468:
	scratch_load_dwordx2 v[130:131], v11, off
	ds_read_b64 v[132:133], v1
	s_waitcnt vmcnt(0) lgkmcnt(0)
	v_mul_f64 v[130:131], v[130:131], v[132:133]
	s_cbranch_execz .LBB62_470
	s_branch .LBB62_471
.LBB62_469:
                                        ; implicit-def: $vgpr130_vgpr131
.LBB62_470:
	ds_read_b64 v[130:131], v1
.LBB62_471:
	s_and_saveexec_b64 s[8:9], s[2:3]
	s_cbranch_execz .LBB62_475
; %bb.472:
	s_movk_i32 s17, 0x78
	v_add_u32_e32 v132, -15, v0
	s_movk_i32 s18, 0x278
	s_mov_b64 s[2:3], 0
.LBB62_473:                             ; =>This Inner Loop Header: Depth=1
	scratch_load_dwordx2 v[134:135], off, s17
	v_mov_b32_e32 v133, s18
	ds_read_b64 v[136:137], v133
	v_add_u32_e32 v132, -1, v132
	s_add_i32 s18, s18, 8
	s_add_i32 s17, s17, 8
	v_cmp_eq_u32_e32 vcc, 0, v132
	s_or_b64 s[2:3], vcc, s[2:3]
	s_waitcnt vmcnt(0) lgkmcnt(0)
	v_fmac_f64_e32 v[130:131], v[134:135], v[136:137]
	s_andn2_b64 exec, exec, s[2:3]
	s_cbranch_execnz .LBB62_473
; %bb.474:
	s_or_b64 exec, exec, s[2:3]
.LBB62_475:
	s_or_b64 exec, exec, s[8:9]
	v_mov_b32_e32 v132, 0
	ds_read_b64 v[132:133], v132 offset:112
	s_waitcnt lgkmcnt(0)
	v_mul_f64 v[130:131], v[130:131], v[132:133]
	scratch_store_dwordx2 off, v[130:131], off offset:112
.LBB62_476:
	s_or_b64 exec, exec, s[4:5]
	scratch_load_dwordx2 v[130:131], off, off offset:104
	v_cmp_lt_u32_e64 s[2:3], 13, v0
	s_waitcnt vmcnt(0)
	ds_write_b64 v1, v[130:131]
	s_waitcnt lgkmcnt(0)
	; wave barrier
	s_and_saveexec_b64 s[4:5], s[2:3]
	s_cbranch_execz .LBB62_486
; %bb.477:
	s_andn2_b64 vcc, exec, s[6:7]
	s_cbranch_vccnz .LBB62_479
; %bb.478:
	scratch_load_dwordx2 v[130:131], v11, off
	ds_read_b64 v[132:133], v1
	s_waitcnt vmcnt(0) lgkmcnt(0)
	v_mul_f64 v[130:131], v[130:131], v[132:133]
	s_cbranch_execz .LBB62_480
	s_branch .LBB62_481
.LBB62_479:
                                        ; implicit-def: $vgpr130_vgpr131
.LBB62_480:
	ds_read_b64 v[130:131], v1
.LBB62_481:
	s_and_saveexec_b64 s[8:9], s[0:1]
	s_cbranch_execz .LBB62_485
; %bb.482:
	v_add_u32_e32 v132, -14, v0
	s_movk_i32 s17, 0x270
	s_mov_b64 s[0:1], 0
.LBB62_483:                             ; =>This Inner Loop Header: Depth=1
	scratch_load_dwordx2 v[134:135], off, s16
	v_mov_b32_e32 v133, s17
	ds_read_b64 v[136:137], v133
	v_add_u32_e32 v132, -1, v132
	s_add_i32 s17, s17, 8
	s_add_i32 s16, s16, 8
	v_cmp_eq_u32_e32 vcc, 0, v132
	s_or_b64 s[0:1], vcc, s[0:1]
	s_waitcnt vmcnt(0) lgkmcnt(0)
	v_fmac_f64_e32 v[130:131], v[134:135], v[136:137]
	s_andn2_b64 exec, exec, s[0:1]
	s_cbranch_execnz .LBB62_483
; %bb.484:
	s_or_b64 exec, exec, s[0:1]
.LBB62_485:
	s_or_b64 exec, exec, s[8:9]
	v_mov_b32_e32 v132, 0
	ds_read_b64 v[132:133], v132 offset:104
	s_waitcnt lgkmcnt(0)
	v_mul_f64 v[130:131], v[130:131], v[132:133]
	scratch_store_dwordx2 off, v[130:131], off offset:104
.LBB62_486:
	s_or_b64 exec, exec, s[4:5]
	scratch_load_dwordx2 v[130:131], off, off offset:96
	v_cmp_lt_u32_e64 s[0:1], 12, v0
	s_waitcnt vmcnt(0)
	ds_write_b64 v1, v[130:131]
	s_waitcnt lgkmcnt(0)
	; wave barrier
	s_and_saveexec_b64 s[4:5], s[0:1]
	s_cbranch_execz .LBB62_496
; %bb.487:
	s_andn2_b64 vcc, exec, s[6:7]
	s_cbranch_vccnz .LBB62_489
; %bb.488:
	scratch_load_dwordx2 v[130:131], v11, off
	ds_read_b64 v[132:133], v1
	s_waitcnt vmcnt(0) lgkmcnt(0)
	v_mul_f64 v[130:131], v[130:131], v[132:133]
	s_cbranch_execz .LBB62_490
	s_branch .LBB62_491
.LBB62_489:
                                        ; implicit-def: $vgpr130_vgpr131
.LBB62_490:
	ds_read_b64 v[130:131], v1
.LBB62_491:
	s_and_saveexec_b64 s[8:9], s[2:3]
	s_cbranch_execz .LBB62_495
; %bb.492:
	s_movk_i32 s16, 0x68
	v_add_u32_e32 v132, -13, v0
	s_movk_i32 s17, 0x268
	s_mov_b64 s[2:3], 0
.LBB62_493:                             ; =>This Inner Loop Header: Depth=1
	scratch_load_dwordx2 v[134:135], off, s16
	v_mov_b32_e32 v133, s17
	ds_read_b64 v[136:137], v133
	v_add_u32_e32 v132, -1, v132
	s_add_i32 s17, s17, 8
	s_add_i32 s16, s16, 8
	v_cmp_eq_u32_e32 vcc, 0, v132
	s_or_b64 s[2:3], vcc, s[2:3]
	s_waitcnt vmcnt(0) lgkmcnt(0)
	v_fmac_f64_e32 v[130:131], v[134:135], v[136:137]
	s_andn2_b64 exec, exec, s[2:3]
	s_cbranch_execnz .LBB62_493
; %bb.494:
	s_or_b64 exec, exec, s[2:3]
.LBB62_495:
	s_or_b64 exec, exec, s[8:9]
	v_mov_b32_e32 v132, 0
	ds_read_b64 v[132:133], v132 offset:96
	s_waitcnt lgkmcnt(0)
	v_mul_f64 v[130:131], v[130:131], v[132:133]
	scratch_store_dwordx2 off, v[130:131], off offset:96
.LBB62_496:
	s_or_b64 exec, exec, s[4:5]
	scratch_load_dwordx2 v[130:131], off, off offset:88
	v_cmp_lt_u32_e64 s[2:3], 11, v0
	s_waitcnt vmcnt(0)
	ds_write_b64 v1, v[130:131]
	s_waitcnt lgkmcnt(0)
	; wave barrier
	s_and_saveexec_b64 s[4:5], s[2:3]
	s_cbranch_execz .LBB62_506
; %bb.497:
	s_andn2_b64 vcc, exec, s[6:7]
	s_cbranch_vccnz .LBB62_499
; %bb.498:
	scratch_load_dwordx2 v[130:131], v11, off
	ds_read_b64 v[132:133], v1
	s_waitcnt vmcnt(0) lgkmcnt(0)
	v_mul_f64 v[130:131], v[130:131], v[132:133]
	s_cbranch_execz .LBB62_500
	s_branch .LBB62_501
.LBB62_499:
                                        ; implicit-def: $vgpr130_vgpr131
.LBB62_500:
	ds_read_b64 v[130:131], v1
.LBB62_501:
	s_and_saveexec_b64 s[8:9], s[0:1]
	s_cbranch_execz .LBB62_505
; %bb.502:
	v_add_u32_e32 v132, -12, v0
	s_movk_i32 s16, 0x260
	s_mov_b64 s[0:1], 0
.LBB62_503:                             ; =>This Inner Loop Header: Depth=1
	scratch_load_dwordx2 v[134:135], off, s15
	v_mov_b32_e32 v133, s16
	ds_read_b64 v[136:137], v133
	v_add_u32_e32 v132, -1, v132
	s_add_i32 s16, s16, 8
	s_add_i32 s15, s15, 8
	v_cmp_eq_u32_e32 vcc, 0, v132
	s_or_b64 s[0:1], vcc, s[0:1]
	s_waitcnt vmcnt(0) lgkmcnt(0)
	v_fmac_f64_e32 v[130:131], v[134:135], v[136:137]
	s_andn2_b64 exec, exec, s[0:1]
	s_cbranch_execnz .LBB62_503
; %bb.504:
	s_or_b64 exec, exec, s[0:1]
.LBB62_505:
	s_or_b64 exec, exec, s[8:9]
	v_mov_b32_e32 v132, 0
	ds_read_b64 v[132:133], v132 offset:88
	s_waitcnt lgkmcnt(0)
	v_mul_f64 v[130:131], v[130:131], v[132:133]
	scratch_store_dwordx2 off, v[130:131], off offset:88
.LBB62_506:
	s_or_b64 exec, exec, s[4:5]
	scratch_load_dwordx2 v[130:131], off, off offset:80
	v_cmp_lt_u32_e64 s[0:1], 10, v0
	s_waitcnt vmcnt(0)
	ds_write_b64 v1, v[130:131]
	s_waitcnt lgkmcnt(0)
	; wave barrier
	s_and_saveexec_b64 s[4:5], s[0:1]
	s_cbranch_execz .LBB62_516
; %bb.507:
	s_andn2_b64 vcc, exec, s[6:7]
	s_cbranch_vccnz .LBB62_509
; %bb.508:
	scratch_load_dwordx2 v[130:131], v11, off
	ds_read_b64 v[132:133], v1
	s_waitcnt vmcnt(0) lgkmcnt(0)
	v_mul_f64 v[130:131], v[130:131], v[132:133]
	s_cbranch_execz .LBB62_510
	s_branch .LBB62_511
.LBB62_509:
                                        ; implicit-def: $vgpr130_vgpr131
.LBB62_510:
	ds_read_b64 v[130:131], v1
.LBB62_511:
	s_and_saveexec_b64 s[8:9], s[2:3]
	s_cbranch_execz .LBB62_515
; %bb.512:
	s_movk_i32 s15, 0x58
	v_add_u32_e32 v132, -11, v0
	s_movk_i32 s16, 0x258
	s_mov_b64 s[2:3], 0
.LBB62_513:                             ; =>This Inner Loop Header: Depth=1
	scratch_load_dwordx2 v[134:135], off, s15
	v_mov_b32_e32 v133, s16
	ds_read_b64 v[136:137], v133
	v_add_u32_e32 v132, -1, v132
	s_add_i32 s16, s16, 8
	s_add_i32 s15, s15, 8
	v_cmp_eq_u32_e32 vcc, 0, v132
	s_or_b64 s[2:3], vcc, s[2:3]
	s_waitcnt vmcnt(0) lgkmcnt(0)
	v_fmac_f64_e32 v[130:131], v[134:135], v[136:137]
	s_andn2_b64 exec, exec, s[2:3]
	s_cbranch_execnz .LBB62_513
; %bb.514:
	s_or_b64 exec, exec, s[2:3]
.LBB62_515:
	s_or_b64 exec, exec, s[8:9]
	v_mov_b32_e32 v132, 0
	ds_read_b64 v[132:133], v132 offset:80
	s_waitcnt lgkmcnt(0)
	v_mul_f64 v[130:131], v[130:131], v[132:133]
	scratch_store_dwordx2 off, v[130:131], off offset:80
.LBB62_516:
	s_or_b64 exec, exec, s[4:5]
	scratch_load_dwordx2 v[130:131], off, off offset:72
	v_cmp_lt_u32_e64 s[2:3], 9, v0
	s_waitcnt vmcnt(0)
	ds_write_b64 v1, v[130:131]
	s_waitcnt lgkmcnt(0)
	; wave barrier
	s_and_saveexec_b64 s[4:5], s[2:3]
	s_cbranch_execz .LBB62_526
; %bb.517:
	s_andn2_b64 vcc, exec, s[6:7]
	s_cbranch_vccnz .LBB62_519
; %bb.518:
	scratch_load_dwordx2 v[130:131], v11, off
	ds_read_b64 v[132:133], v1
	s_waitcnt vmcnt(0) lgkmcnt(0)
	v_mul_f64 v[130:131], v[130:131], v[132:133]
	s_cbranch_execz .LBB62_520
	s_branch .LBB62_521
.LBB62_519:
                                        ; implicit-def: $vgpr130_vgpr131
.LBB62_520:
	ds_read_b64 v[130:131], v1
.LBB62_521:
	s_and_saveexec_b64 s[8:9], s[0:1]
	s_cbranch_execz .LBB62_525
; %bb.522:
	v_add_u32_e32 v132, -10, v0
	s_movk_i32 s15, 0x250
	s_mov_b64 s[0:1], 0
.LBB62_523:                             ; =>This Inner Loop Header: Depth=1
	scratch_load_dwordx2 v[134:135], off, s14
	v_mov_b32_e32 v133, s15
	ds_read_b64 v[136:137], v133
	v_add_u32_e32 v132, -1, v132
	s_add_i32 s15, s15, 8
	s_add_i32 s14, s14, 8
	v_cmp_eq_u32_e32 vcc, 0, v132
	s_or_b64 s[0:1], vcc, s[0:1]
	s_waitcnt vmcnt(0) lgkmcnt(0)
	v_fmac_f64_e32 v[130:131], v[134:135], v[136:137]
	s_andn2_b64 exec, exec, s[0:1]
	s_cbranch_execnz .LBB62_523
; %bb.524:
	s_or_b64 exec, exec, s[0:1]
.LBB62_525:
	s_or_b64 exec, exec, s[8:9]
	v_mov_b32_e32 v132, 0
	ds_read_b64 v[132:133], v132 offset:72
	s_waitcnt lgkmcnt(0)
	v_mul_f64 v[130:131], v[130:131], v[132:133]
	scratch_store_dwordx2 off, v[130:131], off offset:72
.LBB62_526:
	s_or_b64 exec, exec, s[4:5]
	scratch_load_dwordx2 v[130:131], off, off offset:64
	v_cmp_lt_u32_e64 s[0:1], 8, v0
	s_waitcnt vmcnt(0)
	ds_write_b64 v1, v[130:131]
	s_waitcnt lgkmcnt(0)
	; wave barrier
	s_and_saveexec_b64 s[4:5], s[0:1]
	s_cbranch_execz .LBB62_536
; %bb.527:
	s_andn2_b64 vcc, exec, s[6:7]
	s_cbranch_vccnz .LBB62_529
; %bb.528:
	scratch_load_dwordx2 v[130:131], v11, off
	ds_read_b64 v[132:133], v1
	s_waitcnt vmcnt(0) lgkmcnt(0)
	v_mul_f64 v[130:131], v[130:131], v[132:133]
	s_cbranch_execz .LBB62_530
	s_branch .LBB62_531
.LBB62_529:
                                        ; implicit-def: $vgpr130_vgpr131
.LBB62_530:
	ds_read_b64 v[130:131], v1
.LBB62_531:
	s_and_saveexec_b64 s[8:9], s[2:3]
	s_cbranch_execz .LBB62_535
; %bb.532:
	s_movk_i32 s14, 0x48
	v_add_u32_e32 v132, -9, v0
	s_movk_i32 s15, 0x248
	s_mov_b64 s[2:3], 0
.LBB62_533:                             ; =>This Inner Loop Header: Depth=1
	scratch_load_dwordx2 v[134:135], off, s14
	v_mov_b32_e32 v133, s15
	ds_read_b64 v[136:137], v133
	v_add_u32_e32 v132, -1, v132
	s_add_i32 s15, s15, 8
	s_add_i32 s14, s14, 8
	v_cmp_eq_u32_e32 vcc, 0, v132
	s_or_b64 s[2:3], vcc, s[2:3]
	s_waitcnt vmcnt(0) lgkmcnt(0)
	v_fmac_f64_e32 v[130:131], v[134:135], v[136:137]
	s_andn2_b64 exec, exec, s[2:3]
	s_cbranch_execnz .LBB62_533
; %bb.534:
	s_or_b64 exec, exec, s[2:3]
.LBB62_535:
	s_or_b64 exec, exec, s[8:9]
	v_mov_b32_e32 v132, 0
	ds_read_b64 v[132:133], v132 offset:64
	s_waitcnt lgkmcnt(0)
	v_mul_f64 v[130:131], v[130:131], v[132:133]
	scratch_store_dwordx2 off, v[130:131], off offset:64
.LBB62_536:
	s_or_b64 exec, exec, s[4:5]
	scratch_load_dwordx2 v[130:131], off, off offset:56
	v_cmp_lt_u32_e64 s[2:3], 7, v0
	s_waitcnt vmcnt(0)
	ds_write_b64 v1, v[130:131]
	s_waitcnt lgkmcnt(0)
	; wave barrier
	s_and_saveexec_b64 s[4:5], s[2:3]
	s_cbranch_execz .LBB62_546
; %bb.537:
	s_andn2_b64 vcc, exec, s[6:7]
	s_cbranch_vccnz .LBB62_539
; %bb.538:
	scratch_load_dwordx2 v[130:131], v11, off
	ds_read_b64 v[132:133], v1
	s_waitcnt vmcnt(0) lgkmcnt(0)
	v_mul_f64 v[130:131], v[130:131], v[132:133]
	s_cbranch_execz .LBB62_540
	s_branch .LBB62_541
.LBB62_539:
                                        ; implicit-def: $vgpr130_vgpr131
.LBB62_540:
	ds_read_b64 v[130:131], v1
.LBB62_541:
	s_and_saveexec_b64 s[8:9], s[0:1]
	s_cbranch_execz .LBB62_545
; %bb.542:
	v_add_u32_e32 v132, -8, v0
	s_movk_i32 s14, 0x240
	s_mov_b64 s[0:1], 0
.LBB62_543:                             ; =>This Inner Loop Header: Depth=1
	scratch_load_dwordx2 v[134:135], off, s13
	v_mov_b32_e32 v133, s14
	ds_read_b64 v[136:137], v133
	v_add_u32_e32 v132, -1, v132
	s_add_i32 s14, s14, 8
	s_add_i32 s13, s13, 8
	v_cmp_eq_u32_e32 vcc, 0, v132
	s_or_b64 s[0:1], vcc, s[0:1]
	s_waitcnt vmcnt(0) lgkmcnt(0)
	v_fmac_f64_e32 v[130:131], v[134:135], v[136:137]
	s_andn2_b64 exec, exec, s[0:1]
	s_cbranch_execnz .LBB62_543
; %bb.544:
	s_or_b64 exec, exec, s[0:1]
.LBB62_545:
	s_or_b64 exec, exec, s[8:9]
	v_mov_b32_e32 v132, 0
	ds_read_b64 v[132:133], v132 offset:56
	s_waitcnt lgkmcnt(0)
	v_mul_f64 v[130:131], v[130:131], v[132:133]
	scratch_store_dwordx2 off, v[130:131], off offset:56
.LBB62_546:
	s_or_b64 exec, exec, s[4:5]
	scratch_load_dwordx2 v[130:131], off, off offset:48
	v_cmp_lt_u32_e64 s[0:1], 6, v0
	s_waitcnt vmcnt(0)
	ds_write_b64 v1, v[130:131]
	s_waitcnt lgkmcnt(0)
	; wave barrier
	s_and_saveexec_b64 s[4:5], s[0:1]
	s_cbranch_execz .LBB62_556
; %bb.547:
	s_andn2_b64 vcc, exec, s[6:7]
	s_cbranch_vccnz .LBB62_549
; %bb.548:
	scratch_load_dwordx2 v[130:131], v11, off
	ds_read_b64 v[132:133], v1
	s_waitcnt vmcnt(0) lgkmcnt(0)
	v_mul_f64 v[130:131], v[130:131], v[132:133]
	s_cbranch_execz .LBB62_550
	s_branch .LBB62_551
.LBB62_549:
                                        ; implicit-def: $vgpr130_vgpr131
.LBB62_550:
	ds_read_b64 v[130:131], v1
.LBB62_551:
	s_and_saveexec_b64 s[8:9], s[2:3]
	s_cbranch_execz .LBB62_555
; %bb.552:
	s_mov_b32 s13, 56
	v_add_u32_e32 v132, -7, v0
	s_movk_i32 s14, 0x238
	s_mov_b64 s[2:3], 0
.LBB62_553:                             ; =>This Inner Loop Header: Depth=1
	scratch_load_dwordx2 v[134:135], off, s13
	v_mov_b32_e32 v133, s14
	ds_read_b64 v[136:137], v133
	v_add_u32_e32 v132, -1, v132
	s_add_i32 s14, s14, 8
	s_add_i32 s13, s13, 8
	v_cmp_eq_u32_e32 vcc, 0, v132
	s_or_b64 s[2:3], vcc, s[2:3]
	s_waitcnt vmcnt(0) lgkmcnt(0)
	v_fmac_f64_e32 v[130:131], v[134:135], v[136:137]
	s_andn2_b64 exec, exec, s[2:3]
	s_cbranch_execnz .LBB62_553
; %bb.554:
	s_or_b64 exec, exec, s[2:3]
.LBB62_555:
	s_or_b64 exec, exec, s[8:9]
	v_mov_b32_e32 v132, 0
	ds_read_b64 v[132:133], v132 offset:48
	s_waitcnt lgkmcnt(0)
	v_mul_f64 v[130:131], v[130:131], v[132:133]
	scratch_store_dwordx2 off, v[130:131], off offset:48
.LBB62_556:
	s_or_b64 exec, exec, s[4:5]
	scratch_load_dwordx2 v[130:131], off, off offset:40
	v_cmp_lt_u32_e64 s[2:3], 5, v0
	s_waitcnt vmcnt(0)
	ds_write_b64 v1, v[130:131]
	s_waitcnt lgkmcnt(0)
	; wave barrier
	s_and_saveexec_b64 s[4:5], s[2:3]
	s_cbranch_execz .LBB62_566
; %bb.557:
	s_andn2_b64 vcc, exec, s[6:7]
	s_cbranch_vccnz .LBB62_559
; %bb.558:
	scratch_load_dwordx2 v[130:131], v11, off
	ds_read_b64 v[132:133], v1
	s_waitcnt vmcnt(0) lgkmcnt(0)
	v_mul_f64 v[130:131], v[130:131], v[132:133]
	s_cbranch_execz .LBB62_560
	s_branch .LBB62_561
.LBB62_559:
                                        ; implicit-def: $vgpr130_vgpr131
.LBB62_560:
	ds_read_b64 v[130:131], v1
.LBB62_561:
	s_and_saveexec_b64 s[8:9], s[0:1]
	s_cbranch_execz .LBB62_565
; %bb.562:
	v_add_u32_e32 v132, -6, v0
	s_movk_i32 s13, 0x230
	s_mov_b64 s[0:1], 0
.LBB62_563:                             ; =>This Inner Loop Header: Depth=1
	scratch_load_dwordx2 v[134:135], off, s12
	v_mov_b32_e32 v133, s13
	ds_read_b64 v[136:137], v133
	v_add_u32_e32 v132, -1, v132
	s_add_i32 s13, s13, 8
	s_add_i32 s12, s12, 8
	v_cmp_eq_u32_e32 vcc, 0, v132
	s_or_b64 s[0:1], vcc, s[0:1]
	s_waitcnt vmcnt(0) lgkmcnt(0)
	v_fmac_f64_e32 v[130:131], v[134:135], v[136:137]
	s_andn2_b64 exec, exec, s[0:1]
	s_cbranch_execnz .LBB62_563
; %bb.564:
	s_or_b64 exec, exec, s[0:1]
.LBB62_565:
	s_or_b64 exec, exec, s[8:9]
	v_mov_b32_e32 v132, 0
	ds_read_b64 v[132:133], v132 offset:40
	s_waitcnt lgkmcnt(0)
	v_mul_f64 v[130:131], v[130:131], v[132:133]
	scratch_store_dwordx2 off, v[130:131], off offset:40
.LBB62_566:
	s_or_b64 exec, exec, s[4:5]
	scratch_load_dwordx2 v[130:131], off, off offset:32
	v_cmp_lt_u32_e64 s[0:1], 4, v0
	s_waitcnt vmcnt(0)
	ds_write_b64 v1, v[130:131]
	s_waitcnt lgkmcnt(0)
	; wave barrier
	s_and_saveexec_b64 s[4:5], s[0:1]
	s_cbranch_execz .LBB62_576
; %bb.567:
	s_andn2_b64 vcc, exec, s[6:7]
	s_cbranch_vccnz .LBB62_569
; %bb.568:
	scratch_load_dwordx2 v[130:131], v11, off
	ds_read_b64 v[132:133], v1
	s_waitcnt vmcnt(0) lgkmcnt(0)
	v_mul_f64 v[130:131], v[130:131], v[132:133]
	s_cbranch_execz .LBB62_570
	s_branch .LBB62_571
.LBB62_569:
                                        ; implicit-def: $vgpr130_vgpr131
.LBB62_570:
	ds_read_b64 v[130:131], v1
.LBB62_571:
	s_and_saveexec_b64 s[8:9], s[2:3]
	s_cbranch_execz .LBB62_575
; %bb.572:
	s_mov_b32 s12, 40
	v_add_u32_e32 v132, -5, v0
	s_movk_i32 s13, 0x228
	s_mov_b64 s[2:3], 0
.LBB62_573:                             ; =>This Inner Loop Header: Depth=1
	scratch_load_dwordx2 v[134:135], off, s12
	v_mov_b32_e32 v133, s13
	ds_read_b64 v[136:137], v133
	v_add_u32_e32 v132, -1, v132
	s_add_i32 s13, s13, 8
	s_add_i32 s12, s12, 8
	v_cmp_eq_u32_e32 vcc, 0, v132
	s_or_b64 s[2:3], vcc, s[2:3]
	s_waitcnt vmcnt(0) lgkmcnt(0)
	v_fmac_f64_e32 v[130:131], v[134:135], v[136:137]
	s_andn2_b64 exec, exec, s[2:3]
	s_cbranch_execnz .LBB62_573
; %bb.574:
	s_or_b64 exec, exec, s[2:3]
.LBB62_575:
	s_or_b64 exec, exec, s[8:9]
	v_mov_b32_e32 v132, 0
	ds_read_b64 v[132:133], v132 offset:32
	s_waitcnt lgkmcnt(0)
	v_mul_f64 v[130:131], v[130:131], v[132:133]
	scratch_store_dwordx2 off, v[130:131], off offset:32
.LBB62_576:
	s_or_b64 exec, exec, s[4:5]
	scratch_load_dwordx2 v[130:131], off, off offset:24
	v_cmp_lt_u32_e64 s[2:3], 3, v0
	s_waitcnt vmcnt(0)
	ds_write_b64 v1, v[130:131]
	s_waitcnt lgkmcnt(0)
	; wave barrier
	s_and_saveexec_b64 s[4:5], s[2:3]
	s_cbranch_execz .LBB62_586
; %bb.577:
	s_andn2_b64 vcc, exec, s[6:7]
	s_cbranch_vccnz .LBB62_579
; %bb.578:
	scratch_load_dwordx2 v[130:131], v11, off
	ds_read_b64 v[132:133], v1
	s_waitcnt vmcnt(0) lgkmcnt(0)
	v_mul_f64 v[130:131], v[130:131], v[132:133]
	s_cbranch_execz .LBB62_580
	s_branch .LBB62_581
.LBB62_579:
                                        ; implicit-def: $vgpr130_vgpr131
.LBB62_580:
	ds_read_b64 v[130:131], v1
.LBB62_581:
	s_and_saveexec_b64 s[8:9], s[0:1]
	s_cbranch_execz .LBB62_585
; %bb.582:
	v_add_u32_e32 v132, -4, v0
	s_movk_i32 s12, 0x220
	s_mov_b64 s[0:1], 0
.LBB62_583:                             ; =>This Inner Loop Header: Depth=1
	scratch_load_dwordx2 v[134:135], off, s11
	v_mov_b32_e32 v133, s12
	ds_read_b64 v[136:137], v133
	v_add_u32_e32 v132, -1, v132
	s_add_i32 s12, s12, 8
	s_add_i32 s11, s11, 8
	v_cmp_eq_u32_e32 vcc, 0, v132
	s_or_b64 s[0:1], vcc, s[0:1]
	s_waitcnt vmcnt(0) lgkmcnt(0)
	v_fmac_f64_e32 v[130:131], v[134:135], v[136:137]
	s_andn2_b64 exec, exec, s[0:1]
	s_cbranch_execnz .LBB62_583
; %bb.584:
	s_or_b64 exec, exec, s[0:1]
.LBB62_585:
	s_or_b64 exec, exec, s[8:9]
	v_mov_b32_e32 v132, 0
	ds_read_b64 v[132:133], v132 offset:24
	s_waitcnt lgkmcnt(0)
	v_mul_f64 v[130:131], v[130:131], v[132:133]
	scratch_store_dwordx2 off, v[130:131], off offset:24
.LBB62_586:
	s_or_b64 exec, exec, s[4:5]
	scratch_load_dwordx2 v[130:131], off, off offset:16
	v_cmp_lt_u32_e64 s[0:1], 2, v0
	s_waitcnt vmcnt(0)
	ds_write_b64 v1, v[130:131]
	s_waitcnt lgkmcnt(0)
	; wave barrier
	s_and_saveexec_b64 s[4:5], s[0:1]
	s_cbranch_execz .LBB62_596
; %bb.587:
	s_andn2_b64 vcc, exec, s[6:7]
	s_cbranch_vccnz .LBB62_589
; %bb.588:
	scratch_load_dwordx2 v[130:131], v11, off
	ds_read_b64 v[132:133], v1
	s_waitcnt vmcnt(0) lgkmcnt(0)
	v_mul_f64 v[130:131], v[130:131], v[132:133]
	s_cbranch_execz .LBB62_590
	s_branch .LBB62_591
.LBB62_589:
                                        ; implicit-def: $vgpr130_vgpr131
.LBB62_590:
	ds_read_b64 v[130:131], v1
.LBB62_591:
	s_and_saveexec_b64 s[8:9], s[2:3]
	s_cbranch_execz .LBB62_595
; %bb.592:
	s_mov_b32 s11, 24
	v_add_u32_e32 v132, -3, v0
	s_movk_i32 s12, 0x218
	s_mov_b64 s[2:3], 0
.LBB62_593:                             ; =>This Inner Loop Header: Depth=1
	scratch_load_dwordx2 v[134:135], off, s11
	v_mov_b32_e32 v133, s12
	ds_read_b64 v[136:137], v133
	v_add_u32_e32 v132, -1, v132
	s_add_i32 s12, s12, 8
	s_add_i32 s11, s11, 8
	v_cmp_eq_u32_e32 vcc, 0, v132
	s_or_b64 s[2:3], vcc, s[2:3]
	s_waitcnt vmcnt(0) lgkmcnt(0)
	v_fmac_f64_e32 v[130:131], v[134:135], v[136:137]
	s_andn2_b64 exec, exec, s[2:3]
	s_cbranch_execnz .LBB62_593
; %bb.594:
	s_or_b64 exec, exec, s[2:3]
.LBB62_595:
	s_or_b64 exec, exec, s[8:9]
	v_mov_b32_e32 v132, 0
	ds_read_b64 v[132:133], v132 offset:16
	s_waitcnt lgkmcnt(0)
	v_mul_f64 v[130:131], v[130:131], v[132:133]
	scratch_store_dwordx2 off, v[130:131], off offset:16
.LBB62_596:
	s_or_b64 exec, exec, s[4:5]
	scratch_load_dwordx2 v[130:131], off, off offset:8
	v_cmp_lt_u32_e64 s[2:3], 1, v0
	s_waitcnt vmcnt(0)
	ds_write_b64 v1, v[130:131]
	s_waitcnt lgkmcnt(0)
	; wave barrier
	s_and_saveexec_b64 s[4:5], s[2:3]
	s_cbranch_execz .LBB62_606
; %bb.597:
	s_andn2_b64 vcc, exec, s[6:7]
	s_cbranch_vccnz .LBB62_599
; %bb.598:
	scratch_load_dwordx2 v[130:131], v11, off
	ds_read_b64 v[132:133], v1
	s_waitcnt vmcnt(0) lgkmcnt(0)
	v_mul_f64 v[130:131], v[130:131], v[132:133]
	s_cbranch_execz .LBB62_600
	s_branch .LBB62_601
.LBB62_599:
                                        ; implicit-def: $vgpr130_vgpr131
.LBB62_600:
	ds_read_b64 v[130:131], v1
.LBB62_601:
	s_and_saveexec_b64 s[8:9], s[0:1]
	s_cbranch_execz .LBB62_605
; %bb.602:
	v_add_u32_e32 v132, -2, v0
	s_movk_i32 s11, 0x210
	s_mov_b64 s[0:1], 0
.LBB62_603:                             ; =>This Inner Loop Header: Depth=1
	scratch_load_dwordx2 v[134:135], off, s10
	v_mov_b32_e32 v133, s11
	ds_read_b64 v[136:137], v133
	v_add_u32_e32 v132, -1, v132
	s_add_i32 s11, s11, 8
	s_add_i32 s10, s10, 8
	v_cmp_eq_u32_e32 vcc, 0, v132
	s_or_b64 s[0:1], vcc, s[0:1]
	s_waitcnt vmcnt(0) lgkmcnt(0)
	v_fmac_f64_e32 v[130:131], v[134:135], v[136:137]
	s_andn2_b64 exec, exec, s[0:1]
	s_cbranch_execnz .LBB62_603
; %bb.604:
	s_or_b64 exec, exec, s[0:1]
.LBB62_605:
	s_or_b64 exec, exec, s[8:9]
	v_mov_b32_e32 v132, 0
	ds_read_b64 v[132:133], v132 offset:8
	s_waitcnt lgkmcnt(0)
	v_mul_f64 v[130:131], v[130:131], v[132:133]
	scratch_store_dwordx2 off, v[130:131], off offset:8
.LBB62_606:
	s_or_b64 exec, exec, s[4:5]
	scratch_load_dwordx2 v[130:131], off, off
	v_cmp_ne_u32_e32 vcc, 0, v0
	s_waitcnt vmcnt(0)
	ds_write_b64 v1, v[130:131]
	s_waitcnt lgkmcnt(0)
	; wave barrier
	s_and_saveexec_b64 s[0:1], vcc
	s_cbranch_execz .LBB62_616
; %bb.607:
	s_andn2_b64 vcc, exec, s[6:7]
	s_cbranch_vccnz .LBB62_609
; %bb.608:
	scratch_load_dwordx2 v[130:131], v11, off
	ds_read_b64 v[132:133], v1
	s_waitcnt vmcnt(0) lgkmcnt(0)
	v_mul_f64 v[130:131], v[130:131], v[132:133]
	s_cbranch_execz .LBB62_610
	s_branch .LBB62_611
.LBB62_609:
                                        ; implicit-def: $vgpr130_vgpr131
.LBB62_610:
	ds_read_b64 v[130:131], v1
.LBB62_611:
	s_and_saveexec_b64 s[4:5], s[2:3]
	s_cbranch_execz .LBB62_615
; %bb.612:
	s_or_b32 s8, 0, 8
	v_add_u32_e32 v132, -1, v0
	s_movk_i32 s9, 0x208
	s_mov_b64 s[2:3], 0
.LBB62_613:                             ; =>This Inner Loop Header: Depth=1
	scratch_load_dwordx2 v[134:135], off, s8
	v_mov_b32_e32 v133, s9
	ds_read_b64 v[136:137], v133
	v_add_u32_e32 v132, -1, v132
	s_add_i32 s9, s9, 8
	s_add_i32 s8, s8, 8
	v_cmp_eq_u32_e32 vcc, 0, v132
	s_or_b64 s[2:3], vcc, s[2:3]
	s_waitcnt vmcnt(0) lgkmcnt(0)
	v_fmac_f64_e32 v[130:131], v[134:135], v[136:137]
	s_andn2_b64 exec, exec, s[2:3]
	s_cbranch_execnz .LBB62_613
; %bb.614:
	s_or_b64 exec, exec, s[2:3]
.LBB62_615:
	s_or_b64 exec, exec, s[4:5]
	v_mov_b32_e32 v132, 0
	ds_read_b64 v[132:133], v132
	s_waitcnt lgkmcnt(0)
	v_mul_f64 v[130:131], v[130:131], v[132:133]
	scratch_store_dwordx2 off, v[130:131], off
.LBB62_616:
	s_or_b64 exec, exec, s[0:1]
	s_mov_b64 s[0:1], 0
.LBB62_617:
	s_and_b64 vcc, exec, s[0:1]
	s_cbranch_vccz .LBB62_1229
; %bb.618:
	scratch_load_dwordx2 v[130:131], off, off offset:8
	v_cmp_eq_u32_e64 s[2:3], 0, v0
	s_waitcnt vmcnt(0)
	ds_write_b64 v1, v[130:131]
	s_waitcnt lgkmcnt(0)
	; wave barrier
	s_and_saveexec_b64 s[0:1], s[2:3]
	s_cbranch_execz .LBB62_624
; %bb.619:
	s_and_b64 vcc, exec, s[6:7]
	s_cbranch_vccz .LBB62_621
; %bb.620:
	scratch_load_dwordx2 v[130:131], v11, off
	ds_read_b64 v[132:133], v1
	s_waitcnt vmcnt(0) lgkmcnt(0)
	v_mul_f64 v[130:131], v[130:131], v[132:133]
	s_cbranch_execz .LBB62_622
	s_branch .LBB62_623
.LBB62_621:
                                        ; implicit-def: $vgpr130_vgpr131
.LBB62_622:
	ds_read_b64 v[130:131], v1
.LBB62_623:
	v_mov_b32_e32 v132, 0
	ds_read_b64 v[132:133], v132 offset:8
	s_waitcnt lgkmcnt(0)
	v_mul_f64 v[130:131], v[130:131], v[132:133]
	scratch_store_dwordx2 off, v[130:131], off offset:8
.LBB62_624:
	s_or_b64 exec, exec, s[0:1]
	scratch_load_dwordx2 v[130:131], off, off offset:16
	v_cndmask_b32_e64 v132, 0, 1, s[6:7]
	v_cmp_gt_u32_e32 vcc, 2, v0
	v_cmp_ne_u32_e64 s[0:1], 1, v132
	s_waitcnt vmcnt(0)
	ds_write_b64 v1, v[130:131]
	s_waitcnt lgkmcnt(0)
	; wave barrier
	s_and_saveexec_b64 s[4:5], vcc
	s_cbranch_execz .LBB62_630
; %bb.625:
	s_and_b64 vcc, exec, s[0:1]
	s_cbranch_vccnz .LBB62_627
; %bb.626:
	scratch_load_dwordx2 v[130:131], v11, off
	ds_read_b64 v[132:133], v1
	s_waitcnt vmcnt(0) lgkmcnt(0)
	v_mul_f64 v[130:131], v[130:131], v[132:133]
	s_cbranch_execz .LBB62_628
	s_branch .LBB62_629
.LBB62_627:
                                        ; implicit-def: $vgpr130_vgpr131
.LBB62_628:
	ds_read_b64 v[130:131], v1
.LBB62_629:
	scratch_load_dwordx2 v[136:137], off, off offset:8
	v_mov_b32_e32 v132, 0
	ds_read2_b64 v[132:135], v132 offset0:2 offset1:65
	s_waitcnt vmcnt(0) lgkmcnt(0)
	v_fma_f64 v[134:135], v[136:137], v[134:135], v[130:131]
	v_cndmask_b32_e64 v131, v131, v135, s[2:3]
	v_cndmask_b32_e64 v130, v130, v134, s[2:3]
	v_mul_f64 v[130:131], v[130:131], v[132:133]
	scratch_store_dwordx2 off, v[130:131], off offset:16
.LBB62_630:
	s_or_b64 exec, exec, s[4:5]
	scratch_load_dwordx2 v[130:131], off, off offset:24
	v_cmp_gt_u32_e32 vcc, 3, v0
	s_waitcnt vmcnt(0)
	ds_write_b64 v1, v[130:131]
	s_waitcnt lgkmcnt(0)
	; wave barrier
	s_and_saveexec_b64 s[4:5], vcc
	s_cbranch_execz .LBB62_638
; %bb.631:
	s_and_b64 vcc, exec, s[0:1]
	s_cbranch_vccnz .LBB62_633
; %bb.632:
	scratch_load_dwordx2 v[130:131], v11, off
	ds_read_b64 v[132:133], v1
	s_waitcnt vmcnt(0) lgkmcnt(0)
	v_mul_f64 v[130:131], v[130:131], v[132:133]
	s_cbranch_execz .LBB62_634
	s_branch .LBB62_635
.LBB62_633:
                                        ; implicit-def: $vgpr130_vgpr131
.LBB62_634:
	ds_read_b64 v[130:131], v1
.LBB62_635:
	v_cmp_ne_u32_e32 vcc, 2, v0
	s_and_saveexec_b64 s[6:7], vcc
	s_cbranch_execz .LBB62_637
; %bb.636:
	scratch_load_dwordx2 v[132:133], v11, off offset:8
	scratch_load_dwordx2 v[134:135], off, off offset:16
	ds_read_b64 v[136:137], v1 offset:8
	v_mov_b32_e32 v138, 0
	ds_read_b64 v[138:139], v138 offset:528
	s_waitcnt vmcnt(1) lgkmcnt(1)
	v_fmac_f64_e32 v[130:131], v[132:133], v[136:137]
	s_waitcnt vmcnt(0) lgkmcnt(0)
	v_fma_f64 v[132:133], v[134:135], v[138:139], v[130:131]
	v_cndmask_b32_e64 v131, v131, v133, s[2:3]
	v_cndmask_b32_e64 v130, v130, v132, s[2:3]
.LBB62_637:
	s_or_b64 exec, exec, s[6:7]
	v_mov_b32_e32 v132, 0
	ds_read_b64 v[132:133], v132 offset:24
	s_waitcnt lgkmcnt(0)
	v_mul_f64 v[130:131], v[130:131], v[132:133]
	scratch_store_dwordx2 off, v[130:131], off offset:24
.LBB62_638:
	s_or_b64 exec, exec, s[4:5]
	scratch_load_dwordx2 v[130:131], off, off offset:32
	v_cmp_gt_u32_e32 vcc, 4, v0
	s_waitcnt vmcnt(0)
	ds_write_b64 v1, v[130:131]
	s_waitcnt lgkmcnt(0)
	; wave barrier
	s_and_saveexec_b64 s[2:3], vcc
	s_cbranch_execz .LBB62_648
; %bb.639:
	s_and_b64 vcc, exec, s[0:1]
	s_cbranch_vccnz .LBB62_641
; %bb.640:
	scratch_load_dwordx2 v[130:131], v11, off
	ds_read_b64 v[132:133], v1
	s_waitcnt vmcnt(0) lgkmcnt(0)
	v_mul_f64 v[130:131], v[130:131], v[132:133]
	s_cbranch_execz .LBB62_642
	s_branch .LBB62_643
.LBB62_641:
                                        ; implicit-def: $vgpr130_vgpr131
.LBB62_642:
	ds_read_b64 v[130:131], v1
.LBB62_643:
	v_cmp_ne_u32_e32 vcc, 3, v0
	s_and_saveexec_b64 s[4:5], vcc
	s_cbranch_execz .LBB62_647
; %bb.644:
	s_mov_b32 s6, 0
	v_add_u32_e32 v132, 0x208, v10
	v_add3_u32 v133, v10, s6, 8
	s_mov_b64 s[6:7], 0
	v_mov_b32_e32 v134, v0
.LBB62_645:                             ; =>This Inner Loop Header: Depth=1
	scratch_load_dwordx2 v[136:137], v133, off
	ds_read_b64 v[138:139], v132
	v_add_u32_e32 v134, 1, v134
	v_cmp_lt_u32_e32 vcc, 2, v134
	v_add_u32_e32 v132, 8, v132
	v_add_u32_e32 v133, 8, v133
	s_or_b64 s[6:7], vcc, s[6:7]
	s_waitcnt vmcnt(0) lgkmcnt(0)
	v_fmac_f64_e32 v[130:131], v[136:137], v[138:139]
	s_andn2_b64 exec, exec, s[6:7]
	s_cbranch_execnz .LBB62_645
; %bb.646:
	s_or_b64 exec, exec, s[6:7]
.LBB62_647:
	s_or_b64 exec, exec, s[4:5]
	v_mov_b32_e32 v132, 0
	ds_read_b64 v[132:133], v132 offset:32
	s_waitcnt lgkmcnt(0)
	v_mul_f64 v[130:131], v[130:131], v[132:133]
	scratch_store_dwordx2 off, v[130:131], off offset:32
.LBB62_648:
	s_or_b64 exec, exec, s[2:3]
	scratch_load_dwordx2 v[130:131], off, off offset:40
	v_cmp_gt_u32_e32 vcc, 5, v0
	s_waitcnt vmcnt(0)
	ds_write_b64 v1, v[130:131]
	s_waitcnt lgkmcnt(0)
	; wave barrier
	s_and_saveexec_b64 s[2:3], vcc
	s_cbranch_execz .LBB62_658
; %bb.649:
	s_and_b64 vcc, exec, s[0:1]
	s_cbranch_vccnz .LBB62_651
; %bb.650:
	scratch_load_dwordx2 v[130:131], v11, off
	ds_read_b64 v[132:133], v1
	s_waitcnt vmcnt(0) lgkmcnt(0)
	v_mul_f64 v[130:131], v[130:131], v[132:133]
	s_cbranch_execz .LBB62_652
	s_branch .LBB62_653
.LBB62_651:
                                        ; implicit-def: $vgpr130_vgpr131
.LBB62_652:
	ds_read_b64 v[130:131], v1
.LBB62_653:
	v_cmp_ne_u32_e32 vcc, 4, v0
	s_and_saveexec_b64 s[4:5], vcc
	s_cbranch_execz .LBB62_657
; %bb.654:
	s_mov_b32 s6, 0
	v_add_u32_e32 v132, 0x208, v10
	v_add3_u32 v133, v10, s6, 8
	s_mov_b64 s[6:7], 0
	v_mov_b32_e32 v134, v0
.LBB62_655:                             ; =>This Inner Loop Header: Depth=1
	scratch_load_dwordx2 v[136:137], v133, off
	ds_read_b64 v[138:139], v132
	v_add_u32_e32 v134, 1, v134
	v_cmp_lt_u32_e32 vcc, 3, v134
	v_add_u32_e32 v132, 8, v132
	v_add_u32_e32 v133, 8, v133
	s_or_b64 s[6:7], vcc, s[6:7]
	s_waitcnt vmcnt(0) lgkmcnt(0)
	v_fmac_f64_e32 v[130:131], v[136:137], v[138:139]
	s_andn2_b64 exec, exec, s[6:7]
	s_cbranch_execnz .LBB62_655
; %bb.656:
	s_or_b64 exec, exec, s[6:7]
.LBB62_657:
	s_or_b64 exec, exec, s[4:5]
	v_mov_b32_e32 v132, 0
	ds_read_b64 v[132:133], v132 offset:40
	s_waitcnt lgkmcnt(0)
	v_mul_f64 v[130:131], v[130:131], v[132:133]
	scratch_store_dwordx2 off, v[130:131], off offset:40
.LBB62_658:
	;; [unrolled: 55-line block ×36, first 2 shown]
	s_or_b64 exec, exec, s[2:3]
	scratch_load_dwordx2 v[130:131], off, off offset:320
	v_cmp_gt_u32_e32 vcc, 40, v0
	s_waitcnt vmcnt(0)
	ds_write_b64 v1, v[130:131]
	s_waitcnt lgkmcnt(0)
	; wave barrier
	s_and_saveexec_b64 s[2:3], vcc
	s_cbranch_execz .LBB62_1008
; %bb.999:
	s_and_b64 vcc, exec, s[0:1]
	s_cbranch_vccnz .LBB62_1001
; %bb.1000:
	scratch_load_dwordx2 v[130:131], v11, off
	ds_read_b64 v[132:133], v1
	s_waitcnt vmcnt(0) lgkmcnt(0)
	v_mul_f64 v[130:131], v[130:131], v[132:133]
	s_cbranch_execz .LBB62_1002
	s_branch .LBB62_1003
.LBB62_1001:
                                        ; implicit-def: $vgpr130_vgpr131
.LBB62_1002:
	ds_read_b64 v[130:131], v1
.LBB62_1003:
	v_cmp_ne_u32_e32 vcc, 39, v0
	s_and_saveexec_b64 s[4:5], vcc
	s_cbranch_execz .LBB62_1007
; %bb.1004:
	s_mov_b32 s6, 0
	v_add_u32_e32 v132, 0x208, v10
	v_add3_u32 v133, v10, s6, 8
	s_mov_b64 s[6:7], 0
	v_mov_b32_e32 v134, v0
.LBB62_1005:                            ; =>This Inner Loop Header: Depth=1
	scratch_load_dwordx2 v[136:137], v133, off
	ds_read_b64 v[138:139], v132
	v_add_u32_e32 v134, 1, v134
	v_cmp_lt_u32_e32 vcc, 38, v134
	v_add_u32_e32 v132, 8, v132
	v_add_u32_e32 v133, 8, v133
	s_or_b64 s[6:7], vcc, s[6:7]
	s_waitcnt vmcnt(0) lgkmcnt(0)
	v_fmac_f64_e32 v[130:131], v[136:137], v[138:139]
	s_andn2_b64 exec, exec, s[6:7]
	s_cbranch_execnz .LBB62_1005
; %bb.1006:
	s_or_b64 exec, exec, s[6:7]
.LBB62_1007:
	s_or_b64 exec, exec, s[4:5]
	v_mov_b32_e32 v132, 0
	ds_read_b64 v[132:133], v132 offset:320
	s_waitcnt lgkmcnt(0)
	v_mul_f64 v[130:131], v[130:131], v[132:133]
	scratch_store_dwordx2 off, v[130:131], off offset:320
.LBB62_1008:
	s_or_b64 exec, exec, s[2:3]
	scratch_load_dwordx2 v[130:131], off, off offset:328
	v_cmp_gt_u32_e32 vcc, 41, v0
	s_waitcnt vmcnt(0)
	ds_write_b64 v1, v[130:131]
	s_waitcnt lgkmcnt(0)
	; wave barrier
	s_and_saveexec_b64 s[2:3], vcc
	s_cbranch_execz .LBB62_1018
; %bb.1009:
	s_and_b64 vcc, exec, s[0:1]
	s_cbranch_vccnz .LBB62_1011
; %bb.1010:
	scratch_load_dwordx2 v[130:131], v11, off
	ds_read_b64 v[132:133], v1
	s_waitcnt vmcnt(0) lgkmcnt(0)
	v_mul_f64 v[130:131], v[130:131], v[132:133]
	s_cbranch_execz .LBB62_1012
	s_branch .LBB62_1013
.LBB62_1011:
                                        ; implicit-def: $vgpr130_vgpr131
.LBB62_1012:
	ds_read_b64 v[130:131], v1
.LBB62_1013:
	v_cmp_ne_u32_e32 vcc, 40, v0
	s_and_saveexec_b64 s[4:5], vcc
	s_cbranch_execz .LBB62_1017
; %bb.1014:
	s_mov_b32 s6, 0
	v_add_u32_e32 v132, 0x208, v10
	v_add3_u32 v133, v10, s6, 8
	s_mov_b64 s[6:7], 0
	v_mov_b32_e32 v134, v0
.LBB62_1015:                            ; =>This Inner Loop Header: Depth=1
	scratch_load_dwordx2 v[136:137], v133, off
	ds_read_b64 v[138:139], v132
	v_add_u32_e32 v134, 1, v134
	v_cmp_lt_u32_e32 vcc, 39, v134
	v_add_u32_e32 v132, 8, v132
	v_add_u32_e32 v133, 8, v133
	s_or_b64 s[6:7], vcc, s[6:7]
	s_waitcnt vmcnt(0) lgkmcnt(0)
	v_fmac_f64_e32 v[130:131], v[136:137], v[138:139]
	s_andn2_b64 exec, exec, s[6:7]
	s_cbranch_execnz .LBB62_1015
; %bb.1016:
	s_or_b64 exec, exec, s[6:7]
.LBB62_1017:
	s_or_b64 exec, exec, s[4:5]
	v_mov_b32_e32 v132, 0
	ds_read_b64 v[132:133], v132 offset:328
	s_waitcnt lgkmcnt(0)
	v_mul_f64 v[130:131], v[130:131], v[132:133]
	scratch_store_dwordx2 off, v[130:131], off offset:328
.LBB62_1018:
	;; [unrolled: 55-line block ×21, first 2 shown]
	s_or_b64 exec, exec, s[2:3]
	scratch_load_dwordx2 v[130:131], off, off offset:488
	v_cmp_gt_u32_e64 s[2:3], 61, v0
	s_waitcnt vmcnt(0)
	ds_write_b64 v1, v[130:131]
	s_waitcnt lgkmcnt(0)
	; wave barrier
	s_and_saveexec_b64 s[4:5], s[2:3]
	s_cbranch_execz .LBB62_1218
; %bb.1209:
	s_and_b64 vcc, exec, s[0:1]
	s_cbranch_vccnz .LBB62_1211
; %bb.1210:
	scratch_load_dwordx2 v[130:131], v11, off
	ds_read_b64 v[132:133], v1
	s_waitcnt vmcnt(0) lgkmcnt(0)
	v_mul_f64 v[130:131], v[130:131], v[132:133]
	s_cbranch_execz .LBB62_1212
	s_branch .LBB62_1213
.LBB62_1211:
                                        ; implicit-def: $vgpr130_vgpr131
.LBB62_1212:
	ds_read_b64 v[130:131], v1
.LBB62_1213:
	v_cmp_ne_u32_e32 vcc, 60, v0
	s_and_saveexec_b64 s[6:7], vcc
	s_cbranch_execz .LBB62_1217
; %bb.1214:
	s_mov_b32 s8, 0
	v_add_u32_e32 v132, 0x208, v10
	v_add3_u32 v133, v10, s8, 8
	s_mov_b64 s[8:9], 0
	v_mov_b32_e32 v134, v0
.LBB62_1215:                            ; =>This Inner Loop Header: Depth=1
	scratch_load_dwordx2 v[136:137], v133, off
	ds_read_b64 v[138:139], v132
	v_add_u32_e32 v134, 1, v134
	v_cmp_lt_u32_e32 vcc, 59, v134
	v_add_u32_e32 v132, 8, v132
	v_add_u32_e32 v133, 8, v133
	s_or_b64 s[8:9], vcc, s[8:9]
	s_waitcnt vmcnt(0) lgkmcnt(0)
	v_fmac_f64_e32 v[130:131], v[136:137], v[138:139]
	s_andn2_b64 exec, exec, s[8:9]
	s_cbranch_execnz .LBB62_1215
; %bb.1216:
	s_or_b64 exec, exec, s[8:9]
.LBB62_1217:
	s_or_b64 exec, exec, s[6:7]
	v_mov_b32_e32 v132, 0
	ds_read_b64 v[132:133], v132 offset:488
	s_waitcnt lgkmcnt(0)
	v_mul_f64 v[130:131], v[130:131], v[132:133]
	scratch_store_dwordx2 off, v[130:131], off offset:488
.LBB62_1218:
	s_or_b64 exec, exec, s[4:5]
	scratch_load_dwordx2 v[130:131], off, off offset:496
	v_cmp_ne_u32_e32 vcc, 62, v0
	s_waitcnt vmcnt(0)
	ds_write_b64 v1, v[130:131]
	s_waitcnt lgkmcnt(0)
	; wave barrier
	s_and_saveexec_b64 s[4:5], vcc
	s_cbranch_execz .LBB62_1228
; %bb.1219:
	s_and_b64 vcc, exec, s[0:1]
	s_cbranch_vccnz .LBB62_1221
; %bb.1220:
	scratch_load_dwordx2 v[130:131], v11, off
	ds_read_b64 v[132:133], v1
	s_waitcnt vmcnt(0) lgkmcnt(0)
	v_mul_f64 v[130:131], v[130:131], v[132:133]
	s_cbranch_execz .LBB62_1222
	s_branch .LBB62_1223
.LBB62_1221:
                                        ; implicit-def: $vgpr130_vgpr131
.LBB62_1222:
	ds_read_b64 v[130:131], v1
.LBB62_1223:
	s_and_saveexec_b64 s[0:1], s[2:3]
	s_cbranch_execz .LBB62_1227
; %bb.1224:
	s_mov_b32 s2, 0
	v_add_u32_e32 v1, 0x208, v10
	v_add3_u32 v10, v10, s2, 8
	s_mov_b64 s[2:3], 0
.LBB62_1225:                            ; =>This Inner Loop Header: Depth=1
	scratch_load_dwordx2 v[132:133], v10, off
	ds_read_b64 v[134:135], v1
	v_add_u32_e32 v0, 1, v0
	v_cmp_lt_u32_e32 vcc, 60, v0
	v_add_u32_e32 v1, 8, v1
	v_add_u32_e32 v10, 8, v10
	s_or_b64 s[2:3], vcc, s[2:3]
	s_waitcnt vmcnt(0) lgkmcnt(0)
	v_fmac_f64_e32 v[130:131], v[132:133], v[134:135]
	s_andn2_b64 exec, exec, s[2:3]
	s_cbranch_execnz .LBB62_1225
; %bb.1226:
	s_or_b64 exec, exec, s[2:3]
.LBB62_1227:
	s_or_b64 exec, exec, s[0:1]
	v_mov_b32_e32 v0, 0
	ds_read_b64 v[0:1], v0 offset:496
	s_waitcnt lgkmcnt(0)
	v_mul_f64 v[0:1], v[130:131], v[0:1]
	scratch_store_dwordx2 off, v[0:1], off offset:496
.LBB62_1228:
	s_or_b64 exec, exec, s[4:5]
.LBB62_1229:
	scratch_load_dwordx4 v[130:133], off, off
	s_waitcnt vmcnt(0)
	global_store_dwordx2 v[2:3], v[130:131], off
	global_store_dwordx2 v[4:5], v[132:133], off
	scratch_load_dwordx4 v[0:3], off, off offset:16
	s_waitcnt vmcnt(0)
	global_store_dwordx2 v[6:7], v[0:1], off
	global_store_dwordx2 v[8:9], v[2:3], off
	scratch_load_dwordx4 v[0:3], off, off offset:32
	;; [unrolled: 4-line block ×30, first 2 shown]
	s_waitcnt vmcnt(0)
	global_store_dwordx2 v[126:127], v[0:1], off
	global_store_dwordx2 v[128:129], v[2:3], off
	scratch_load_dwordx2 v[0:1], off, off offset:496
	s_waitcnt vmcnt(0)
	global_store_dwordx2 v[120:121], v[0:1], off
.LBB62_1230:
	s_endpgm
	.section	.rodata,"a",@progbits
	.p2align	6, 0x0
	.amdhsa_kernel _ZN9rocsolver6v33100L18trti2_kernel_smallILi63EdPdEEv13rocblas_fill_17rocblas_diagonal_T1_iil
		.amdhsa_group_segment_fixed_size 1016
		.amdhsa_private_segment_fixed_size 512
		.amdhsa_kernarg_size 32
		.amdhsa_user_sgpr_count 2
		.amdhsa_user_sgpr_dispatch_ptr 0
		.amdhsa_user_sgpr_queue_ptr 0
		.amdhsa_user_sgpr_kernarg_segment_ptr 1
		.amdhsa_user_sgpr_dispatch_id 0
		.amdhsa_user_sgpr_kernarg_preload_length 0
		.amdhsa_user_sgpr_kernarg_preload_offset 0
		.amdhsa_user_sgpr_private_segment_size 0
		.amdhsa_uses_dynamic_stack 0
		.amdhsa_enable_private_segment 1
		.amdhsa_system_sgpr_workgroup_id_x 1
		.amdhsa_system_sgpr_workgroup_id_y 0
		.amdhsa_system_sgpr_workgroup_id_z 0
		.amdhsa_system_sgpr_workgroup_info 0
		.amdhsa_system_vgpr_workitem_id 0
		.amdhsa_next_free_vgpr 140
		.amdhsa_next_free_sgpr 42
		.amdhsa_accum_offset 140
		.amdhsa_reserve_vcc 1
		.amdhsa_float_round_mode_32 0
		.amdhsa_float_round_mode_16_64 0
		.amdhsa_float_denorm_mode_32 3
		.amdhsa_float_denorm_mode_16_64 3
		.amdhsa_dx10_clamp 1
		.amdhsa_ieee_mode 1
		.amdhsa_fp16_overflow 0
		.amdhsa_tg_split 0
		.amdhsa_exception_fp_ieee_invalid_op 0
		.amdhsa_exception_fp_denorm_src 0
		.amdhsa_exception_fp_ieee_div_zero 0
		.amdhsa_exception_fp_ieee_overflow 0
		.amdhsa_exception_fp_ieee_underflow 0
		.amdhsa_exception_fp_ieee_inexact 0
		.amdhsa_exception_int_div_zero 0
	.end_amdhsa_kernel
	.section	.text._ZN9rocsolver6v33100L18trti2_kernel_smallILi63EdPdEEv13rocblas_fill_17rocblas_diagonal_T1_iil,"axG",@progbits,_ZN9rocsolver6v33100L18trti2_kernel_smallILi63EdPdEEv13rocblas_fill_17rocblas_diagonal_T1_iil,comdat
.Lfunc_end62:
	.size	_ZN9rocsolver6v33100L18trti2_kernel_smallILi63EdPdEEv13rocblas_fill_17rocblas_diagonal_T1_iil, .Lfunc_end62-_ZN9rocsolver6v33100L18trti2_kernel_smallILi63EdPdEEv13rocblas_fill_17rocblas_diagonal_T1_iil
                                        ; -- End function
	.set _ZN9rocsolver6v33100L18trti2_kernel_smallILi63EdPdEEv13rocblas_fill_17rocblas_diagonal_T1_iil.num_vgpr, 140
	.set _ZN9rocsolver6v33100L18trti2_kernel_smallILi63EdPdEEv13rocblas_fill_17rocblas_diagonal_T1_iil.num_agpr, 0
	.set _ZN9rocsolver6v33100L18trti2_kernel_smallILi63EdPdEEv13rocblas_fill_17rocblas_diagonal_T1_iil.numbered_sgpr, 42
	.set _ZN9rocsolver6v33100L18trti2_kernel_smallILi63EdPdEEv13rocblas_fill_17rocblas_diagonal_T1_iil.num_named_barrier, 0
	.set _ZN9rocsolver6v33100L18trti2_kernel_smallILi63EdPdEEv13rocblas_fill_17rocblas_diagonal_T1_iil.private_seg_size, 512
	.set _ZN9rocsolver6v33100L18trti2_kernel_smallILi63EdPdEEv13rocblas_fill_17rocblas_diagonal_T1_iil.uses_vcc, 1
	.set _ZN9rocsolver6v33100L18trti2_kernel_smallILi63EdPdEEv13rocblas_fill_17rocblas_diagonal_T1_iil.uses_flat_scratch, 0
	.set _ZN9rocsolver6v33100L18trti2_kernel_smallILi63EdPdEEv13rocblas_fill_17rocblas_diagonal_T1_iil.has_dyn_sized_stack, 0
	.set _ZN9rocsolver6v33100L18trti2_kernel_smallILi63EdPdEEv13rocblas_fill_17rocblas_diagonal_T1_iil.has_recursion, 0
	.set _ZN9rocsolver6v33100L18trti2_kernel_smallILi63EdPdEEv13rocblas_fill_17rocblas_diagonal_T1_iil.has_indirect_call, 0
	.section	.AMDGPU.csdata,"",@progbits
; Kernel info:
; codeLenInByte = 30140
; TotalNumSgprs: 48
; NumVgprs: 140
; NumAgprs: 0
; TotalNumVgprs: 140
; ScratchSize: 512
; MemoryBound: 0
; FloatMode: 240
; IeeeMode: 1
; LDSByteSize: 1016 bytes/workgroup (compile time only)
; SGPRBlocks: 5
; VGPRBlocks: 17
; NumSGPRsForWavesPerEU: 48
; NumVGPRsForWavesPerEU: 140
; AccumOffset: 140
; Occupancy: 3
; WaveLimiterHint : 0
; COMPUTE_PGM_RSRC2:SCRATCH_EN: 1
; COMPUTE_PGM_RSRC2:USER_SGPR: 2
; COMPUTE_PGM_RSRC2:TRAP_HANDLER: 0
; COMPUTE_PGM_RSRC2:TGID_X_EN: 1
; COMPUTE_PGM_RSRC2:TGID_Y_EN: 0
; COMPUTE_PGM_RSRC2:TGID_Z_EN: 0
; COMPUTE_PGM_RSRC2:TIDIG_COMP_CNT: 0
; COMPUTE_PGM_RSRC3_GFX90A:ACCUM_OFFSET: 34
; COMPUTE_PGM_RSRC3_GFX90A:TG_SPLIT: 0
	.section	.text._ZN9rocsolver6v33100L18trti2_kernel_smallILi64EdPdEEv13rocblas_fill_17rocblas_diagonal_T1_iil,"axG",@progbits,_ZN9rocsolver6v33100L18trti2_kernel_smallILi64EdPdEEv13rocblas_fill_17rocblas_diagonal_T1_iil,comdat
	.globl	_ZN9rocsolver6v33100L18trti2_kernel_smallILi64EdPdEEv13rocblas_fill_17rocblas_diagonal_T1_iil ; -- Begin function _ZN9rocsolver6v33100L18trti2_kernel_smallILi64EdPdEEv13rocblas_fill_17rocblas_diagonal_T1_iil
	.p2align	8
	.type	_ZN9rocsolver6v33100L18trti2_kernel_smallILi64EdPdEEv13rocblas_fill_17rocblas_diagonal_T1_iil,@function
_ZN9rocsolver6v33100L18trti2_kernel_smallILi64EdPdEEv13rocblas_fill_17rocblas_diagonal_T1_iil: ; @_ZN9rocsolver6v33100L18trti2_kernel_smallILi64EdPdEEv13rocblas_fill_17rocblas_diagonal_T1_iil
; %bb.0:
	v_cmp_gt_u32_e32 vcc, 64, v0
	s_and_saveexec_b64 s[4:5], vcc
	s_cbranch_execz .LBB63_1250
; %bb.1:
	s_load_dwordx8 s[4:11], s[0:1], 0x0
	s_ashr_i32 s3, s2, 31
	v_lshlrev_b32_e32 v16, 3, v0
	v_mov_b32_e32 v17, 0
	s_waitcnt lgkmcnt(0)
	s_ashr_i32 s1, s8, 31
	s_mov_b32 s0, s8
	s_mul_hi_u32 s8, s10, s2
	s_mul_i32 s3, s10, s3
	s_add_i32 s3, s8, s3
	s_mul_i32 s8, s11, s2
	s_add_i32 s3, s3, s8
	s_mul_i32 s2, s10, s2
	s_lshl_b64 s[2:3], s[2:3], 3
	s_add_u32 s2, s6, s2
	s_addc_u32 s3, s7, s3
	s_lshl_b64 s[0:1], s[0:1], 3
	s_add_u32 s0, s2, s0
	s_addc_u32 s1, s3, s1
	v_lshl_add_u64 v[2:3], s[0:1], 0, v[16:17]
	s_ashr_i32 s3, s9, 31
	s_mov_b32 s2, s9
	v_lshl_add_u64 v[4:5], s[2:3], 3, v[2:3]
	global_load_dwordx2 v[6:7], v16, s[0:1]
	global_load_dwordx2 v[8:9], v[4:5], off
	s_add_i32 s2, s9, s9
	s_cmpk_lg_i32 s5, 0x84
	s_cselect_b64 s[6:7], -1, 0
	s_cmpk_eq_i32 s5, 0x84
	s_waitcnt vmcnt(0)
	scratch_store_dwordx4 off, v[6:9], off
	s_nop 1
	v_add_u32_e32 v8, s2, v0
	v_add_u32_e32 v10, s9, v8
	v_ashrrev_i32_e32 v9, 31, v8
	v_ashrrev_i32_e32 v11, 31, v10
	v_lshl_add_u64 v[6:7], v[8:9], 3, s[0:1]
	v_lshl_add_u64 v[8:9], v[10:11], 3, s[0:1]
	global_load_dwordx2 v[12:13], v[6:7], off
	global_load_dwordx2 v[14:15], v[8:9], off
	s_waitcnt vmcnt(0)
	scratch_store_dwordx4 off, v[12:15], off offset:16
	s_nop 1
	v_add_u32_e32 v12, s9, v10
	v_add_u32_e32 v14, s9, v12
	v_ashrrev_i32_e32 v13, 31, v12
	v_ashrrev_i32_e32 v15, 31, v14
	v_lshl_add_u64 v[10:11], v[12:13], 3, s[0:1]
	v_lshl_add_u64 v[12:13], v[14:15], 3, s[0:1]
	global_load_dwordx2 v[18:19], v[10:11], off
	global_load_dwordx2 v[20:21], v[12:13], off
	s_waitcnt vmcnt(0)
	scratch_store_dwordx4 off, v[18:21], off offset:32
	s_nop 1
	v_add_u32_e32 v18, s9, v14
	v_add_u32_e32 v20, s9, v18
	v_ashrrev_i32_e32 v19, 31, v18
	v_ashrrev_i32_e32 v21, 31, v20
	v_lshl_add_u64 v[14:15], v[18:19], 3, s[0:1]
	v_lshl_add_u64 v[18:19], v[20:21], 3, s[0:1]
	global_load_dwordx2 v[22:23], v[14:15], off
	global_load_dwordx2 v[24:25], v[18:19], off
	s_waitcnt vmcnt(0)
	scratch_store_dwordx4 off, v[22:25], off offset:48
	s_nop 1
	v_add_u32_e32 v22, s9, v20
	v_add_u32_e32 v24, s9, v22
	v_ashrrev_i32_e32 v23, 31, v22
	v_ashrrev_i32_e32 v25, 31, v24
	v_lshl_add_u64 v[20:21], v[22:23], 3, s[0:1]
	v_lshl_add_u64 v[22:23], v[24:25], 3, s[0:1]
	global_load_dwordx2 v[26:27], v[20:21], off
	global_load_dwordx2 v[28:29], v[22:23], off
	s_waitcnt vmcnt(0)
	scratch_store_dwordx4 off, v[26:29], off offset:64
	s_nop 1
	v_add_u32_e32 v26, s9, v24
	v_add_u32_e32 v28, s9, v26
	v_ashrrev_i32_e32 v27, 31, v26
	v_ashrrev_i32_e32 v29, 31, v28
	v_lshl_add_u64 v[24:25], v[26:27], 3, s[0:1]
	v_lshl_add_u64 v[26:27], v[28:29], 3, s[0:1]
	global_load_dwordx2 v[30:31], v[24:25], off
	global_load_dwordx2 v[32:33], v[26:27], off
	s_waitcnt vmcnt(0)
	scratch_store_dwordx4 off, v[30:33], off offset:80
	s_nop 1
	v_add_u32_e32 v30, s9, v28
	v_add_u32_e32 v32, s9, v30
	v_ashrrev_i32_e32 v31, 31, v30
	v_ashrrev_i32_e32 v33, 31, v32
	v_lshl_add_u64 v[28:29], v[30:31], 3, s[0:1]
	v_lshl_add_u64 v[30:31], v[32:33], 3, s[0:1]
	global_load_dwordx2 v[34:35], v[28:29], off
	global_load_dwordx2 v[36:37], v[30:31], off
	s_waitcnt vmcnt(0)
	scratch_store_dwordx4 off, v[34:37], off offset:96
	s_nop 1
	v_add_u32_e32 v34, s9, v32
	v_add_u32_e32 v36, s9, v34
	v_ashrrev_i32_e32 v35, 31, v34
	v_ashrrev_i32_e32 v37, 31, v36
	v_lshl_add_u64 v[32:33], v[34:35], 3, s[0:1]
	v_lshl_add_u64 v[34:35], v[36:37], 3, s[0:1]
	global_load_dwordx2 v[38:39], v[32:33], off
	global_load_dwordx2 v[40:41], v[34:35], off
	s_waitcnt vmcnt(0)
	scratch_store_dwordx4 off, v[38:41], off offset:112
	s_nop 1
	v_add_u32_e32 v38, s9, v36
	v_add_u32_e32 v40, s9, v38
	v_ashrrev_i32_e32 v39, 31, v38
	v_ashrrev_i32_e32 v41, 31, v40
	v_lshl_add_u64 v[36:37], v[38:39], 3, s[0:1]
	v_lshl_add_u64 v[38:39], v[40:41], 3, s[0:1]
	global_load_dwordx2 v[42:43], v[36:37], off
	global_load_dwordx2 v[44:45], v[38:39], off
	s_waitcnt vmcnt(0)
	scratch_store_dwordx4 off, v[42:45], off offset:128
	s_nop 1
	v_add_u32_e32 v42, s9, v40
	v_add_u32_e32 v44, s9, v42
	v_ashrrev_i32_e32 v43, 31, v42
	v_ashrrev_i32_e32 v45, 31, v44
	v_lshl_add_u64 v[40:41], v[42:43], 3, s[0:1]
	v_lshl_add_u64 v[42:43], v[44:45], 3, s[0:1]
	global_load_dwordx2 v[46:47], v[40:41], off
	global_load_dwordx2 v[48:49], v[42:43], off
	s_waitcnt vmcnt(0)
	scratch_store_dwordx4 off, v[46:49], off offset:144
	s_nop 1
	v_add_u32_e32 v46, s9, v44
	v_add_u32_e32 v48, s9, v46
	v_ashrrev_i32_e32 v47, 31, v46
	v_ashrrev_i32_e32 v49, 31, v48
	v_lshl_add_u64 v[44:45], v[46:47], 3, s[0:1]
	v_lshl_add_u64 v[46:47], v[48:49], 3, s[0:1]
	global_load_dwordx2 v[50:51], v[44:45], off
	global_load_dwordx2 v[52:53], v[46:47], off
	s_waitcnt vmcnt(0)
	scratch_store_dwordx4 off, v[50:53], off offset:160
	s_nop 1
	v_add_u32_e32 v50, s9, v48
	v_add_u32_e32 v52, s9, v50
	v_ashrrev_i32_e32 v51, 31, v50
	v_ashrrev_i32_e32 v53, 31, v52
	v_lshl_add_u64 v[48:49], v[50:51], 3, s[0:1]
	v_lshl_add_u64 v[50:51], v[52:53], 3, s[0:1]
	global_load_dwordx2 v[54:55], v[48:49], off
	global_load_dwordx2 v[56:57], v[50:51], off
	s_waitcnt vmcnt(0)
	scratch_store_dwordx4 off, v[54:57], off offset:176
	s_nop 1
	v_add_u32_e32 v54, s9, v52
	v_add_u32_e32 v56, s9, v54
	v_ashrrev_i32_e32 v55, 31, v54
	v_ashrrev_i32_e32 v57, 31, v56
	v_lshl_add_u64 v[52:53], v[54:55], 3, s[0:1]
	v_lshl_add_u64 v[54:55], v[56:57], 3, s[0:1]
	global_load_dwordx2 v[58:59], v[52:53], off
	global_load_dwordx2 v[60:61], v[54:55], off
	s_waitcnt vmcnt(0)
	scratch_store_dwordx4 off, v[58:61], off offset:192
	s_nop 1
	v_add_u32_e32 v58, s9, v56
	v_add_u32_e32 v60, s9, v58
	v_ashrrev_i32_e32 v59, 31, v58
	v_ashrrev_i32_e32 v61, 31, v60
	v_lshl_add_u64 v[56:57], v[58:59], 3, s[0:1]
	v_lshl_add_u64 v[58:59], v[60:61], 3, s[0:1]
	global_load_dwordx2 v[62:63], v[56:57], off
	global_load_dwordx2 v[64:65], v[58:59], off
	s_waitcnt vmcnt(0)
	scratch_store_dwordx4 off, v[62:65], off offset:208
	s_nop 1
	v_add_u32_e32 v62, s9, v60
	v_add_u32_e32 v64, s9, v62
	v_ashrrev_i32_e32 v63, 31, v62
	v_ashrrev_i32_e32 v65, 31, v64
	v_lshl_add_u64 v[60:61], v[62:63], 3, s[0:1]
	v_lshl_add_u64 v[62:63], v[64:65], 3, s[0:1]
	global_load_dwordx2 v[66:67], v[60:61], off
	global_load_dwordx2 v[68:69], v[62:63], off
	s_waitcnt vmcnt(0)
	scratch_store_dwordx4 off, v[66:69], off offset:224
	s_nop 1
	v_add_u32_e32 v66, s9, v64
	v_add_u32_e32 v68, s9, v66
	v_ashrrev_i32_e32 v67, 31, v66
	v_ashrrev_i32_e32 v69, 31, v68
	v_lshl_add_u64 v[64:65], v[66:67], 3, s[0:1]
	v_lshl_add_u64 v[66:67], v[68:69], 3, s[0:1]
	global_load_dwordx2 v[70:71], v[64:65], off
	global_load_dwordx2 v[72:73], v[66:67], off
	s_waitcnt vmcnt(0)
	scratch_store_dwordx4 off, v[70:73], off offset:240
	s_nop 1
	v_add_u32_e32 v70, s9, v68
	v_add_u32_e32 v72, s9, v70
	v_ashrrev_i32_e32 v71, 31, v70
	v_ashrrev_i32_e32 v73, 31, v72
	v_lshl_add_u64 v[68:69], v[70:71], 3, s[0:1]
	v_lshl_add_u64 v[70:71], v[72:73], 3, s[0:1]
	global_load_dwordx2 v[74:75], v[68:69], off
	global_load_dwordx2 v[76:77], v[70:71], off
	s_waitcnt vmcnt(0)
	scratch_store_dwordx4 off, v[74:77], off offset:256
	s_nop 1
	v_add_u32_e32 v74, s9, v72
	v_add_u32_e32 v76, s9, v74
	v_ashrrev_i32_e32 v75, 31, v74
	v_ashrrev_i32_e32 v77, 31, v76
	v_lshl_add_u64 v[72:73], v[74:75], 3, s[0:1]
	v_lshl_add_u64 v[74:75], v[76:77], 3, s[0:1]
	global_load_dwordx2 v[78:79], v[72:73], off
	global_load_dwordx2 v[80:81], v[74:75], off
	s_waitcnt vmcnt(0)
	scratch_store_dwordx4 off, v[78:81], off offset:272
	s_nop 1
	v_add_u32_e32 v78, s9, v76
	v_add_u32_e32 v80, s9, v78
	v_ashrrev_i32_e32 v79, 31, v78
	v_ashrrev_i32_e32 v81, 31, v80
	v_lshl_add_u64 v[76:77], v[78:79], 3, s[0:1]
	v_lshl_add_u64 v[78:79], v[80:81], 3, s[0:1]
	global_load_dwordx2 v[82:83], v[76:77], off
	global_load_dwordx2 v[84:85], v[78:79], off
	s_waitcnt vmcnt(0)
	scratch_store_dwordx4 off, v[82:85], off offset:288
	s_nop 1
	v_add_u32_e32 v82, s9, v80
	v_add_u32_e32 v84, s9, v82
	v_ashrrev_i32_e32 v83, 31, v82
	v_ashrrev_i32_e32 v85, 31, v84
	v_lshl_add_u64 v[80:81], v[82:83], 3, s[0:1]
	v_lshl_add_u64 v[82:83], v[84:85], 3, s[0:1]
	global_load_dwordx2 v[86:87], v[80:81], off
	global_load_dwordx2 v[88:89], v[82:83], off
	s_waitcnt vmcnt(0)
	scratch_store_dwordx4 off, v[86:89], off offset:304
	s_nop 1
	v_add_u32_e32 v86, s9, v84
	v_add_u32_e32 v88, s9, v86
	v_ashrrev_i32_e32 v87, 31, v86
	v_ashrrev_i32_e32 v89, 31, v88
	v_lshl_add_u64 v[84:85], v[86:87], 3, s[0:1]
	v_lshl_add_u64 v[86:87], v[88:89], 3, s[0:1]
	global_load_dwordx2 v[90:91], v[84:85], off
	global_load_dwordx2 v[92:93], v[86:87], off
	s_waitcnt vmcnt(0)
	scratch_store_dwordx4 off, v[90:93], off offset:320
	s_nop 1
	v_add_u32_e32 v90, s9, v88
	v_add_u32_e32 v92, s9, v90
	v_ashrrev_i32_e32 v91, 31, v90
	v_ashrrev_i32_e32 v93, 31, v92
	v_lshl_add_u64 v[88:89], v[90:91], 3, s[0:1]
	v_lshl_add_u64 v[90:91], v[92:93], 3, s[0:1]
	global_load_dwordx2 v[94:95], v[88:89], off
	global_load_dwordx2 v[96:97], v[90:91], off
	s_waitcnt vmcnt(0)
	scratch_store_dwordx4 off, v[94:97], off offset:336
	s_nop 1
	v_add_u32_e32 v94, s9, v92
	v_add_u32_e32 v96, s9, v94
	v_ashrrev_i32_e32 v95, 31, v94
	v_ashrrev_i32_e32 v97, 31, v96
	v_lshl_add_u64 v[92:93], v[94:95], 3, s[0:1]
	v_lshl_add_u64 v[94:95], v[96:97], 3, s[0:1]
	global_load_dwordx2 v[98:99], v[92:93], off
	global_load_dwordx2 v[100:101], v[94:95], off
	s_waitcnt vmcnt(0)
	scratch_store_dwordx4 off, v[98:101], off offset:352
	s_nop 1
	v_add_u32_e32 v98, s9, v96
	v_add_u32_e32 v100, s9, v98
	v_ashrrev_i32_e32 v99, 31, v98
	v_ashrrev_i32_e32 v101, 31, v100
	v_lshl_add_u64 v[96:97], v[98:99], 3, s[0:1]
	v_lshl_add_u64 v[98:99], v[100:101], 3, s[0:1]
	global_load_dwordx2 v[102:103], v[96:97], off
	global_load_dwordx2 v[104:105], v[98:99], off
	s_waitcnt vmcnt(0)
	scratch_store_dwordx4 off, v[102:105], off offset:368
	s_nop 1
	v_add_u32_e32 v102, s9, v100
	v_add_u32_e32 v104, s9, v102
	v_ashrrev_i32_e32 v103, 31, v102
	v_ashrrev_i32_e32 v105, 31, v104
	v_lshl_add_u64 v[100:101], v[102:103], 3, s[0:1]
	v_lshl_add_u64 v[102:103], v[104:105], 3, s[0:1]
	global_load_dwordx2 v[106:107], v[100:101], off
	global_load_dwordx2 v[108:109], v[102:103], off
	s_waitcnt vmcnt(0)
	scratch_store_dwordx4 off, v[106:109], off offset:384
	s_nop 1
	v_add_u32_e32 v106, s9, v104
	v_add_u32_e32 v108, s9, v106
	v_ashrrev_i32_e32 v107, 31, v106
	v_ashrrev_i32_e32 v109, 31, v108
	v_lshl_add_u64 v[104:105], v[106:107], 3, s[0:1]
	v_lshl_add_u64 v[106:107], v[108:109], 3, s[0:1]
	global_load_dwordx2 v[110:111], v[104:105], off
	global_load_dwordx2 v[112:113], v[106:107], off
	s_waitcnt vmcnt(0)
	scratch_store_dwordx4 off, v[110:113], off offset:400
	s_nop 1
	v_add_u32_e32 v110, s9, v108
	v_ashrrev_i32_e32 v111, 31, v110
	v_lshl_add_u64 v[108:109], v[110:111], 3, s[0:1]
	v_add_u32_e32 v110, s9, v110
	v_ashrrev_i32_e32 v111, 31, v110
	v_lshl_add_u64 v[112:113], v[110:111], 3, s[0:1]
	global_load_dwordx2 v[114:115], v[108:109], off
	global_load_dwordx2 v[116:117], v[112:113], off
	v_add_u32_e32 v110, s9, v110
	v_ashrrev_i32_e32 v111, 31, v110
	s_waitcnt vmcnt(0)
	scratch_store_dwordx4 off, v[114:117], off offset:416
	s_nop 1
	v_lshl_add_u64 v[116:117], v[110:111], 3, s[0:1]
	v_add_u32_e32 v110, s9, v110
	v_ashrrev_i32_e32 v111, 31, v110
	v_lshl_add_u64 v[118:119], v[110:111], 3, s[0:1]
	global_load_dwordx2 v[120:121], v[116:117], off
	global_load_dwordx2 v[122:123], v[118:119], off
	v_add_u32_e32 v110, s9, v110
	v_ashrrev_i32_e32 v111, 31, v110
	s_waitcnt vmcnt(0)
	scratch_store_dwordx4 off, v[120:123], off offset:432
	s_nop 1
	;; [unrolled: 11-line block ×4, first 2 shown]
	v_lshl_add_u64 v[128:129], v[110:111], 3, s[0:1]
	v_add_u32_e32 v110, s9, v110
	v_ashrrev_i32_e32 v111, 31, v110
	v_lshl_add_u64 v[130:131], v[110:111], 3, s[0:1]
	global_load_dwordx2 v[132:133], v[128:129], off
	global_load_dwordx2 v[134:135], v[130:131], off
	v_add_u32_e32 v114, s9, v110
	v_ashrrev_i32_e32 v115, 31, v114
	v_lshl_add_u64 v[110:111], v[114:115], 3, s[0:1]
	v_add_u32_e32 v114, s9, v114
	v_ashrrev_i32_e32 v115, 31, v114
	v_lshl_add_u64 v[114:115], v[114:115], 3, s[0:1]
	s_waitcnt vmcnt(0)
	scratch_store_dwordx4 off, v[132:135], off offset:480
	global_load_dwordx2 v[132:133], v[110:111], off
	s_nop 0
	global_load_dwordx2 v[134:135], v[114:115], off
	s_waitcnt vmcnt(0)
	scratch_store_dwordx4 off, v[132:135], off offset:496
	s_nop 1
	v_mov_b64_e32 v[132:133], -1.0
	s_cbranch_scc1 .LBB63_3
; %bb.2:
	scratch_load_dwordx2 v[132:133], v16, off
	s_waitcnt vmcnt(0)
	v_div_scale_f64 v[134:135], s[0:1], v[132:133], v[132:133], 1.0
	v_rcp_f64_e32 v[136:137], v[134:135]
	v_div_scale_f64 v[138:139], vcc, 1.0, v[132:133], 1.0
	v_fma_f64 v[140:141], -v[134:135], v[136:137], 1.0
	v_fmac_f64_e32 v[136:137], v[136:137], v[140:141]
	v_fma_f64 v[140:141], -v[134:135], v[136:137], 1.0
	v_fmac_f64_e32 v[136:137], v[136:137], v[140:141]
	v_mul_f64 v[140:141], v[138:139], v[136:137]
	v_fma_f64 v[134:135], -v[134:135], v[140:141], v[138:139]
	v_div_fmas_f64 v[134:135], v[134:135], v[136:137], v[140:141]
	v_div_fixup_f64 v[132:133], v[134:135], v[132:133], 1.0
	scratch_store_dwordx2 v16, v[132:133], off
	v_xor_b32_e32 v133, 0x80000000, v133
.LBB63_3:
	s_cmpk_eq_i32 s4, 0x79
	v_or_b32_e32 v1, 0x200, v16
	v_mov_b32_e32 v17, v16
	s_mov_b64 s[0:1], -1
	ds_write_b64 v16, v[132:133]
	s_cbranch_scc1 .LBB63_627
; %bb.4:
	scratch_load_dwordx2 v[132:133], off, off offset:496
	s_movk_i32 s8, 0x50
	s_movk_i32 s9, 0x60
	;; [unrolled: 1-line block ×26, first 2 shown]
	v_cmp_eq_u32_e64 s[0:1], 63, v0
	s_waitcnt vmcnt(0)
	ds_write_b64 v1, v[132:133]
	s_waitcnt lgkmcnt(0)
	; wave barrier
	s_and_saveexec_b64 s[2:3], s[0:1]
	s_cbranch_execz .LBB63_10
; %bb.5:
	s_and_b64 vcc, exec, s[6:7]
	s_cbranch_vccz .LBB63_7
; %bb.6:
	scratch_load_dwordx2 v[132:133], v17, off
	ds_read_b64 v[134:135], v1
	s_waitcnt vmcnt(0) lgkmcnt(0)
	v_mul_f64 v[132:133], v[132:133], v[134:135]
	s_cbranch_execz .LBB63_8
	s_branch .LBB63_9
.LBB63_7:
                                        ; implicit-def: $vgpr132_vgpr133
.LBB63_8:
	ds_read_b64 v[132:133], v1
.LBB63_9:
	v_mov_b32_e32 v134, 0
	ds_read_b64 v[134:135], v134 offset:496
	s_waitcnt lgkmcnt(0)
	v_mul_f64 v[132:133], v[132:133], v[134:135]
	scratch_store_dwordx2 off, v[132:133], off offset:496
.LBB63_10:
	s_or_b64 exec, exec, s[2:3]
	scratch_load_dwordx2 v[132:133], off, off offset:488
	s_mov_b32 s10, 16
	s_mov_b32 s11, 32
	;; [unrolled: 1-line block ×6, first 2 shown]
	v_cmp_lt_u32_e64 s[2:3], 61, v0
	s_waitcnt vmcnt(0)
	ds_write_b64 v1, v[132:133]
	s_waitcnt lgkmcnt(0)
	; wave barrier
	s_and_saveexec_b64 s[4:5], s[2:3]
	s_cbranch_execz .LBB63_16
; %bb.11:
	s_andn2_b64 vcc, exec, s[6:7]
	s_cbranch_vccnz .LBB63_13
; %bb.12:
	scratch_load_dwordx2 v[132:133], v17, off
	ds_read_b64 v[134:135], v1
	s_waitcnt vmcnt(0) lgkmcnt(0)
	v_mul_f64 v[132:133], v[132:133], v[134:135]
	s_cbranch_execz .LBB63_14
	s_branch .LBB63_15
.LBB63_13:
                                        ; implicit-def: $vgpr132_vgpr133
.LBB63_14:
	ds_read_b64 v[132:133], v1
.LBB63_15:
	scratch_load_dwordx2 v[138:139], off, off offset:496
	v_mov_b32_e32 v134, 0
	ds_read2_b64 v[134:137], v134 offset0:61 offset1:126
	s_waitcnt vmcnt(0) lgkmcnt(0)
	v_fma_f64 v[136:137], v[138:139], v[136:137], v[132:133]
	v_cndmask_b32_e64 v133, v133, v137, s[0:1]
	v_cndmask_b32_e64 v132, v132, v136, s[0:1]
	v_mul_f64 v[132:133], v[132:133], v[134:135]
	scratch_store_dwordx2 off, v[132:133], off offset:488
.LBB63_16:
	s_or_b64 exec, exec, s[4:5]
	scratch_load_dwordx2 v[132:133], off, off offset:480
	v_cmp_lt_u32_e64 s[0:1], 60, v0
	s_waitcnt vmcnt(0)
	ds_write_b64 v1, v[132:133]
	s_waitcnt lgkmcnt(0)
	; wave barrier
	s_and_saveexec_b64 s[4:5], s[0:1]
	s_cbranch_execz .LBB63_26
; %bb.17:
	s_andn2_b64 vcc, exec, s[6:7]
	s_cbranch_vccnz .LBB63_19
; %bb.18:
	scratch_load_dwordx2 v[132:133], v17, off
	ds_read_b64 v[134:135], v1
	s_waitcnt vmcnt(0) lgkmcnt(0)
	v_mul_f64 v[132:133], v[132:133], v[134:135]
	s_cbranch_execz .LBB63_20
	s_branch .LBB63_21
.LBB63_19:
                                        ; implicit-def: $vgpr132_vgpr133
.LBB63_20:
	ds_read_b64 v[132:133], v1
.LBB63_21:
	s_and_saveexec_b64 s[8:9], s[2:3]
	s_cbranch_execz .LBB63_25
; %bb.22:
	s_movk_i32 s41, 0x1e8
	v_subrev_u32_e32 v134, 61, v0
	s_movk_i32 s42, 0x3e8
	s_mov_b64 s[2:3], 0
.LBB63_23:                              ; =>This Inner Loop Header: Depth=1
	scratch_load_dwordx2 v[136:137], off, s41
	v_mov_b32_e32 v135, s42
	ds_read_b64 v[138:139], v135
	v_add_u32_e32 v134, -1, v134
	s_add_i32 s42, s42, 8
	s_add_i32 s41, s41, 8
	v_cmp_eq_u32_e32 vcc, 0, v134
	s_or_b64 s[2:3], vcc, s[2:3]
	s_waitcnt vmcnt(0) lgkmcnt(0)
	v_fmac_f64_e32 v[132:133], v[136:137], v[138:139]
	s_andn2_b64 exec, exec, s[2:3]
	s_cbranch_execnz .LBB63_23
; %bb.24:
	s_or_b64 exec, exec, s[2:3]
.LBB63_25:
	s_or_b64 exec, exec, s[8:9]
	v_mov_b32_e32 v134, 0
	ds_read_b64 v[134:135], v134 offset:480
	s_waitcnt lgkmcnt(0)
	v_mul_f64 v[132:133], v[132:133], v[134:135]
	scratch_store_dwordx2 off, v[132:133], off offset:480
.LBB63_26:
	s_or_b64 exec, exec, s[4:5]
	scratch_load_dwordx2 v[132:133], off, off offset:472
	v_cmp_lt_u32_e64 s[2:3], 59, v0
	s_waitcnt vmcnt(0)
	ds_write_b64 v1, v[132:133]
	s_waitcnt lgkmcnt(0)
	; wave barrier
	s_and_saveexec_b64 s[4:5], s[2:3]
	s_cbranch_execz .LBB63_36
; %bb.27:
	s_andn2_b64 vcc, exec, s[6:7]
	s_cbranch_vccnz .LBB63_29
; %bb.28:
	scratch_load_dwordx2 v[132:133], v17, off
	ds_read_b64 v[134:135], v1
	s_waitcnt vmcnt(0) lgkmcnt(0)
	v_mul_f64 v[132:133], v[132:133], v[134:135]
	s_cbranch_execz .LBB63_30
	s_branch .LBB63_31
.LBB63_29:
                                        ; implicit-def: $vgpr132_vgpr133
.LBB63_30:
	ds_read_b64 v[132:133], v1
.LBB63_31:
	s_and_saveexec_b64 s[8:9], s[0:1]
	s_cbranch_execz .LBB63_35
; %bb.32:
	v_subrev_u32_e32 v134, 60, v0
	s_movk_i32 s41, 0x3e0
	s_mov_b64 s[0:1], 0
.LBB63_33:                              ; =>This Inner Loop Header: Depth=1
	scratch_load_dwordx2 v[136:137], off, s40
	v_mov_b32_e32 v135, s41
	ds_read_b64 v[138:139], v135
	v_add_u32_e32 v134, -1, v134
	s_add_i32 s41, s41, 8
	s_add_i32 s40, s40, 8
	v_cmp_eq_u32_e32 vcc, 0, v134
	s_or_b64 s[0:1], vcc, s[0:1]
	s_waitcnt vmcnt(0) lgkmcnt(0)
	v_fmac_f64_e32 v[132:133], v[136:137], v[138:139]
	s_andn2_b64 exec, exec, s[0:1]
	s_cbranch_execnz .LBB63_33
; %bb.34:
	s_or_b64 exec, exec, s[0:1]
.LBB63_35:
	s_or_b64 exec, exec, s[8:9]
	v_mov_b32_e32 v134, 0
	ds_read_b64 v[134:135], v134 offset:472
	s_waitcnt lgkmcnt(0)
	v_mul_f64 v[132:133], v[132:133], v[134:135]
	scratch_store_dwordx2 off, v[132:133], off offset:472
.LBB63_36:
	s_or_b64 exec, exec, s[4:5]
	scratch_load_dwordx2 v[132:133], off, off offset:464
	v_cmp_lt_u32_e64 s[0:1], 58, v0
	s_waitcnt vmcnt(0)
	ds_write_b64 v1, v[132:133]
	s_waitcnt lgkmcnt(0)
	; wave barrier
	s_and_saveexec_b64 s[4:5], s[0:1]
	s_cbranch_execz .LBB63_46
; %bb.37:
	s_andn2_b64 vcc, exec, s[6:7]
	s_cbranch_vccnz .LBB63_39
; %bb.38:
	scratch_load_dwordx2 v[132:133], v17, off
	ds_read_b64 v[134:135], v1
	s_waitcnt vmcnt(0) lgkmcnt(0)
	v_mul_f64 v[132:133], v[132:133], v[134:135]
	s_cbranch_execz .LBB63_40
	s_branch .LBB63_41
.LBB63_39:
                                        ; implicit-def: $vgpr132_vgpr133
.LBB63_40:
	ds_read_b64 v[132:133], v1
.LBB63_41:
	s_and_saveexec_b64 s[8:9], s[2:3]
	s_cbranch_execz .LBB63_45
; %bb.42:
	s_movk_i32 s40, 0x1d8
	v_subrev_u32_e32 v134, 59, v0
	s_movk_i32 s41, 0x3d8
	s_mov_b64 s[2:3], 0
.LBB63_43:                              ; =>This Inner Loop Header: Depth=1
	scratch_load_dwordx2 v[136:137], off, s40
	v_mov_b32_e32 v135, s41
	ds_read_b64 v[138:139], v135
	v_add_u32_e32 v134, -1, v134
	s_add_i32 s41, s41, 8
	s_add_i32 s40, s40, 8
	v_cmp_eq_u32_e32 vcc, 0, v134
	s_or_b64 s[2:3], vcc, s[2:3]
	s_waitcnt vmcnt(0) lgkmcnt(0)
	v_fmac_f64_e32 v[132:133], v[136:137], v[138:139]
	s_andn2_b64 exec, exec, s[2:3]
	s_cbranch_execnz .LBB63_43
; %bb.44:
	s_or_b64 exec, exec, s[2:3]
.LBB63_45:
	s_or_b64 exec, exec, s[8:9]
	v_mov_b32_e32 v134, 0
	ds_read_b64 v[134:135], v134 offset:464
	s_waitcnt lgkmcnt(0)
	v_mul_f64 v[132:133], v[132:133], v[134:135]
	scratch_store_dwordx2 off, v[132:133], off offset:464
.LBB63_46:
	s_or_b64 exec, exec, s[4:5]
	scratch_load_dwordx2 v[132:133], off, off offset:456
	v_cmp_lt_u32_e64 s[2:3], 57, v0
	s_waitcnt vmcnt(0)
	ds_write_b64 v1, v[132:133]
	s_waitcnt lgkmcnt(0)
	; wave barrier
	s_and_saveexec_b64 s[4:5], s[2:3]
	s_cbranch_execz .LBB63_56
; %bb.47:
	s_andn2_b64 vcc, exec, s[6:7]
	s_cbranch_vccnz .LBB63_49
; %bb.48:
	scratch_load_dwordx2 v[132:133], v17, off
	ds_read_b64 v[134:135], v1
	s_waitcnt vmcnt(0) lgkmcnt(0)
	v_mul_f64 v[132:133], v[132:133], v[134:135]
	s_cbranch_execz .LBB63_50
	s_branch .LBB63_51
.LBB63_49:
                                        ; implicit-def: $vgpr132_vgpr133
.LBB63_50:
	ds_read_b64 v[132:133], v1
.LBB63_51:
	s_and_saveexec_b64 s[8:9], s[0:1]
	s_cbranch_execz .LBB63_55
; %bb.52:
	v_subrev_u32_e32 v134, 58, v0
	s_movk_i32 s40, 0x3d0
	s_mov_b64 s[0:1], 0
.LBB63_53:                              ; =>This Inner Loop Header: Depth=1
	scratch_load_dwordx2 v[136:137], off, s39
	v_mov_b32_e32 v135, s40
	ds_read_b64 v[138:139], v135
	v_add_u32_e32 v134, -1, v134
	s_add_i32 s40, s40, 8
	s_add_i32 s39, s39, 8
	v_cmp_eq_u32_e32 vcc, 0, v134
	s_or_b64 s[0:1], vcc, s[0:1]
	s_waitcnt vmcnt(0) lgkmcnt(0)
	v_fmac_f64_e32 v[132:133], v[136:137], v[138:139]
	s_andn2_b64 exec, exec, s[0:1]
	s_cbranch_execnz .LBB63_53
; %bb.54:
	s_or_b64 exec, exec, s[0:1]
.LBB63_55:
	s_or_b64 exec, exec, s[8:9]
	v_mov_b32_e32 v134, 0
	ds_read_b64 v[134:135], v134 offset:456
	s_waitcnt lgkmcnt(0)
	v_mul_f64 v[132:133], v[132:133], v[134:135]
	scratch_store_dwordx2 off, v[132:133], off offset:456
.LBB63_56:
	s_or_b64 exec, exec, s[4:5]
	scratch_load_dwordx2 v[132:133], off, off offset:448
	v_cmp_lt_u32_e64 s[0:1], 56, v0
	s_waitcnt vmcnt(0)
	ds_write_b64 v1, v[132:133]
	s_waitcnt lgkmcnt(0)
	; wave barrier
	s_and_saveexec_b64 s[4:5], s[0:1]
	s_cbranch_execz .LBB63_66
; %bb.57:
	s_andn2_b64 vcc, exec, s[6:7]
	s_cbranch_vccnz .LBB63_59
; %bb.58:
	scratch_load_dwordx2 v[132:133], v17, off
	ds_read_b64 v[134:135], v1
	s_waitcnt vmcnt(0) lgkmcnt(0)
	v_mul_f64 v[132:133], v[132:133], v[134:135]
	s_cbranch_execz .LBB63_60
	s_branch .LBB63_61
.LBB63_59:
                                        ; implicit-def: $vgpr132_vgpr133
.LBB63_60:
	ds_read_b64 v[132:133], v1
.LBB63_61:
	s_and_saveexec_b64 s[8:9], s[2:3]
	s_cbranch_execz .LBB63_65
; %bb.62:
	s_movk_i32 s39, 0x1c8
	v_subrev_u32_e32 v134, 57, v0
	s_movk_i32 s40, 0x3c8
	s_mov_b64 s[2:3], 0
.LBB63_63:                              ; =>This Inner Loop Header: Depth=1
	scratch_load_dwordx2 v[136:137], off, s39
	v_mov_b32_e32 v135, s40
	ds_read_b64 v[138:139], v135
	v_add_u32_e32 v134, -1, v134
	s_add_i32 s40, s40, 8
	s_add_i32 s39, s39, 8
	v_cmp_eq_u32_e32 vcc, 0, v134
	s_or_b64 s[2:3], vcc, s[2:3]
	s_waitcnt vmcnt(0) lgkmcnt(0)
	v_fmac_f64_e32 v[132:133], v[136:137], v[138:139]
	s_andn2_b64 exec, exec, s[2:3]
	s_cbranch_execnz .LBB63_63
; %bb.64:
	s_or_b64 exec, exec, s[2:3]
.LBB63_65:
	s_or_b64 exec, exec, s[8:9]
	v_mov_b32_e32 v134, 0
	ds_read_b64 v[134:135], v134 offset:448
	s_waitcnt lgkmcnt(0)
	v_mul_f64 v[132:133], v[132:133], v[134:135]
	scratch_store_dwordx2 off, v[132:133], off offset:448
.LBB63_66:
	s_or_b64 exec, exec, s[4:5]
	scratch_load_dwordx2 v[132:133], off, off offset:440
	v_cmp_lt_u32_e64 s[2:3], 55, v0
	s_waitcnt vmcnt(0)
	ds_write_b64 v1, v[132:133]
	s_waitcnt lgkmcnt(0)
	; wave barrier
	s_and_saveexec_b64 s[4:5], s[2:3]
	s_cbranch_execz .LBB63_76
; %bb.67:
	s_andn2_b64 vcc, exec, s[6:7]
	s_cbranch_vccnz .LBB63_69
; %bb.68:
	scratch_load_dwordx2 v[132:133], v17, off
	ds_read_b64 v[134:135], v1
	s_waitcnt vmcnt(0) lgkmcnt(0)
	v_mul_f64 v[132:133], v[132:133], v[134:135]
	s_cbranch_execz .LBB63_70
	s_branch .LBB63_71
.LBB63_69:
                                        ; implicit-def: $vgpr132_vgpr133
.LBB63_70:
	ds_read_b64 v[132:133], v1
.LBB63_71:
	s_and_saveexec_b64 s[8:9], s[0:1]
	s_cbranch_execz .LBB63_75
; %bb.72:
	v_subrev_u32_e32 v134, 56, v0
	s_movk_i32 s39, 0x3c0
	s_mov_b64 s[0:1], 0
.LBB63_73:                              ; =>This Inner Loop Header: Depth=1
	scratch_load_dwordx2 v[136:137], off, s38
	v_mov_b32_e32 v135, s39
	ds_read_b64 v[138:139], v135
	v_add_u32_e32 v134, -1, v134
	s_add_i32 s39, s39, 8
	s_add_i32 s38, s38, 8
	v_cmp_eq_u32_e32 vcc, 0, v134
	s_or_b64 s[0:1], vcc, s[0:1]
	s_waitcnt vmcnt(0) lgkmcnt(0)
	v_fmac_f64_e32 v[132:133], v[136:137], v[138:139]
	s_andn2_b64 exec, exec, s[0:1]
	s_cbranch_execnz .LBB63_73
; %bb.74:
	s_or_b64 exec, exec, s[0:1]
.LBB63_75:
	s_or_b64 exec, exec, s[8:9]
	v_mov_b32_e32 v134, 0
	ds_read_b64 v[134:135], v134 offset:440
	s_waitcnt lgkmcnt(0)
	v_mul_f64 v[132:133], v[132:133], v[134:135]
	scratch_store_dwordx2 off, v[132:133], off offset:440
.LBB63_76:
	s_or_b64 exec, exec, s[4:5]
	scratch_load_dwordx2 v[132:133], off, off offset:432
	v_cmp_lt_u32_e64 s[0:1], 54, v0
	s_waitcnt vmcnt(0)
	ds_write_b64 v1, v[132:133]
	s_waitcnt lgkmcnt(0)
	; wave barrier
	s_and_saveexec_b64 s[4:5], s[0:1]
	s_cbranch_execz .LBB63_86
; %bb.77:
	s_andn2_b64 vcc, exec, s[6:7]
	s_cbranch_vccnz .LBB63_79
; %bb.78:
	scratch_load_dwordx2 v[132:133], v17, off
	ds_read_b64 v[134:135], v1
	s_waitcnt vmcnt(0) lgkmcnt(0)
	v_mul_f64 v[132:133], v[132:133], v[134:135]
	s_cbranch_execz .LBB63_80
	s_branch .LBB63_81
.LBB63_79:
                                        ; implicit-def: $vgpr132_vgpr133
.LBB63_80:
	ds_read_b64 v[132:133], v1
.LBB63_81:
	s_and_saveexec_b64 s[8:9], s[2:3]
	s_cbranch_execz .LBB63_85
; %bb.82:
	s_movk_i32 s38, 0x1b8
	v_subrev_u32_e32 v134, 55, v0
	s_movk_i32 s39, 0x3b8
	s_mov_b64 s[2:3], 0
.LBB63_83:                              ; =>This Inner Loop Header: Depth=1
	scratch_load_dwordx2 v[136:137], off, s38
	v_mov_b32_e32 v135, s39
	ds_read_b64 v[138:139], v135
	v_add_u32_e32 v134, -1, v134
	s_add_i32 s39, s39, 8
	s_add_i32 s38, s38, 8
	v_cmp_eq_u32_e32 vcc, 0, v134
	s_or_b64 s[2:3], vcc, s[2:3]
	s_waitcnt vmcnt(0) lgkmcnt(0)
	v_fmac_f64_e32 v[132:133], v[136:137], v[138:139]
	s_andn2_b64 exec, exec, s[2:3]
	s_cbranch_execnz .LBB63_83
; %bb.84:
	s_or_b64 exec, exec, s[2:3]
.LBB63_85:
	s_or_b64 exec, exec, s[8:9]
	v_mov_b32_e32 v134, 0
	ds_read_b64 v[134:135], v134 offset:432
	s_waitcnt lgkmcnt(0)
	v_mul_f64 v[132:133], v[132:133], v[134:135]
	scratch_store_dwordx2 off, v[132:133], off offset:432
.LBB63_86:
	s_or_b64 exec, exec, s[4:5]
	scratch_load_dwordx2 v[132:133], off, off offset:424
	v_cmp_lt_u32_e64 s[2:3], 53, v0
	s_waitcnt vmcnt(0)
	ds_write_b64 v1, v[132:133]
	s_waitcnt lgkmcnt(0)
	; wave barrier
	s_and_saveexec_b64 s[4:5], s[2:3]
	s_cbranch_execz .LBB63_96
; %bb.87:
	s_andn2_b64 vcc, exec, s[6:7]
	s_cbranch_vccnz .LBB63_89
; %bb.88:
	scratch_load_dwordx2 v[132:133], v17, off
	ds_read_b64 v[134:135], v1
	s_waitcnt vmcnt(0) lgkmcnt(0)
	v_mul_f64 v[132:133], v[132:133], v[134:135]
	s_cbranch_execz .LBB63_90
	s_branch .LBB63_91
.LBB63_89:
                                        ; implicit-def: $vgpr132_vgpr133
.LBB63_90:
	ds_read_b64 v[132:133], v1
.LBB63_91:
	s_and_saveexec_b64 s[8:9], s[0:1]
	s_cbranch_execz .LBB63_95
; %bb.92:
	v_subrev_u32_e32 v134, 54, v0
	s_movk_i32 s38, 0x3b0
	s_mov_b64 s[0:1], 0
.LBB63_93:                              ; =>This Inner Loop Header: Depth=1
	scratch_load_dwordx2 v[136:137], off, s37
	v_mov_b32_e32 v135, s38
	ds_read_b64 v[138:139], v135
	v_add_u32_e32 v134, -1, v134
	s_add_i32 s38, s38, 8
	s_add_i32 s37, s37, 8
	v_cmp_eq_u32_e32 vcc, 0, v134
	s_or_b64 s[0:1], vcc, s[0:1]
	s_waitcnt vmcnt(0) lgkmcnt(0)
	v_fmac_f64_e32 v[132:133], v[136:137], v[138:139]
	s_andn2_b64 exec, exec, s[0:1]
	s_cbranch_execnz .LBB63_93
; %bb.94:
	s_or_b64 exec, exec, s[0:1]
.LBB63_95:
	s_or_b64 exec, exec, s[8:9]
	v_mov_b32_e32 v134, 0
	ds_read_b64 v[134:135], v134 offset:424
	s_waitcnt lgkmcnt(0)
	v_mul_f64 v[132:133], v[132:133], v[134:135]
	scratch_store_dwordx2 off, v[132:133], off offset:424
.LBB63_96:
	s_or_b64 exec, exec, s[4:5]
	scratch_load_dwordx2 v[132:133], off, off offset:416
	v_cmp_lt_u32_e64 s[0:1], 52, v0
	s_waitcnt vmcnt(0)
	ds_write_b64 v1, v[132:133]
	s_waitcnt lgkmcnt(0)
	; wave barrier
	s_and_saveexec_b64 s[4:5], s[0:1]
	s_cbranch_execz .LBB63_106
; %bb.97:
	s_andn2_b64 vcc, exec, s[6:7]
	s_cbranch_vccnz .LBB63_99
; %bb.98:
	scratch_load_dwordx2 v[132:133], v17, off
	ds_read_b64 v[134:135], v1
	s_waitcnt vmcnt(0) lgkmcnt(0)
	v_mul_f64 v[132:133], v[132:133], v[134:135]
	s_cbranch_execz .LBB63_100
	s_branch .LBB63_101
.LBB63_99:
                                        ; implicit-def: $vgpr132_vgpr133
.LBB63_100:
	ds_read_b64 v[132:133], v1
.LBB63_101:
	s_and_saveexec_b64 s[8:9], s[2:3]
	s_cbranch_execz .LBB63_105
; %bb.102:
	s_movk_i32 s37, 0x1a8
	v_subrev_u32_e32 v134, 53, v0
	s_movk_i32 s38, 0x3a8
	s_mov_b64 s[2:3], 0
.LBB63_103:                             ; =>This Inner Loop Header: Depth=1
	scratch_load_dwordx2 v[136:137], off, s37
	v_mov_b32_e32 v135, s38
	ds_read_b64 v[138:139], v135
	v_add_u32_e32 v134, -1, v134
	s_add_i32 s38, s38, 8
	s_add_i32 s37, s37, 8
	v_cmp_eq_u32_e32 vcc, 0, v134
	s_or_b64 s[2:3], vcc, s[2:3]
	s_waitcnt vmcnt(0) lgkmcnt(0)
	v_fmac_f64_e32 v[132:133], v[136:137], v[138:139]
	s_andn2_b64 exec, exec, s[2:3]
	s_cbranch_execnz .LBB63_103
; %bb.104:
	s_or_b64 exec, exec, s[2:3]
.LBB63_105:
	s_or_b64 exec, exec, s[8:9]
	v_mov_b32_e32 v134, 0
	ds_read_b64 v[134:135], v134 offset:416
	s_waitcnt lgkmcnt(0)
	v_mul_f64 v[132:133], v[132:133], v[134:135]
	scratch_store_dwordx2 off, v[132:133], off offset:416
.LBB63_106:
	s_or_b64 exec, exec, s[4:5]
	scratch_load_dwordx2 v[132:133], off, off offset:408
	v_cmp_lt_u32_e64 s[2:3], 51, v0
	s_waitcnt vmcnt(0)
	ds_write_b64 v1, v[132:133]
	s_waitcnt lgkmcnt(0)
	; wave barrier
	s_and_saveexec_b64 s[4:5], s[2:3]
	s_cbranch_execz .LBB63_116
; %bb.107:
	s_andn2_b64 vcc, exec, s[6:7]
	s_cbranch_vccnz .LBB63_109
; %bb.108:
	scratch_load_dwordx2 v[132:133], v17, off
	ds_read_b64 v[134:135], v1
	s_waitcnt vmcnt(0) lgkmcnt(0)
	v_mul_f64 v[132:133], v[132:133], v[134:135]
	s_cbranch_execz .LBB63_110
	s_branch .LBB63_111
.LBB63_109:
                                        ; implicit-def: $vgpr132_vgpr133
.LBB63_110:
	ds_read_b64 v[132:133], v1
.LBB63_111:
	s_and_saveexec_b64 s[8:9], s[0:1]
	s_cbranch_execz .LBB63_115
; %bb.112:
	v_subrev_u32_e32 v134, 52, v0
	s_movk_i32 s37, 0x3a0
	s_mov_b64 s[0:1], 0
.LBB63_113:                             ; =>This Inner Loop Header: Depth=1
	scratch_load_dwordx2 v[136:137], off, s36
	v_mov_b32_e32 v135, s37
	ds_read_b64 v[138:139], v135
	v_add_u32_e32 v134, -1, v134
	s_add_i32 s37, s37, 8
	s_add_i32 s36, s36, 8
	v_cmp_eq_u32_e32 vcc, 0, v134
	s_or_b64 s[0:1], vcc, s[0:1]
	s_waitcnt vmcnt(0) lgkmcnt(0)
	v_fmac_f64_e32 v[132:133], v[136:137], v[138:139]
	s_andn2_b64 exec, exec, s[0:1]
	s_cbranch_execnz .LBB63_113
; %bb.114:
	s_or_b64 exec, exec, s[0:1]
.LBB63_115:
	s_or_b64 exec, exec, s[8:9]
	v_mov_b32_e32 v134, 0
	ds_read_b64 v[134:135], v134 offset:408
	s_waitcnt lgkmcnt(0)
	v_mul_f64 v[132:133], v[132:133], v[134:135]
	scratch_store_dwordx2 off, v[132:133], off offset:408
.LBB63_116:
	s_or_b64 exec, exec, s[4:5]
	scratch_load_dwordx2 v[132:133], off, off offset:400
	v_cmp_lt_u32_e64 s[0:1], 50, v0
	s_waitcnt vmcnt(0)
	ds_write_b64 v1, v[132:133]
	s_waitcnt lgkmcnt(0)
	; wave barrier
	s_and_saveexec_b64 s[4:5], s[0:1]
	s_cbranch_execz .LBB63_126
; %bb.117:
	s_andn2_b64 vcc, exec, s[6:7]
	s_cbranch_vccnz .LBB63_119
; %bb.118:
	scratch_load_dwordx2 v[132:133], v17, off
	ds_read_b64 v[134:135], v1
	s_waitcnt vmcnt(0) lgkmcnt(0)
	v_mul_f64 v[132:133], v[132:133], v[134:135]
	s_cbranch_execz .LBB63_120
	s_branch .LBB63_121
.LBB63_119:
                                        ; implicit-def: $vgpr132_vgpr133
.LBB63_120:
	ds_read_b64 v[132:133], v1
.LBB63_121:
	s_and_saveexec_b64 s[8:9], s[2:3]
	s_cbranch_execz .LBB63_125
; %bb.122:
	s_movk_i32 s36, 0x198
	v_subrev_u32_e32 v134, 51, v0
	s_movk_i32 s37, 0x398
	s_mov_b64 s[2:3], 0
.LBB63_123:                             ; =>This Inner Loop Header: Depth=1
	scratch_load_dwordx2 v[136:137], off, s36
	v_mov_b32_e32 v135, s37
	ds_read_b64 v[138:139], v135
	v_add_u32_e32 v134, -1, v134
	s_add_i32 s37, s37, 8
	s_add_i32 s36, s36, 8
	v_cmp_eq_u32_e32 vcc, 0, v134
	s_or_b64 s[2:3], vcc, s[2:3]
	s_waitcnt vmcnt(0) lgkmcnt(0)
	v_fmac_f64_e32 v[132:133], v[136:137], v[138:139]
	s_andn2_b64 exec, exec, s[2:3]
	s_cbranch_execnz .LBB63_123
; %bb.124:
	s_or_b64 exec, exec, s[2:3]
.LBB63_125:
	s_or_b64 exec, exec, s[8:9]
	v_mov_b32_e32 v134, 0
	ds_read_b64 v[134:135], v134 offset:400
	s_waitcnt lgkmcnt(0)
	v_mul_f64 v[132:133], v[132:133], v[134:135]
	scratch_store_dwordx2 off, v[132:133], off offset:400
.LBB63_126:
	s_or_b64 exec, exec, s[4:5]
	scratch_load_dwordx2 v[132:133], off, off offset:392
	v_cmp_lt_u32_e64 s[2:3], 49, v0
	s_waitcnt vmcnt(0)
	ds_write_b64 v1, v[132:133]
	s_waitcnt lgkmcnt(0)
	; wave barrier
	s_and_saveexec_b64 s[4:5], s[2:3]
	s_cbranch_execz .LBB63_136
; %bb.127:
	s_andn2_b64 vcc, exec, s[6:7]
	s_cbranch_vccnz .LBB63_129
; %bb.128:
	scratch_load_dwordx2 v[132:133], v17, off
	ds_read_b64 v[134:135], v1
	s_waitcnt vmcnt(0) lgkmcnt(0)
	v_mul_f64 v[132:133], v[132:133], v[134:135]
	s_cbranch_execz .LBB63_130
	s_branch .LBB63_131
.LBB63_129:
                                        ; implicit-def: $vgpr132_vgpr133
.LBB63_130:
	ds_read_b64 v[132:133], v1
.LBB63_131:
	s_and_saveexec_b64 s[8:9], s[0:1]
	s_cbranch_execz .LBB63_135
; %bb.132:
	v_subrev_u32_e32 v134, 50, v0
	s_movk_i32 s36, 0x390
	s_mov_b64 s[0:1], 0
.LBB63_133:                             ; =>This Inner Loop Header: Depth=1
	scratch_load_dwordx2 v[136:137], off, s35
	v_mov_b32_e32 v135, s36
	ds_read_b64 v[138:139], v135
	v_add_u32_e32 v134, -1, v134
	s_add_i32 s36, s36, 8
	s_add_i32 s35, s35, 8
	v_cmp_eq_u32_e32 vcc, 0, v134
	s_or_b64 s[0:1], vcc, s[0:1]
	s_waitcnt vmcnt(0) lgkmcnt(0)
	v_fmac_f64_e32 v[132:133], v[136:137], v[138:139]
	s_andn2_b64 exec, exec, s[0:1]
	s_cbranch_execnz .LBB63_133
; %bb.134:
	s_or_b64 exec, exec, s[0:1]
.LBB63_135:
	s_or_b64 exec, exec, s[8:9]
	v_mov_b32_e32 v134, 0
	ds_read_b64 v[134:135], v134 offset:392
	s_waitcnt lgkmcnt(0)
	v_mul_f64 v[132:133], v[132:133], v[134:135]
	scratch_store_dwordx2 off, v[132:133], off offset:392
.LBB63_136:
	s_or_b64 exec, exec, s[4:5]
	scratch_load_dwordx2 v[132:133], off, off offset:384
	v_cmp_lt_u32_e64 s[0:1], 48, v0
	s_waitcnt vmcnt(0)
	ds_write_b64 v1, v[132:133]
	s_waitcnt lgkmcnt(0)
	; wave barrier
	s_and_saveexec_b64 s[4:5], s[0:1]
	s_cbranch_execz .LBB63_146
; %bb.137:
	s_andn2_b64 vcc, exec, s[6:7]
	s_cbranch_vccnz .LBB63_139
; %bb.138:
	scratch_load_dwordx2 v[132:133], v17, off
	ds_read_b64 v[134:135], v1
	s_waitcnt vmcnt(0) lgkmcnt(0)
	v_mul_f64 v[132:133], v[132:133], v[134:135]
	s_cbranch_execz .LBB63_140
	s_branch .LBB63_141
.LBB63_139:
                                        ; implicit-def: $vgpr132_vgpr133
.LBB63_140:
	ds_read_b64 v[132:133], v1
.LBB63_141:
	s_and_saveexec_b64 s[8:9], s[2:3]
	s_cbranch_execz .LBB63_145
; %bb.142:
	s_movk_i32 s35, 0x188
	v_subrev_u32_e32 v134, 49, v0
	s_movk_i32 s36, 0x388
	s_mov_b64 s[2:3], 0
.LBB63_143:                             ; =>This Inner Loop Header: Depth=1
	scratch_load_dwordx2 v[136:137], off, s35
	v_mov_b32_e32 v135, s36
	ds_read_b64 v[138:139], v135
	v_add_u32_e32 v134, -1, v134
	s_add_i32 s36, s36, 8
	s_add_i32 s35, s35, 8
	v_cmp_eq_u32_e32 vcc, 0, v134
	s_or_b64 s[2:3], vcc, s[2:3]
	s_waitcnt vmcnt(0) lgkmcnt(0)
	v_fmac_f64_e32 v[132:133], v[136:137], v[138:139]
	s_andn2_b64 exec, exec, s[2:3]
	s_cbranch_execnz .LBB63_143
; %bb.144:
	s_or_b64 exec, exec, s[2:3]
.LBB63_145:
	s_or_b64 exec, exec, s[8:9]
	v_mov_b32_e32 v134, 0
	ds_read_b64 v[134:135], v134 offset:384
	s_waitcnt lgkmcnt(0)
	v_mul_f64 v[132:133], v[132:133], v[134:135]
	scratch_store_dwordx2 off, v[132:133], off offset:384
.LBB63_146:
	s_or_b64 exec, exec, s[4:5]
	scratch_load_dwordx2 v[132:133], off, off offset:376
	v_cmp_lt_u32_e64 s[2:3], 47, v0
	s_waitcnt vmcnt(0)
	ds_write_b64 v1, v[132:133]
	s_waitcnt lgkmcnt(0)
	; wave barrier
	s_and_saveexec_b64 s[4:5], s[2:3]
	s_cbranch_execz .LBB63_156
; %bb.147:
	s_andn2_b64 vcc, exec, s[6:7]
	s_cbranch_vccnz .LBB63_149
; %bb.148:
	scratch_load_dwordx2 v[132:133], v17, off
	ds_read_b64 v[134:135], v1
	s_waitcnt vmcnt(0) lgkmcnt(0)
	v_mul_f64 v[132:133], v[132:133], v[134:135]
	s_cbranch_execz .LBB63_150
	s_branch .LBB63_151
.LBB63_149:
                                        ; implicit-def: $vgpr132_vgpr133
.LBB63_150:
	ds_read_b64 v[132:133], v1
.LBB63_151:
	s_and_saveexec_b64 s[8:9], s[0:1]
	s_cbranch_execz .LBB63_155
; %bb.152:
	v_subrev_u32_e32 v134, 48, v0
	s_movk_i32 s35, 0x380
	s_mov_b64 s[0:1], 0
.LBB63_153:                             ; =>This Inner Loop Header: Depth=1
	scratch_load_dwordx2 v[136:137], off, s34
	v_mov_b32_e32 v135, s35
	ds_read_b64 v[138:139], v135
	v_add_u32_e32 v134, -1, v134
	s_add_i32 s35, s35, 8
	s_add_i32 s34, s34, 8
	v_cmp_eq_u32_e32 vcc, 0, v134
	s_or_b64 s[0:1], vcc, s[0:1]
	s_waitcnt vmcnt(0) lgkmcnt(0)
	v_fmac_f64_e32 v[132:133], v[136:137], v[138:139]
	s_andn2_b64 exec, exec, s[0:1]
	s_cbranch_execnz .LBB63_153
; %bb.154:
	s_or_b64 exec, exec, s[0:1]
.LBB63_155:
	s_or_b64 exec, exec, s[8:9]
	v_mov_b32_e32 v134, 0
	ds_read_b64 v[134:135], v134 offset:376
	s_waitcnt lgkmcnt(0)
	v_mul_f64 v[132:133], v[132:133], v[134:135]
	scratch_store_dwordx2 off, v[132:133], off offset:376
.LBB63_156:
	s_or_b64 exec, exec, s[4:5]
	scratch_load_dwordx2 v[132:133], off, off offset:368
	v_cmp_lt_u32_e64 s[0:1], 46, v0
	s_waitcnt vmcnt(0)
	ds_write_b64 v1, v[132:133]
	s_waitcnt lgkmcnt(0)
	; wave barrier
	s_and_saveexec_b64 s[4:5], s[0:1]
	s_cbranch_execz .LBB63_166
; %bb.157:
	s_andn2_b64 vcc, exec, s[6:7]
	s_cbranch_vccnz .LBB63_159
; %bb.158:
	scratch_load_dwordx2 v[132:133], v17, off
	ds_read_b64 v[134:135], v1
	s_waitcnt vmcnt(0) lgkmcnt(0)
	v_mul_f64 v[132:133], v[132:133], v[134:135]
	s_cbranch_execz .LBB63_160
	s_branch .LBB63_161
.LBB63_159:
                                        ; implicit-def: $vgpr132_vgpr133
.LBB63_160:
	ds_read_b64 v[132:133], v1
.LBB63_161:
	s_and_saveexec_b64 s[8:9], s[2:3]
	s_cbranch_execz .LBB63_165
; %bb.162:
	s_movk_i32 s34, 0x178
	v_subrev_u32_e32 v134, 47, v0
	s_movk_i32 s35, 0x378
	s_mov_b64 s[2:3], 0
.LBB63_163:                             ; =>This Inner Loop Header: Depth=1
	scratch_load_dwordx2 v[136:137], off, s34
	v_mov_b32_e32 v135, s35
	ds_read_b64 v[138:139], v135
	v_add_u32_e32 v134, -1, v134
	s_add_i32 s35, s35, 8
	s_add_i32 s34, s34, 8
	v_cmp_eq_u32_e32 vcc, 0, v134
	s_or_b64 s[2:3], vcc, s[2:3]
	s_waitcnt vmcnt(0) lgkmcnt(0)
	v_fmac_f64_e32 v[132:133], v[136:137], v[138:139]
	s_andn2_b64 exec, exec, s[2:3]
	s_cbranch_execnz .LBB63_163
; %bb.164:
	s_or_b64 exec, exec, s[2:3]
.LBB63_165:
	s_or_b64 exec, exec, s[8:9]
	v_mov_b32_e32 v134, 0
	ds_read_b64 v[134:135], v134 offset:368
	s_waitcnt lgkmcnt(0)
	v_mul_f64 v[132:133], v[132:133], v[134:135]
	scratch_store_dwordx2 off, v[132:133], off offset:368
.LBB63_166:
	s_or_b64 exec, exec, s[4:5]
	scratch_load_dwordx2 v[132:133], off, off offset:360
	v_cmp_lt_u32_e64 s[2:3], 45, v0
	s_waitcnt vmcnt(0)
	ds_write_b64 v1, v[132:133]
	s_waitcnt lgkmcnt(0)
	; wave barrier
	s_and_saveexec_b64 s[4:5], s[2:3]
	s_cbranch_execz .LBB63_176
; %bb.167:
	s_andn2_b64 vcc, exec, s[6:7]
	s_cbranch_vccnz .LBB63_169
; %bb.168:
	scratch_load_dwordx2 v[132:133], v17, off
	ds_read_b64 v[134:135], v1
	s_waitcnt vmcnt(0) lgkmcnt(0)
	v_mul_f64 v[132:133], v[132:133], v[134:135]
	s_cbranch_execz .LBB63_170
	s_branch .LBB63_171
.LBB63_169:
                                        ; implicit-def: $vgpr132_vgpr133
.LBB63_170:
	ds_read_b64 v[132:133], v1
.LBB63_171:
	s_and_saveexec_b64 s[8:9], s[0:1]
	s_cbranch_execz .LBB63_175
; %bb.172:
	v_subrev_u32_e32 v134, 46, v0
	s_movk_i32 s34, 0x370
	s_mov_b64 s[0:1], 0
.LBB63_173:                             ; =>This Inner Loop Header: Depth=1
	scratch_load_dwordx2 v[136:137], off, s33
	v_mov_b32_e32 v135, s34
	ds_read_b64 v[138:139], v135
	v_add_u32_e32 v134, -1, v134
	s_add_i32 s34, s34, 8
	s_add_i32 s33, s33, 8
	v_cmp_eq_u32_e32 vcc, 0, v134
	s_or_b64 s[0:1], vcc, s[0:1]
	s_waitcnt vmcnt(0) lgkmcnt(0)
	v_fmac_f64_e32 v[132:133], v[136:137], v[138:139]
	s_andn2_b64 exec, exec, s[0:1]
	s_cbranch_execnz .LBB63_173
; %bb.174:
	s_or_b64 exec, exec, s[0:1]
.LBB63_175:
	s_or_b64 exec, exec, s[8:9]
	v_mov_b32_e32 v134, 0
	ds_read_b64 v[134:135], v134 offset:360
	s_waitcnt lgkmcnt(0)
	v_mul_f64 v[132:133], v[132:133], v[134:135]
	scratch_store_dwordx2 off, v[132:133], off offset:360
.LBB63_176:
	s_or_b64 exec, exec, s[4:5]
	scratch_load_dwordx2 v[132:133], off, off offset:352
	v_cmp_lt_u32_e64 s[0:1], 44, v0
	s_waitcnt vmcnt(0)
	ds_write_b64 v1, v[132:133]
	s_waitcnt lgkmcnt(0)
	; wave barrier
	s_and_saveexec_b64 s[4:5], s[0:1]
	s_cbranch_execz .LBB63_186
; %bb.177:
	s_andn2_b64 vcc, exec, s[6:7]
	s_cbranch_vccnz .LBB63_179
; %bb.178:
	scratch_load_dwordx2 v[132:133], v17, off
	ds_read_b64 v[134:135], v1
	s_waitcnt vmcnt(0) lgkmcnt(0)
	v_mul_f64 v[132:133], v[132:133], v[134:135]
	s_cbranch_execz .LBB63_180
	s_branch .LBB63_181
.LBB63_179:
                                        ; implicit-def: $vgpr132_vgpr133
.LBB63_180:
	ds_read_b64 v[132:133], v1
.LBB63_181:
	s_and_saveexec_b64 s[8:9], s[2:3]
	s_cbranch_execz .LBB63_185
; %bb.182:
	s_movk_i32 s33, 0x168
	v_subrev_u32_e32 v134, 45, v0
	s_movk_i32 s34, 0x368
	s_mov_b64 s[2:3], 0
.LBB63_183:                             ; =>This Inner Loop Header: Depth=1
	scratch_load_dwordx2 v[136:137], off, s33
	v_mov_b32_e32 v135, s34
	ds_read_b64 v[138:139], v135
	v_add_u32_e32 v134, -1, v134
	s_add_i32 s34, s34, 8
	s_add_i32 s33, s33, 8
	v_cmp_eq_u32_e32 vcc, 0, v134
	s_or_b64 s[2:3], vcc, s[2:3]
	s_waitcnt vmcnt(0) lgkmcnt(0)
	v_fmac_f64_e32 v[132:133], v[136:137], v[138:139]
	s_andn2_b64 exec, exec, s[2:3]
	s_cbranch_execnz .LBB63_183
; %bb.184:
	s_or_b64 exec, exec, s[2:3]
.LBB63_185:
	s_or_b64 exec, exec, s[8:9]
	v_mov_b32_e32 v134, 0
	ds_read_b64 v[134:135], v134 offset:352
	s_waitcnt lgkmcnt(0)
	v_mul_f64 v[132:133], v[132:133], v[134:135]
	scratch_store_dwordx2 off, v[132:133], off offset:352
.LBB63_186:
	s_or_b64 exec, exec, s[4:5]
	scratch_load_dwordx2 v[132:133], off, off offset:344
	v_cmp_lt_u32_e64 s[2:3], 43, v0
	s_waitcnt vmcnt(0)
	ds_write_b64 v1, v[132:133]
	s_waitcnt lgkmcnt(0)
	; wave barrier
	s_and_saveexec_b64 s[4:5], s[2:3]
	s_cbranch_execz .LBB63_196
; %bb.187:
	s_andn2_b64 vcc, exec, s[6:7]
	s_cbranch_vccnz .LBB63_189
; %bb.188:
	scratch_load_dwordx2 v[132:133], v17, off
	ds_read_b64 v[134:135], v1
	s_waitcnt vmcnt(0) lgkmcnt(0)
	v_mul_f64 v[132:133], v[132:133], v[134:135]
	s_cbranch_execz .LBB63_190
	s_branch .LBB63_191
.LBB63_189:
                                        ; implicit-def: $vgpr132_vgpr133
.LBB63_190:
	ds_read_b64 v[132:133], v1
.LBB63_191:
	s_and_saveexec_b64 s[8:9], s[0:1]
	s_cbranch_execz .LBB63_195
; %bb.192:
	v_subrev_u32_e32 v134, 44, v0
	s_movk_i32 s33, 0x360
	s_mov_b64 s[0:1], 0
.LBB63_193:                             ; =>This Inner Loop Header: Depth=1
	scratch_load_dwordx2 v[136:137], off, s31
	v_mov_b32_e32 v135, s33
	ds_read_b64 v[138:139], v135
	v_add_u32_e32 v134, -1, v134
	s_add_i32 s33, s33, 8
	s_add_i32 s31, s31, 8
	v_cmp_eq_u32_e32 vcc, 0, v134
	s_or_b64 s[0:1], vcc, s[0:1]
	s_waitcnt vmcnt(0) lgkmcnt(0)
	v_fmac_f64_e32 v[132:133], v[136:137], v[138:139]
	s_andn2_b64 exec, exec, s[0:1]
	s_cbranch_execnz .LBB63_193
; %bb.194:
	s_or_b64 exec, exec, s[0:1]
.LBB63_195:
	s_or_b64 exec, exec, s[8:9]
	v_mov_b32_e32 v134, 0
	ds_read_b64 v[134:135], v134 offset:344
	s_waitcnt lgkmcnt(0)
	v_mul_f64 v[132:133], v[132:133], v[134:135]
	scratch_store_dwordx2 off, v[132:133], off offset:344
.LBB63_196:
	s_or_b64 exec, exec, s[4:5]
	scratch_load_dwordx2 v[132:133], off, off offset:336
	v_cmp_lt_u32_e64 s[0:1], 42, v0
	s_waitcnt vmcnt(0)
	ds_write_b64 v1, v[132:133]
	s_waitcnt lgkmcnt(0)
	; wave barrier
	s_and_saveexec_b64 s[4:5], s[0:1]
	s_cbranch_execz .LBB63_206
; %bb.197:
	s_andn2_b64 vcc, exec, s[6:7]
	s_cbranch_vccnz .LBB63_199
; %bb.198:
	scratch_load_dwordx2 v[132:133], v17, off
	ds_read_b64 v[134:135], v1
	s_waitcnt vmcnt(0) lgkmcnt(0)
	v_mul_f64 v[132:133], v[132:133], v[134:135]
	s_cbranch_execz .LBB63_200
	s_branch .LBB63_201
.LBB63_199:
                                        ; implicit-def: $vgpr132_vgpr133
.LBB63_200:
	ds_read_b64 v[132:133], v1
.LBB63_201:
	s_and_saveexec_b64 s[8:9], s[2:3]
	s_cbranch_execz .LBB63_205
; %bb.202:
	s_movk_i32 s31, 0x158
	v_subrev_u32_e32 v134, 43, v0
	s_movk_i32 s33, 0x358
	s_mov_b64 s[2:3], 0
.LBB63_203:                             ; =>This Inner Loop Header: Depth=1
	scratch_load_dwordx2 v[136:137], off, s31
	v_mov_b32_e32 v135, s33
	ds_read_b64 v[138:139], v135
	v_add_u32_e32 v134, -1, v134
	s_add_i32 s33, s33, 8
	s_add_i32 s31, s31, 8
	v_cmp_eq_u32_e32 vcc, 0, v134
	s_or_b64 s[2:3], vcc, s[2:3]
	s_waitcnt vmcnt(0) lgkmcnt(0)
	v_fmac_f64_e32 v[132:133], v[136:137], v[138:139]
	s_andn2_b64 exec, exec, s[2:3]
	s_cbranch_execnz .LBB63_203
; %bb.204:
	s_or_b64 exec, exec, s[2:3]
.LBB63_205:
	s_or_b64 exec, exec, s[8:9]
	v_mov_b32_e32 v134, 0
	ds_read_b64 v[134:135], v134 offset:336
	s_waitcnt lgkmcnt(0)
	v_mul_f64 v[132:133], v[132:133], v[134:135]
	scratch_store_dwordx2 off, v[132:133], off offset:336
.LBB63_206:
	s_or_b64 exec, exec, s[4:5]
	scratch_load_dwordx2 v[132:133], off, off offset:328
	v_cmp_lt_u32_e64 s[2:3], 41, v0
	s_waitcnt vmcnt(0)
	ds_write_b64 v1, v[132:133]
	s_waitcnt lgkmcnt(0)
	; wave barrier
	s_and_saveexec_b64 s[4:5], s[2:3]
	s_cbranch_execz .LBB63_216
; %bb.207:
	s_andn2_b64 vcc, exec, s[6:7]
	s_cbranch_vccnz .LBB63_209
; %bb.208:
	scratch_load_dwordx2 v[132:133], v17, off
	ds_read_b64 v[134:135], v1
	s_waitcnt vmcnt(0) lgkmcnt(0)
	v_mul_f64 v[132:133], v[132:133], v[134:135]
	s_cbranch_execz .LBB63_210
	s_branch .LBB63_211
.LBB63_209:
                                        ; implicit-def: $vgpr132_vgpr133
.LBB63_210:
	ds_read_b64 v[132:133], v1
.LBB63_211:
	s_and_saveexec_b64 s[8:9], s[0:1]
	s_cbranch_execz .LBB63_215
; %bb.212:
	v_subrev_u32_e32 v134, 42, v0
	s_movk_i32 s31, 0x350
	s_mov_b64 s[0:1], 0
.LBB63_213:                             ; =>This Inner Loop Header: Depth=1
	scratch_load_dwordx2 v[136:137], off, s30
	v_mov_b32_e32 v135, s31
	ds_read_b64 v[138:139], v135
	v_add_u32_e32 v134, -1, v134
	s_add_i32 s31, s31, 8
	s_add_i32 s30, s30, 8
	v_cmp_eq_u32_e32 vcc, 0, v134
	s_or_b64 s[0:1], vcc, s[0:1]
	s_waitcnt vmcnt(0) lgkmcnt(0)
	v_fmac_f64_e32 v[132:133], v[136:137], v[138:139]
	s_andn2_b64 exec, exec, s[0:1]
	s_cbranch_execnz .LBB63_213
; %bb.214:
	s_or_b64 exec, exec, s[0:1]
.LBB63_215:
	s_or_b64 exec, exec, s[8:9]
	v_mov_b32_e32 v134, 0
	ds_read_b64 v[134:135], v134 offset:328
	s_waitcnt lgkmcnt(0)
	v_mul_f64 v[132:133], v[132:133], v[134:135]
	scratch_store_dwordx2 off, v[132:133], off offset:328
.LBB63_216:
	s_or_b64 exec, exec, s[4:5]
	scratch_load_dwordx2 v[132:133], off, off offset:320
	v_cmp_lt_u32_e64 s[0:1], 40, v0
	s_waitcnt vmcnt(0)
	ds_write_b64 v1, v[132:133]
	s_waitcnt lgkmcnt(0)
	; wave barrier
	s_and_saveexec_b64 s[4:5], s[0:1]
	s_cbranch_execz .LBB63_226
; %bb.217:
	s_andn2_b64 vcc, exec, s[6:7]
	s_cbranch_vccnz .LBB63_219
; %bb.218:
	scratch_load_dwordx2 v[132:133], v17, off
	ds_read_b64 v[134:135], v1
	s_waitcnt vmcnt(0) lgkmcnt(0)
	v_mul_f64 v[132:133], v[132:133], v[134:135]
	s_cbranch_execz .LBB63_220
	s_branch .LBB63_221
.LBB63_219:
                                        ; implicit-def: $vgpr132_vgpr133
.LBB63_220:
	ds_read_b64 v[132:133], v1
.LBB63_221:
	s_and_saveexec_b64 s[8:9], s[2:3]
	s_cbranch_execz .LBB63_225
; %bb.222:
	s_movk_i32 s30, 0x148
	v_subrev_u32_e32 v134, 41, v0
	s_movk_i32 s31, 0x348
	s_mov_b64 s[2:3], 0
.LBB63_223:                             ; =>This Inner Loop Header: Depth=1
	scratch_load_dwordx2 v[136:137], off, s30
	v_mov_b32_e32 v135, s31
	ds_read_b64 v[138:139], v135
	v_add_u32_e32 v134, -1, v134
	s_add_i32 s31, s31, 8
	s_add_i32 s30, s30, 8
	v_cmp_eq_u32_e32 vcc, 0, v134
	s_or_b64 s[2:3], vcc, s[2:3]
	s_waitcnt vmcnt(0) lgkmcnt(0)
	v_fmac_f64_e32 v[132:133], v[136:137], v[138:139]
	s_andn2_b64 exec, exec, s[2:3]
	s_cbranch_execnz .LBB63_223
; %bb.224:
	s_or_b64 exec, exec, s[2:3]
.LBB63_225:
	s_or_b64 exec, exec, s[8:9]
	v_mov_b32_e32 v134, 0
	ds_read_b64 v[134:135], v134 offset:320
	s_waitcnt lgkmcnt(0)
	v_mul_f64 v[132:133], v[132:133], v[134:135]
	scratch_store_dwordx2 off, v[132:133], off offset:320
.LBB63_226:
	s_or_b64 exec, exec, s[4:5]
	scratch_load_dwordx2 v[132:133], off, off offset:312
	v_cmp_lt_u32_e64 s[2:3], 39, v0
	s_waitcnt vmcnt(0)
	ds_write_b64 v1, v[132:133]
	s_waitcnt lgkmcnt(0)
	; wave barrier
	s_and_saveexec_b64 s[4:5], s[2:3]
	s_cbranch_execz .LBB63_236
; %bb.227:
	s_andn2_b64 vcc, exec, s[6:7]
	s_cbranch_vccnz .LBB63_229
; %bb.228:
	scratch_load_dwordx2 v[132:133], v17, off
	ds_read_b64 v[134:135], v1
	s_waitcnt vmcnt(0) lgkmcnt(0)
	v_mul_f64 v[132:133], v[132:133], v[134:135]
	s_cbranch_execz .LBB63_230
	s_branch .LBB63_231
.LBB63_229:
                                        ; implicit-def: $vgpr132_vgpr133
.LBB63_230:
	ds_read_b64 v[132:133], v1
.LBB63_231:
	s_and_saveexec_b64 s[8:9], s[0:1]
	s_cbranch_execz .LBB63_235
; %bb.232:
	v_subrev_u32_e32 v134, 40, v0
	s_movk_i32 s30, 0x340
	s_mov_b64 s[0:1], 0
.LBB63_233:                             ; =>This Inner Loop Header: Depth=1
	scratch_load_dwordx2 v[136:137], off, s29
	v_mov_b32_e32 v135, s30
	ds_read_b64 v[138:139], v135
	v_add_u32_e32 v134, -1, v134
	s_add_i32 s30, s30, 8
	s_add_i32 s29, s29, 8
	v_cmp_eq_u32_e32 vcc, 0, v134
	s_or_b64 s[0:1], vcc, s[0:1]
	s_waitcnt vmcnt(0) lgkmcnt(0)
	v_fmac_f64_e32 v[132:133], v[136:137], v[138:139]
	s_andn2_b64 exec, exec, s[0:1]
	s_cbranch_execnz .LBB63_233
; %bb.234:
	s_or_b64 exec, exec, s[0:1]
.LBB63_235:
	s_or_b64 exec, exec, s[8:9]
	v_mov_b32_e32 v134, 0
	ds_read_b64 v[134:135], v134 offset:312
	s_waitcnt lgkmcnt(0)
	v_mul_f64 v[132:133], v[132:133], v[134:135]
	scratch_store_dwordx2 off, v[132:133], off offset:312
.LBB63_236:
	s_or_b64 exec, exec, s[4:5]
	scratch_load_dwordx2 v[132:133], off, off offset:304
	v_cmp_lt_u32_e64 s[0:1], 38, v0
	s_waitcnt vmcnt(0)
	ds_write_b64 v1, v[132:133]
	s_waitcnt lgkmcnt(0)
	; wave barrier
	s_and_saveexec_b64 s[4:5], s[0:1]
	s_cbranch_execz .LBB63_246
; %bb.237:
	s_andn2_b64 vcc, exec, s[6:7]
	s_cbranch_vccnz .LBB63_239
; %bb.238:
	scratch_load_dwordx2 v[132:133], v17, off
	ds_read_b64 v[134:135], v1
	s_waitcnt vmcnt(0) lgkmcnt(0)
	v_mul_f64 v[132:133], v[132:133], v[134:135]
	s_cbranch_execz .LBB63_240
	s_branch .LBB63_241
.LBB63_239:
                                        ; implicit-def: $vgpr132_vgpr133
.LBB63_240:
	ds_read_b64 v[132:133], v1
.LBB63_241:
	s_and_saveexec_b64 s[8:9], s[2:3]
	s_cbranch_execz .LBB63_245
; %bb.242:
	s_movk_i32 s29, 0x138
	v_subrev_u32_e32 v134, 39, v0
	s_movk_i32 s30, 0x338
	s_mov_b64 s[2:3], 0
.LBB63_243:                             ; =>This Inner Loop Header: Depth=1
	scratch_load_dwordx2 v[136:137], off, s29
	v_mov_b32_e32 v135, s30
	ds_read_b64 v[138:139], v135
	v_add_u32_e32 v134, -1, v134
	s_add_i32 s30, s30, 8
	s_add_i32 s29, s29, 8
	v_cmp_eq_u32_e32 vcc, 0, v134
	s_or_b64 s[2:3], vcc, s[2:3]
	s_waitcnt vmcnt(0) lgkmcnt(0)
	v_fmac_f64_e32 v[132:133], v[136:137], v[138:139]
	s_andn2_b64 exec, exec, s[2:3]
	s_cbranch_execnz .LBB63_243
; %bb.244:
	s_or_b64 exec, exec, s[2:3]
.LBB63_245:
	s_or_b64 exec, exec, s[8:9]
	v_mov_b32_e32 v134, 0
	ds_read_b64 v[134:135], v134 offset:304
	s_waitcnt lgkmcnt(0)
	v_mul_f64 v[132:133], v[132:133], v[134:135]
	scratch_store_dwordx2 off, v[132:133], off offset:304
.LBB63_246:
	s_or_b64 exec, exec, s[4:5]
	scratch_load_dwordx2 v[132:133], off, off offset:296
	v_cmp_lt_u32_e64 s[2:3], 37, v0
	s_waitcnt vmcnt(0)
	ds_write_b64 v1, v[132:133]
	s_waitcnt lgkmcnt(0)
	; wave barrier
	s_and_saveexec_b64 s[4:5], s[2:3]
	s_cbranch_execz .LBB63_256
; %bb.247:
	s_andn2_b64 vcc, exec, s[6:7]
	s_cbranch_vccnz .LBB63_249
; %bb.248:
	scratch_load_dwordx2 v[132:133], v17, off
	ds_read_b64 v[134:135], v1
	s_waitcnt vmcnt(0) lgkmcnt(0)
	v_mul_f64 v[132:133], v[132:133], v[134:135]
	s_cbranch_execz .LBB63_250
	s_branch .LBB63_251
.LBB63_249:
                                        ; implicit-def: $vgpr132_vgpr133
.LBB63_250:
	ds_read_b64 v[132:133], v1
.LBB63_251:
	s_and_saveexec_b64 s[8:9], s[0:1]
	s_cbranch_execz .LBB63_255
; %bb.252:
	v_subrev_u32_e32 v134, 38, v0
	s_movk_i32 s29, 0x330
	s_mov_b64 s[0:1], 0
.LBB63_253:                             ; =>This Inner Loop Header: Depth=1
	scratch_load_dwordx2 v[136:137], off, s28
	v_mov_b32_e32 v135, s29
	ds_read_b64 v[138:139], v135
	v_add_u32_e32 v134, -1, v134
	s_add_i32 s29, s29, 8
	s_add_i32 s28, s28, 8
	v_cmp_eq_u32_e32 vcc, 0, v134
	s_or_b64 s[0:1], vcc, s[0:1]
	s_waitcnt vmcnt(0) lgkmcnt(0)
	v_fmac_f64_e32 v[132:133], v[136:137], v[138:139]
	s_andn2_b64 exec, exec, s[0:1]
	s_cbranch_execnz .LBB63_253
; %bb.254:
	s_or_b64 exec, exec, s[0:1]
.LBB63_255:
	s_or_b64 exec, exec, s[8:9]
	v_mov_b32_e32 v134, 0
	ds_read_b64 v[134:135], v134 offset:296
	s_waitcnt lgkmcnt(0)
	v_mul_f64 v[132:133], v[132:133], v[134:135]
	scratch_store_dwordx2 off, v[132:133], off offset:296
.LBB63_256:
	s_or_b64 exec, exec, s[4:5]
	scratch_load_dwordx2 v[132:133], off, off offset:288
	v_cmp_lt_u32_e64 s[0:1], 36, v0
	s_waitcnt vmcnt(0)
	ds_write_b64 v1, v[132:133]
	s_waitcnt lgkmcnt(0)
	; wave barrier
	s_and_saveexec_b64 s[4:5], s[0:1]
	s_cbranch_execz .LBB63_266
; %bb.257:
	s_andn2_b64 vcc, exec, s[6:7]
	s_cbranch_vccnz .LBB63_259
; %bb.258:
	scratch_load_dwordx2 v[132:133], v17, off
	ds_read_b64 v[134:135], v1
	s_waitcnt vmcnt(0) lgkmcnt(0)
	v_mul_f64 v[132:133], v[132:133], v[134:135]
	s_cbranch_execz .LBB63_260
	s_branch .LBB63_261
.LBB63_259:
                                        ; implicit-def: $vgpr132_vgpr133
.LBB63_260:
	ds_read_b64 v[132:133], v1
.LBB63_261:
	s_and_saveexec_b64 s[8:9], s[2:3]
	s_cbranch_execz .LBB63_265
; %bb.262:
	s_movk_i32 s28, 0x128
	v_subrev_u32_e32 v134, 37, v0
	s_movk_i32 s29, 0x328
	s_mov_b64 s[2:3], 0
.LBB63_263:                             ; =>This Inner Loop Header: Depth=1
	scratch_load_dwordx2 v[136:137], off, s28
	v_mov_b32_e32 v135, s29
	ds_read_b64 v[138:139], v135
	v_add_u32_e32 v134, -1, v134
	s_add_i32 s29, s29, 8
	s_add_i32 s28, s28, 8
	v_cmp_eq_u32_e32 vcc, 0, v134
	s_or_b64 s[2:3], vcc, s[2:3]
	s_waitcnt vmcnt(0) lgkmcnt(0)
	v_fmac_f64_e32 v[132:133], v[136:137], v[138:139]
	s_andn2_b64 exec, exec, s[2:3]
	s_cbranch_execnz .LBB63_263
; %bb.264:
	s_or_b64 exec, exec, s[2:3]
.LBB63_265:
	s_or_b64 exec, exec, s[8:9]
	v_mov_b32_e32 v134, 0
	ds_read_b64 v[134:135], v134 offset:288
	s_waitcnt lgkmcnt(0)
	v_mul_f64 v[132:133], v[132:133], v[134:135]
	scratch_store_dwordx2 off, v[132:133], off offset:288
.LBB63_266:
	s_or_b64 exec, exec, s[4:5]
	scratch_load_dwordx2 v[132:133], off, off offset:280
	v_cmp_lt_u32_e64 s[2:3], 35, v0
	s_waitcnt vmcnt(0)
	ds_write_b64 v1, v[132:133]
	s_waitcnt lgkmcnt(0)
	; wave barrier
	s_and_saveexec_b64 s[4:5], s[2:3]
	s_cbranch_execz .LBB63_276
; %bb.267:
	s_andn2_b64 vcc, exec, s[6:7]
	s_cbranch_vccnz .LBB63_269
; %bb.268:
	scratch_load_dwordx2 v[132:133], v17, off
	ds_read_b64 v[134:135], v1
	s_waitcnt vmcnt(0) lgkmcnt(0)
	v_mul_f64 v[132:133], v[132:133], v[134:135]
	s_cbranch_execz .LBB63_270
	s_branch .LBB63_271
.LBB63_269:
                                        ; implicit-def: $vgpr132_vgpr133
.LBB63_270:
	ds_read_b64 v[132:133], v1
.LBB63_271:
	s_and_saveexec_b64 s[8:9], s[0:1]
	s_cbranch_execz .LBB63_275
; %bb.272:
	v_subrev_u32_e32 v134, 36, v0
	s_movk_i32 s28, 0x320
	s_mov_b64 s[0:1], 0
.LBB63_273:                             ; =>This Inner Loop Header: Depth=1
	scratch_load_dwordx2 v[136:137], off, s27
	v_mov_b32_e32 v135, s28
	ds_read_b64 v[138:139], v135
	v_add_u32_e32 v134, -1, v134
	s_add_i32 s28, s28, 8
	s_add_i32 s27, s27, 8
	v_cmp_eq_u32_e32 vcc, 0, v134
	s_or_b64 s[0:1], vcc, s[0:1]
	s_waitcnt vmcnt(0) lgkmcnt(0)
	v_fmac_f64_e32 v[132:133], v[136:137], v[138:139]
	s_andn2_b64 exec, exec, s[0:1]
	s_cbranch_execnz .LBB63_273
; %bb.274:
	s_or_b64 exec, exec, s[0:1]
.LBB63_275:
	s_or_b64 exec, exec, s[8:9]
	v_mov_b32_e32 v134, 0
	ds_read_b64 v[134:135], v134 offset:280
	s_waitcnt lgkmcnt(0)
	v_mul_f64 v[132:133], v[132:133], v[134:135]
	scratch_store_dwordx2 off, v[132:133], off offset:280
.LBB63_276:
	s_or_b64 exec, exec, s[4:5]
	scratch_load_dwordx2 v[132:133], off, off offset:272
	v_cmp_lt_u32_e64 s[0:1], 34, v0
	s_waitcnt vmcnt(0)
	ds_write_b64 v1, v[132:133]
	s_waitcnt lgkmcnt(0)
	; wave barrier
	s_and_saveexec_b64 s[4:5], s[0:1]
	s_cbranch_execz .LBB63_286
; %bb.277:
	s_andn2_b64 vcc, exec, s[6:7]
	s_cbranch_vccnz .LBB63_279
; %bb.278:
	scratch_load_dwordx2 v[132:133], v17, off
	ds_read_b64 v[134:135], v1
	s_waitcnt vmcnt(0) lgkmcnt(0)
	v_mul_f64 v[132:133], v[132:133], v[134:135]
	s_cbranch_execz .LBB63_280
	s_branch .LBB63_281
.LBB63_279:
                                        ; implicit-def: $vgpr132_vgpr133
.LBB63_280:
	ds_read_b64 v[132:133], v1
.LBB63_281:
	s_and_saveexec_b64 s[8:9], s[2:3]
	s_cbranch_execz .LBB63_285
; %bb.282:
	s_movk_i32 s27, 0x118
	v_subrev_u32_e32 v134, 35, v0
	s_movk_i32 s28, 0x318
	s_mov_b64 s[2:3], 0
.LBB63_283:                             ; =>This Inner Loop Header: Depth=1
	scratch_load_dwordx2 v[136:137], off, s27
	v_mov_b32_e32 v135, s28
	ds_read_b64 v[138:139], v135
	v_add_u32_e32 v134, -1, v134
	s_add_i32 s28, s28, 8
	s_add_i32 s27, s27, 8
	v_cmp_eq_u32_e32 vcc, 0, v134
	s_or_b64 s[2:3], vcc, s[2:3]
	s_waitcnt vmcnt(0) lgkmcnt(0)
	v_fmac_f64_e32 v[132:133], v[136:137], v[138:139]
	s_andn2_b64 exec, exec, s[2:3]
	s_cbranch_execnz .LBB63_283
; %bb.284:
	s_or_b64 exec, exec, s[2:3]
.LBB63_285:
	s_or_b64 exec, exec, s[8:9]
	v_mov_b32_e32 v134, 0
	ds_read_b64 v[134:135], v134 offset:272
	s_waitcnt lgkmcnt(0)
	v_mul_f64 v[132:133], v[132:133], v[134:135]
	scratch_store_dwordx2 off, v[132:133], off offset:272
.LBB63_286:
	s_or_b64 exec, exec, s[4:5]
	scratch_load_dwordx2 v[132:133], off, off offset:264
	v_cmp_lt_u32_e64 s[2:3], 33, v0
	s_waitcnt vmcnt(0)
	ds_write_b64 v1, v[132:133]
	s_waitcnt lgkmcnt(0)
	; wave barrier
	s_and_saveexec_b64 s[4:5], s[2:3]
	s_cbranch_execz .LBB63_296
; %bb.287:
	s_andn2_b64 vcc, exec, s[6:7]
	s_cbranch_vccnz .LBB63_289
; %bb.288:
	scratch_load_dwordx2 v[132:133], v17, off
	ds_read_b64 v[134:135], v1
	s_waitcnt vmcnt(0) lgkmcnt(0)
	v_mul_f64 v[132:133], v[132:133], v[134:135]
	s_cbranch_execz .LBB63_290
	s_branch .LBB63_291
.LBB63_289:
                                        ; implicit-def: $vgpr132_vgpr133
.LBB63_290:
	ds_read_b64 v[132:133], v1
.LBB63_291:
	s_and_saveexec_b64 s[8:9], s[0:1]
	s_cbranch_execz .LBB63_295
; %bb.292:
	v_subrev_u32_e32 v134, 34, v0
	s_movk_i32 s27, 0x310
	s_mov_b64 s[0:1], 0
.LBB63_293:                             ; =>This Inner Loop Header: Depth=1
	scratch_load_dwordx2 v[136:137], off, s26
	v_mov_b32_e32 v135, s27
	ds_read_b64 v[138:139], v135
	v_add_u32_e32 v134, -1, v134
	s_add_i32 s27, s27, 8
	s_add_i32 s26, s26, 8
	v_cmp_eq_u32_e32 vcc, 0, v134
	s_or_b64 s[0:1], vcc, s[0:1]
	s_waitcnt vmcnt(0) lgkmcnt(0)
	v_fmac_f64_e32 v[132:133], v[136:137], v[138:139]
	s_andn2_b64 exec, exec, s[0:1]
	s_cbranch_execnz .LBB63_293
; %bb.294:
	s_or_b64 exec, exec, s[0:1]
.LBB63_295:
	s_or_b64 exec, exec, s[8:9]
	v_mov_b32_e32 v134, 0
	ds_read_b64 v[134:135], v134 offset:264
	s_waitcnt lgkmcnt(0)
	v_mul_f64 v[132:133], v[132:133], v[134:135]
	scratch_store_dwordx2 off, v[132:133], off offset:264
.LBB63_296:
	s_or_b64 exec, exec, s[4:5]
	scratch_load_dwordx2 v[132:133], off, off offset:256
	v_cmp_lt_u32_e64 s[0:1], 32, v0
	s_waitcnt vmcnt(0)
	ds_write_b64 v1, v[132:133]
	s_waitcnt lgkmcnt(0)
	; wave barrier
	s_and_saveexec_b64 s[4:5], s[0:1]
	s_cbranch_execz .LBB63_306
; %bb.297:
	s_andn2_b64 vcc, exec, s[6:7]
	s_cbranch_vccnz .LBB63_299
; %bb.298:
	scratch_load_dwordx2 v[132:133], v17, off
	ds_read_b64 v[134:135], v1
	s_waitcnt vmcnt(0) lgkmcnt(0)
	v_mul_f64 v[132:133], v[132:133], v[134:135]
	s_cbranch_execz .LBB63_300
	s_branch .LBB63_301
.LBB63_299:
                                        ; implicit-def: $vgpr132_vgpr133
.LBB63_300:
	ds_read_b64 v[132:133], v1
.LBB63_301:
	s_and_saveexec_b64 s[8:9], s[2:3]
	s_cbranch_execz .LBB63_305
; %bb.302:
	s_movk_i32 s26, 0x108
	v_subrev_u32_e32 v134, 33, v0
	s_movk_i32 s27, 0x308
	s_mov_b64 s[2:3], 0
.LBB63_303:                             ; =>This Inner Loop Header: Depth=1
	scratch_load_dwordx2 v[136:137], off, s26
	v_mov_b32_e32 v135, s27
	ds_read_b64 v[138:139], v135
	v_add_u32_e32 v134, -1, v134
	s_add_i32 s27, s27, 8
	s_add_i32 s26, s26, 8
	v_cmp_eq_u32_e32 vcc, 0, v134
	s_or_b64 s[2:3], vcc, s[2:3]
	s_waitcnt vmcnt(0) lgkmcnt(0)
	v_fmac_f64_e32 v[132:133], v[136:137], v[138:139]
	s_andn2_b64 exec, exec, s[2:3]
	s_cbranch_execnz .LBB63_303
; %bb.304:
	s_or_b64 exec, exec, s[2:3]
.LBB63_305:
	s_or_b64 exec, exec, s[8:9]
	v_mov_b32_e32 v134, 0
	ds_read_b64 v[134:135], v134 offset:256
	s_waitcnt lgkmcnt(0)
	v_mul_f64 v[132:133], v[132:133], v[134:135]
	scratch_store_dwordx2 off, v[132:133], off offset:256
.LBB63_306:
	s_or_b64 exec, exec, s[4:5]
	scratch_load_dwordx2 v[132:133], off, off offset:248
	v_cmp_lt_u32_e64 s[2:3], 31, v0
	s_waitcnt vmcnt(0)
	ds_write_b64 v1, v[132:133]
	s_waitcnt lgkmcnt(0)
	; wave barrier
	s_and_saveexec_b64 s[4:5], s[2:3]
	s_cbranch_execz .LBB63_316
; %bb.307:
	s_andn2_b64 vcc, exec, s[6:7]
	s_cbranch_vccnz .LBB63_309
; %bb.308:
	scratch_load_dwordx2 v[132:133], v17, off
	ds_read_b64 v[134:135], v1
	s_waitcnt vmcnt(0) lgkmcnt(0)
	v_mul_f64 v[132:133], v[132:133], v[134:135]
	s_cbranch_execz .LBB63_310
	s_branch .LBB63_311
.LBB63_309:
                                        ; implicit-def: $vgpr132_vgpr133
.LBB63_310:
	ds_read_b64 v[132:133], v1
.LBB63_311:
	s_and_saveexec_b64 s[8:9], s[0:1]
	s_cbranch_execz .LBB63_315
; %bb.312:
	v_subrev_u32_e32 v134, 32, v0
	s_movk_i32 s26, 0x300
	s_mov_b64 s[0:1], 0
.LBB63_313:                             ; =>This Inner Loop Header: Depth=1
	scratch_load_dwordx2 v[136:137], off, s25
	v_mov_b32_e32 v135, s26
	ds_read_b64 v[138:139], v135
	v_add_u32_e32 v134, -1, v134
	s_add_i32 s26, s26, 8
	s_add_i32 s25, s25, 8
	v_cmp_eq_u32_e32 vcc, 0, v134
	s_or_b64 s[0:1], vcc, s[0:1]
	s_waitcnt vmcnt(0) lgkmcnt(0)
	v_fmac_f64_e32 v[132:133], v[136:137], v[138:139]
	s_andn2_b64 exec, exec, s[0:1]
	s_cbranch_execnz .LBB63_313
; %bb.314:
	s_or_b64 exec, exec, s[0:1]
.LBB63_315:
	s_or_b64 exec, exec, s[8:9]
	v_mov_b32_e32 v134, 0
	ds_read_b64 v[134:135], v134 offset:248
	s_waitcnt lgkmcnt(0)
	v_mul_f64 v[132:133], v[132:133], v[134:135]
	scratch_store_dwordx2 off, v[132:133], off offset:248
.LBB63_316:
	s_or_b64 exec, exec, s[4:5]
	scratch_load_dwordx2 v[132:133], off, off offset:240
	v_cmp_lt_u32_e64 s[0:1], 30, v0
	s_waitcnt vmcnt(0)
	ds_write_b64 v1, v[132:133]
	s_waitcnt lgkmcnt(0)
	; wave barrier
	s_and_saveexec_b64 s[4:5], s[0:1]
	s_cbranch_execz .LBB63_326
; %bb.317:
	s_andn2_b64 vcc, exec, s[6:7]
	s_cbranch_vccnz .LBB63_319
; %bb.318:
	scratch_load_dwordx2 v[132:133], v17, off
	ds_read_b64 v[134:135], v1
	s_waitcnt vmcnt(0) lgkmcnt(0)
	v_mul_f64 v[132:133], v[132:133], v[134:135]
	s_cbranch_execz .LBB63_320
	s_branch .LBB63_321
.LBB63_319:
                                        ; implicit-def: $vgpr132_vgpr133
.LBB63_320:
	ds_read_b64 v[132:133], v1
.LBB63_321:
	s_and_saveexec_b64 s[8:9], s[2:3]
	s_cbranch_execz .LBB63_325
; %bb.322:
	s_movk_i32 s25, 0xf8
	v_subrev_u32_e32 v134, 31, v0
	s_movk_i32 s26, 0x2f8
	s_mov_b64 s[2:3], 0
.LBB63_323:                             ; =>This Inner Loop Header: Depth=1
	scratch_load_dwordx2 v[136:137], off, s25
	v_mov_b32_e32 v135, s26
	ds_read_b64 v[138:139], v135
	v_add_u32_e32 v134, -1, v134
	s_add_i32 s26, s26, 8
	s_add_i32 s25, s25, 8
	v_cmp_eq_u32_e32 vcc, 0, v134
	s_or_b64 s[2:3], vcc, s[2:3]
	s_waitcnt vmcnt(0) lgkmcnt(0)
	v_fmac_f64_e32 v[132:133], v[136:137], v[138:139]
	s_andn2_b64 exec, exec, s[2:3]
	s_cbranch_execnz .LBB63_323
; %bb.324:
	s_or_b64 exec, exec, s[2:3]
.LBB63_325:
	s_or_b64 exec, exec, s[8:9]
	v_mov_b32_e32 v134, 0
	ds_read_b64 v[134:135], v134 offset:240
	s_waitcnt lgkmcnt(0)
	v_mul_f64 v[132:133], v[132:133], v[134:135]
	scratch_store_dwordx2 off, v[132:133], off offset:240
.LBB63_326:
	s_or_b64 exec, exec, s[4:5]
	scratch_load_dwordx2 v[132:133], off, off offset:232
	v_cmp_lt_u32_e64 s[2:3], 29, v0
	s_waitcnt vmcnt(0)
	ds_write_b64 v1, v[132:133]
	s_waitcnt lgkmcnt(0)
	; wave barrier
	s_and_saveexec_b64 s[4:5], s[2:3]
	s_cbranch_execz .LBB63_336
; %bb.327:
	s_andn2_b64 vcc, exec, s[6:7]
	s_cbranch_vccnz .LBB63_329
; %bb.328:
	scratch_load_dwordx2 v[132:133], v17, off
	ds_read_b64 v[134:135], v1
	s_waitcnt vmcnt(0) lgkmcnt(0)
	v_mul_f64 v[132:133], v[132:133], v[134:135]
	s_cbranch_execz .LBB63_330
	s_branch .LBB63_331
.LBB63_329:
                                        ; implicit-def: $vgpr132_vgpr133
.LBB63_330:
	ds_read_b64 v[132:133], v1
.LBB63_331:
	s_and_saveexec_b64 s[8:9], s[0:1]
	s_cbranch_execz .LBB63_335
; %bb.332:
	v_subrev_u32_e32 v134, 30, v0
	s_movk_i32 s25, 0x2f0
	s_mov_b64 s[0:1], 0
.LBB63_333:                             ; =>This Inner Loop Header: Depth=1
	scratch_load_dwordx2 v[136:137], off, s24
	v_mov_b32_e32 v135, s25
	ds_read_b64 v[138:139], v135
	v_add_u32_e32 v134, -1, v134
	s_add_i32 s25, s25, 8
	s_add_i32 s24, s24, 8
	v_cmp_eq_u32_e32 vcc, 0, v134
	s_or_b64 s[0:1], vcc, s[0:1]
	s_waitcnt vmcnt(0) lgkmcnt(0)
	v_fmac_f64_e32 v[132:133], v[136:137], v[138:139]
	s_andn2_b64 exec, exec, s[0:1]
	s_cbranch_execnz .LBB63_333
; %bb.334:
	s_or_b64 exec, exec, s[0:1]
.LBB63_335:
	s_or_b64 exec, exec, s[8:9]
	v_mov_b32_e32 v134, 0
	ds_read_b64 v[134:135], v134 offset:232
	s_waitcnt lgkmcnt(0)
	v_mul_f64 v[132:133], v[132:133], v[134:135]
	scratch_store_dwordx2 off, v[132:133], off offset:232
.LBB63_336:
	s_or_b64 exec, exec, s[4:5]
	scratch_load_dwordx2 v[132:133], off, off offset:224
	v_cmp_lt_u32_e64 s[0:1], 28, v0
	s_waitcnt vmcnt(0)
	ds_write_b64 v1, v[132:133]
	s_waitcnt lgkmcnt(0)
	; wave barrier
	s_and_saveexec_b64 s[4:5], s[0:1]
	s_cbranch_execz .LBB63_346
; %bb.337:
	s_andn2_b64 vcc, exec, s[6:7]
	s_cbranch_vccnz .LBB63_339
; %bb.338:
	scratch_load_dwordx2 v[132:133], v17, off
	ds_read_b64 v[134:135], v1
	s_waitcnt vmcnt(0) lgkmcnt(0)
	v_mul_f64 v[132:133], v[132:133], v[134:135]
	s_cbranch_execz .LBB63_340
	s_branch .LBB63_341
.LBB63_339:
                                        ; implicit-def: $vgpr132_vgpr133
.LBB63_340:
	ds_read_b64 v[132:133], v1
.LBB63_341:
	s_and_saveexec_b64 s[8:9], s[2:3]
	s_cbranch_execz .LBB63_345
; %bb.342:
	s_movk_i32 s24, 0xe8
	v_subrev_u32_e32 v134, 29, v0
	s_movk_i32 s25, 0x2e8
	s_mov_b64 s[2:3], 0
.LBB63_343:                             ; =>This Inner Loop Header: Depth=1
	scratch_load_dwordx2 v[136:137], off, s24
	v_mov_b32_e32 v135, s25
	ds_read_b64 v[138:139], v135
	v_add_u32_e32 v134, -1, v134
	s_add_i32 s25, s25, 8
	s_add_i32 s24, s24, 8
	v_cmp_eq_u32_e32 vcc, 0, v134
	s_or_b64 s[2:3], vcc, s[2:3]
	s_waitcnt vmcnt(0) lgkmcnt(0)
	v_fmac_f64_e32 v[132:133], v[136:137], v[138:139]
	s_andn2_b64 exec, exec, s[2:3]
	s_cbranch_execnz .LBB63_343
; %bb.344:
	s_or_b64 exec, exec, s[2:3]
.LBB63_345:
	s_or_b64 exec, exec, s[8:9]
	v_mov_b32_e32 v134, 0
	ds_read_b64 v[134:135], v134 offset:224
	s_waitcnt lgkmcnt(0)
	v_mul_f64 v[132:133], v[132:133], v[134:135]
	scratch_store_dwordx2 off, v[132:133], off offset:224
.LBB63_346:
	s_or_b64 exec, exec, s[4:5]
	scratch_load_dwordx2 v[132:133], off, off offset:216
	v_cmp_lt_u32_e64 s[2:3], 27, v0
	s_waitcnt vmcnt(0)
	ds_write_b64 v1, v[132:133]
	s_waitcnt lgkmcnt(0)
	; wave barrier
	s_and_saveexec_b64 s[4:5], s[2:3]
	s_cbranch_execz .LBB63_356
; %bb.347:
	s_andn2_b64 vcc, exec, s[6:7]
	s_cbranch_vccnz .LBB63_349
; %bb.348:
	scratch_load_dwordx2 v[132:133], v17, off
	ds_read_b64 v[134:135], v1
	s_waitcnt vmcnt(0) lgkmcnt(0)
	v_mul_f64 v[132:133], v[132:133], v[134:135]
	s_cbranch_execz .LBB63_350
	s_branch .LBB63_351
.LBB63_349:
                                        ; implicit-def: $vgpr132_vgpr133
.LBB63_350:
	ds_read_b64 v[132:133], v1
.LBB63_351:
	s_and_saveexec_b64 s[8:9], s[0:1]
	s_cbranch_execz .LBB63_355
; %bb.352:
	v_subrev_u32_e32 v134, 28, v0
	s_movk_i32 s24, 0x2e0
	s_mov_b64 s[0:1], 0
.LBB63_353:                             ; =>This Inner Loop Header: Depth=1
	scratch_load_dwordx2 v[136:137], off, s23
	v_mov_b32_e32 v135, s24
	ds_read_b64 v[138:139], v135
	v_add_u32_e32 v134, -1, v134
	s_add_i32 s24, s24, 8
	s_add_i32 s23, s23, 8
	v_cmp_eq_u32_e32 vcc, 0, v134
	s_or_b64 s[0:1], vcc, s[0:1]
	s_waitcnt vmcnt(0) lgkmcnt(0)
	v_fmac_f64_e32 v[132:133], v[136:137], v[138:139]
	s_andn2_b64 exec, exec, s[0:1]
	s_cbranch_execnz .LBB63_353
; %bb.354:
	s_or_b64 exec, exec, s[0:1]
.LBB63_355:
	s_or_b64 exec, exec, s[8:9]
	v_mov_b32_e32 v134, 0
	ds_read_b64 v[134:135], v134 offset:216
	s_waitcnt lgkmcnt(0)
	v_mul_f64 v[132:133], v[132:133], v[134:135]
	scratch_store_dwordx2 off, v[132:133], off offset:216
.LBB63_356:
	s_or_b64 exec, exec, s[4:5]
	scratch_load_dwordx2 v[132:133], off, off offset:208
	v_cmp_lt_u32_e64 s[0:1], 26, v0
	s_waitcnt vmcnt(0)
	ds_write_b64 v1, v[132:133]
	s_waitcnt lgkmcnt(0)
	; wave barrier
	s_and_saveexec_b64 s[4:5], s[0:1]
	s_cbranch_execz .LBB63_366
; %bb.357:
	s_andn2_b64 vcc, exec, s[6:7]
	s_cbranch_vccnz .LBB63_359
; %bb.358:
	scratch_load_dwordx2 v[132:133], v17, off
	ds_read_b64 v[134:135], v1
	s_waitcnt vmcnt(0) lgkmcnt(0)
	v_mul_f64 v[132:133], v[132:133], v[134:135]
	s_cbranch_execz .LBB63_360
	s_branch .LBB63_361
.LBB63_359:
                                        ; implicit-def: $vgpr132_vgpr133
.LBB63_360:
	ds_read_b64 v[132:133], v1
.LBB63_361:
	s_and_saveexec_b64 s[8:9], s[2:3]
	s_cbranch_execz .LBB63_365
; %bb.362:
	s_movk_i32 s23, 0xd8
	v_subrev_u32_e32 v134, 27, v0
	s_movk_i32 s24, 0x2d8
	s_mov_b64 s[2:3], 0
.LBB63_363:                             ; =>This Inner Loop Header: Depth=1
	scratch_load_dwordx2 v[136:137], off, s23
	v_mov_b32_e32 v135, s24
	ds_read_b64 v[138:139], v135
	v_add_u32_e32 v134, -1, v134
	s_add_i32 s24, s24, 8
	s_add_i32 s23, s23, 8
	v_cmp_eq_u32_e32 vcc, 0, v134
	s_or_b64 s[2:3], vcc, s[2:3]
	s_waitcnt vmcnt(0) lgkmcnt(0)
	v_fmac_f64_e32 v[132:133], v[136:137], v[138:139]
	s_andn2_b64 exec, exec, s[2:3]
	s_cbranch_execnz .LBB63_363
; %bb.364:
	s_or_b64 exec, exec, s[2:3]
.LBB63_365:
	s_or_b64 exec, exec, s[8:9]
	v_mov_b32_e32 v134, 0
	ds_read_b64 v[134:135], v134 offset:208
	s_waitcnt lgkmcnt(0)
	v_mul_f64 v[132:133], v[132:133], v[134:135]
	scratch_store_dwordx2 off, v[132:133], off offset:208
.LBB63_366:
	s_or_b64 exec, exec, s[4:5]
	scratch_load_dwordx2 v[132:133], off, off offset:200
	v_cmp_lt_u32_e64 s[2:3], 25, v0
	s_waitcnt vmcnt(0)
	ds_write_b64 v1, v[132:133]
	s_waitcnt lgkmcnt(0)
	; wave barrier
	s_and_saveexec_b64 s[4:5], s[2:3]
	s_cbranch_execz .LBB63_376
; %bb.367:
	s_andn2_b64 vcc, exec, s[6:7]
	s_cbranch_vccnz .LBB63_369
; %bb.368:
	scratch_load_dwordx2 v[132:133], v17, off
	ds_read_b64 v[134:135], v1
	s_waitcnt vmcnt(0) lgkmcnt(0)
	v_mul_f64 v[132:133], v[132:133], v[134:135]
	s_cbranch_execz .LBB63_370
	s_branch .LBB63_371
.LBB63_369:
                                        ; implicit-def: $vgpr132_vgpr133
.LBB63_370:
	ds_read_b64 v[132:133], v1
.LBB63_371:
	s_and_saveexec_b64 s[8:9], s[0:1]
	s_cbranch_execz .LBB63_375
; %bb.372:
	v_subrev_u32_e32 v134, 26, v0
	s_movk_i32 s23, 0x2d0
	s_mov_b64 s[0:1], 0
.LBB63_373:                             ; =>This Inner Loop Header: Depth=1
	scratch_load_dwordx2 v[136:137], off, s22
	v_mov_b32_e32 v135, s23
	ds_read_b64 v[138:139], v135
	v_add_u32_e32 v134, -1, v134
	s_add_i32 s23, s23, 8
	s_add_i32 s22, s22, 8
	v_cmp_eq_u32_e32 vcc, 0, v134
	s_or_b64 s[0:1], vcc, s[0:1]
	s_waitcnt vmcnt(0) lgkmcnt(0)
	v_fmac_f64_e32 v[132:133], v[136:137], v[138:139]
	s_andn2_b64 exec, exec, s[0:1]
	s_cbranch_execnz .LBB63_373
; %bb.374:
	s_or_b64 exec, exec, s[0:1]
.LBB63_375:
	s_or_b64 exec, exec, s[8:9]
	v_mov_b32_e32 v134, 0
	ds_read_b64 v[134:135], v134 offset:200
	s_waitcnt lgkmcnt(0)
	v_mul_f64 v[132:133], v[132:133], v[134:135]
	scratch_store_dwordx2 off, v[132:133], off offset:200
.LBB63_376:
	s_or_b64 exec, exec, s[4:5]
	scratch_load_dwordx2 v[132:133], off, off offset:192
	v_cmp_lt_u32_e64 s[0:1], 24, v0
	s_waitcnt vmcnt(0)
	ds_write_b64 v1, v[132:133]
	s_waitcnt lgkmcnt(0)
	; wave barrier
	s_and_saveexec_b64 s[4:5], s[0:1]
	s_cbranch_execz .LBB63_386
; %bb.377:
	s_andn2_b64 vcc, exec, s[6:7]
	s_cbranch_vccnz .LBB63_379
; %bb.378:
	scratch_load_dwordx2 v[132:133], v17, off
	ds_read_b64 v[134:135], v1
	s_waitcnt vmcnt(0) lgkmcnt(0)
	v_mul_f64 v[132:133], v[132:133], v[134:135]
	s_cbranch_execz .LBB63_380
	s_branch .LBB63_381
.LBB63_379:
                                        ; implicit-def: $vgpr132_vgpr133
.LBB63_380:
	ds_read_b64 v[132:133], v1
.LBB63_381:
	s_and_saveexec_b64 s[8:9], s[2:3]
	s_cbranch_execz .LBB63_385
; %bb.382:
	s_movk_i32 s22, 0xc8
	v_subrev_u32_e32 v134, 25, v0
	s_movk_i32 s23, 0x2c8
	s_mov_b64 s[2:3], 0
.LBB63_383:                             ; =>This Inner Loop Header: Depth=1
	scratch_load_dwordx2 v[136:137], off, s22
	v_mov_b32_e32 v135, s23
	ds_read_b64 v[138:139], v135
	v_add_u32_e32 v134, -1, v134
	s_add_i32 s23, s23, 8
	s_add_i32 s22, s22, 8
	v_cmp_eq_u32_e32 vcc, 0, v134
	s_or_b64 s[2:3], vcc, s[2:3]
	s_waitcnt vmcnt(0) lgkmcnt(0)
	v_fmac_f64_e32 v[132:133], v[136:137], v[138:139]
	s_andn2_b64 exec, exec, s[2:3]
	s_cbranch_execnz .LBB63_383
; %bb.384:
	s_or_b64 exec, exec, s[2:3]
.LBB63_385:
	s_or_b64 exec, exec, s[8:9]
	v_mov_b32_e32 v134, 0
	ds_read_b64 v[134:135], v134 offset:192
	s_waitcnt lgkmcnt(0)
	v_mul_f64 v[132:133], v[132:133], v[134:135]
	scratch_store_dwordx2 off, v[132:133], off offset:192
.LBB63_386:
	s_or_b64 exec, exec, s[4:5]
	scratch_load_dwordx2 v[132:133], off, off offset:184
	v_cmp_lt_u32_e64 s[2:3], 23, v0
	s_waitcnt vmcnt(0)
	ds_write_b64 v1, v[132:133]
	s_waitcnt lgkmcnt(0)
	; wave barrier
	s_and_saveexec_b64 s[4:5], s[2:3]
	s_cbranch_execz .LBB63_396
; %bb.387:
	s_andn2_b64 vcc, exec, s[6:7]
	s_cbranch_vccnz .LBB63_389
; %bb.388:
	scratch_load_dwordx2 v[132:133], v17, off
	ds_read_b64 v[134:135], v1
	s_waitcnt vmcnt(0) lgkmcnt(0)
	v_mul_f64 v[132:133], v[132:133], v[134:135]
	s_cbranch_execz .LBB63_390
	s_branch .LBB63_391
.LBB63_389:
                                        ; implicit-def: $vgpr132_vgpr133
.LBB63_390:
	ds_read_b64 v[132:133], v1
.LBB63_391:
	s_and_saveexec_b64 s[8:9], s[0:1]
	s_cbranch_execz .LBB63_395
; %bb.392:
	v_subrev_u32_e32 v134, 24, v0
	s_movk_i32 s22, 0x2c0
	s_mov_b64 s[0:1], 0
.LBB63_393:                             ; =>This Inner Loop Header: Depth=1
	scratch_load_dwordx2 v[136:137], off, s21
	v_mov_b32_e32 v135, s22
	ds_read_b64 v[138:139], v135
	v_add_u32_e32 v134, -1, v134
	s_add_i32 s22, s22, 8
	s_add_i32 s21, s21, 8
	v_cmp_eq_u32_e32 vcc, 0, v134
	s_or_b64 s[0:1], vcc, s[0:1]
	s_waitcnt vmcnt(0) lgkmcnt(0)
	v_fmac_f64_e32 v[132:133], v[136:137], v[138:139]
	s_andn2_b64 exec, exec, s[0:1]
	s_cbranch_execnz .LBB63_393
; %bb.394:
	s_or_b64 exec, exec, s[0:1]
.LBB63_395:
	s_or_b64 exec, exec, s[8:9]
	v_mov_b32_e32 v134, 0
	ds_read_b64 v[134:135], v134 offset:184
	s_waitcnt lgkmcnt(0)
	v_mul_f64 v[132:133], v[132:133], v[134:135]
	scratch_store_dwordx2 off, v[132:133], off offset:184
.LBB63_396:
	s_or_b64 exec, exec, s[4:5]
	scratch_load_dwordx2 v[132:133], off, off offset:176
	v_cmp_lt_u32_e64 s[0:1], 22, v0
	s_waitcnt vmcnt(0)
	ds_write_b64 v1, v[132:133]
	s_waitcnt lgkmcnt(0)
	; wave barrier
	s_and_saveexec_b64 s[4:5], s[0:1]
	s_cbranch_execz .LBB63_406
; %bb.397:
	s_andn2_b64 vcc, exec, s[6:7]
	s_cbranch_vccnz .LBB63_399
; %bb.398:
	scratch_load_dwordx2 v[132:133], v17, off
	ds_read_b64 v[134:135], v1
	s_waitcnt vmcnt(0) lgkmcnt(0)
	v_mul_f64 v[132:133], v[132:133], v[134:135]
	s_cbranch_execz .LBB63_400
	s_branch .LBB63_401
.LBB63_399:
                                        ; implicit-def: $vgpr132_vgpr133
.LBB63_400:
	ds_read_b64 v[132:133], v1
.LBB63_401:
	s_and_saveexec_b64 s[8:9], s[2:3]
	s_cbranch_execz .LBB63_405
; %bb.402:
	s_movk_i32 s21, 0xb8
	v_subrev_u32_e32 v134, 23, v0
	s_movk_i32 s22, 0x2b8
	s_mov_b64 s[2:3], 0
.LBB63_403:                             ; =>This Inner Loop Header: Depth=1
	scratch_load_dwordx2 v[136:137], off, s21
	v_mov_b32_e32 v135, s22
	ds_read_b64 v[138:139], v135
	v_add_u32_e32 v134, -1, v134
	s_add_i32 s22, s22, 8
	s_add_i32 s21, s21, 8
	v_cmp_eq_u32_e32 vcc, 0, v134
	s_or_b64 s[2:3], vcc, s[2:3]
	s_waitcnt vmcnt(0) lgkmcnt(0)
	v_fmac_f64_e32 v[132:133], v[136:137], v[138:139]
	s_andn2_b64 exec, exec, s[2:3]
	s_cbranch_execnz .LBB63_403
; %bb.404:
	s_or_b64 exec, exec, s[2:3]
.LBB63_405:
	s_or_b64 exec, exec, s[8:9]
	v_mov_b32_e32 v134, 0
	ds_read_b64 v[134:135], v134 offset:176
	s_waitcnt lgkmcnt(0)
	v_mul_f64 v[132:133], v[132:133], v[134:135]
	scratch_store_dwordx2 off, v[132:133], off offset:176
.LBB63_406:
	s_or_b64 exec, exec, s[4:5]
	scratch_load_dwordx2 v[132:133], off, off offset:168
	v_cmp_lt_u32_e64 s[2:3], 21, v0
	s_waitcnt vmcnt(0)
	ds_write_b64 v1, v[132:133]
	s_waitcnt lgkmcnt(0)
	; wave barrier
	s_and_saveexec_b64 s[4:5], s[2:3]
	s_cbranch_execz .LBB63_416
; %bb.407:
	s_andn2_b64 vcc, exec, s[6:7]
	s_cbranch_vccnz .LBB63_409
; %bb.408:
	scratch_load_dwordx2 v[132:133], v17, off
	ds_read_b64 v[134:135], v1
	s_waitcnt vmcnt(0) lgkmcnt(0)
	v_mul_f64 v[132:133], v[132:133], v[134:135]
	s_cbranch_execz .LBB63_410
	s_branch .LBB63_411
.LBB63_409:
                                        ; implicit-def: $vgpr132_vgpr133
.LBB63_410:
	ds_read_b64 v[132:133], v1
.LBB63_411:
	s_and_saveexec_b64 s[8:9], s[0:1]
	s_cbranch_execz .LBB63_415
; %bb.412:
	v_subrev_u32_e32 v134, 22, v0
	s_movk_i32 s21, 0x2b0
	s_mov_b64 s[0:1], 0
.LBB63_413:                             ; =>This Inner Loop Header: Depth=1
	scratch_load_dwordx2 v[136:137], off, s20
	v_mov_b32_e32 v135, s21
	ds_read_b64 v[138:139], v135
	v_add_u32_e32 v134, -1, v134
	s_add_i32 s21, s21, 8
	s_add_i32 s20, s20, 8
	v_cmp_eq_u32_e32 vcc, 0, v134
	s_or_b64 s[0:1], vcc, s[0:1]
	s_waitcnt vmcnt(0) lgkmcnt(0)
	v_fmac_f64_e32 v[132:133], v[136:137], v[138:139]
	s_andn2_b64 exec, exec, s[0:1]
	s_cbranch_execnz .LBB63_413
; %bb.414:
	s_or_b64 exec, exec, s[0:1]
.LBB63_415:
	s_or_b64 exec, exec, s[8:9]
	v_mov_b32_e32 v134, 0
	ds_read_b64 v[134:135], v134 offset:168
	s_waitcnt lgkmcnt(0)
	v_mul_f64 v[132:133], v[132:133], v[134:135]
	scratch_store_dwordx2 off, v[132:133], off offset:168
.LBB63_416:
	s_or_b64 exec, exec, s[4:5]
	scratch_load_dwordx2 v[132:133], off, off offset:160
	v_cmp_lt_u32_e64 s[0:1], 20, v0
	s_waitcnt vmcnt(0)
	ds_write_b64 v1, v[132:133]
	s_waitcnt lgkmcnt(0)
	; wave barrier
	s_and_saveexec_b64 s[4:5], s[0:1]
	s_cbranch_execz .LBB63_426
; %bb.417:
	s_andn2_b64 vcc, exec, s[6:7]
	s_cbranch_vccnz .LBB63_419
; %bb.418:
	scratch_load_dwordx2 v[132:133], v17, off
	ds_read_b64 v[134:135], v1
	s_waitcnt vmcnt(0) lgkmcnt(0)
	v_mul_f64 v[132:133], v[132:133], v[134:135]
	s_cbranch_execz .LBB63_420
	s_branch .LBB63_421
.LBB63_419:
                                        ; implicit-def: $vgpr132_vgpr133
.LBB63_420:
	ds_read_b64 v[132:133], v1
.LBB63_421:
	s_and_saveexec_b64 s[8:9], s[2:3]
	s_cbranch_execz .LBB63_425
; %bb.422:
	s_movk_i32 s20, 0xa8
	v_subrev_u32_e32 v134, 21, v0
	s_movk_i32 s21, 0x2a8
	s_mov_b64 s[2:3], 0
.LBB63_423:                             ; =>This Inner Loop Header: Depth=1
	scratch_load_dwordx2 v[136:137], off, s20
	v_mov_b32_e32 v135, s21
	ds_read_b64 v[138:139], v135
	v_add_u32_e32 v134, -1, v134
	s_add_i32 s21, s21, 8
	s_add_i32 s20, s20, 8
	v_cmp_eq_u32_e32 vcc, 0, v134
	s_or_b64 s[2:3], vcc, s[2:3]
	s_waitcnt vmcnt(0) lgkmcnt(0)
	v_fmac_f64_e32 v[132:133], v[136:137], v[138:139]
	s_andn2_b64 exec, exec, s[2:3]
	s_cbranch_execnz .LBB63_423
; %bb.424:
	s_or_b64 exec, exec, s[2:3]
.LBB63_425:
	s_or_b64 exec, exec, s[8:9]
	v_mov_b32_e32 v134, 0
	ds_read_b64 v[134:135], v134 offset:160
	s_waitcnt lgkmcnt(0)
	v_mul_f64 v[132:133], v[132:133], v[134:135]
	scratch_store_dwordx2 off, v[132:133], off offset:160
.LBB63_426:
	s_or_b64 exec, exec, s[4:5]
	scratch_load_dwordx2 v[132:133], off, off offset:152
	v_cmp_lt_u32_e64 s[2:3], 19, v0
	s_waitcnt vmcnt(0)
	ds_write_b64 v1, v[132:133]
	s_waitcnt lgkmcnt(0)
	; wave barrier
	s_and_saveexec_b64 s[4:5], s[2:3]
	s_cbranch_execz .LBB63_436
; %bb.427:
	s_andn2_b64 vcc, exec, s[6:7]
	s_cbranch_vccnz .LBB63_429
; %bb.428:
	scratch_load_dwordx2 v[132:133], v17, off
	ds_read_b64 v[134:135], v1
	s_waitcnt vmcnt(0) lgkmcnt(0)
	v_mul_f64 v[132:133], v[132:133], v[134:135]
	s_cbranch_execz .LBB63_430
	s_branch .LBB63_431
.LBB63_429:
                                        ; implicit-def: $vgpr132_vgpr133
.LBB63_430:
	ds_read_b64 v[132:133], v1
.LBB63_431:
	s_and_saveexec_b64 s[8:9], s[0:1]
	s_cbranch_execz .LBB63_435
; %bb.432:
	v_subrev_u32_e32 v134, 20, v0
	s_movk_i32 s20, 0x2a0
	s_mov_b64 s[0:1], 0
.LBB63_433:                             ; =>This Inner Loop Header: Depth=1
	scratch_load_dwordx2 v[136:137], off, s19
	v_mov_b32_e32 v135, s20
	ds_read_b64 v[138:139], v135
	v_add_u32_e32 v134, -1, v134
	s_add_i32 s20, s20, 8
	s_add_i32 s19, s19, 8
	v_cmp_eq_u32_e32 vcc, 0, v134
	s_or_b64 s[0:1], vcc, s[0:1]
	s_waitcnt vmcnt(0) lgkmcnt(0)
	v_fmac_f64_e32 v[132:133], v[136:137], v[138:139]
	s_andn2_b64 exec, exec, s[0:1]
	s_cbranch_execnz .LBB63_433
; %bb.434:
	s_or_b64 exec, exec, s[0:1]
.LBB63_435:
	s_or_b64 exec, exec, s[8:9]
	v_mov_b32_e32 v134, 0
	ds_read_b64 v[134:135], v134 offset:152
	s_waitcnt lgkmcnt(0)
	v_mul_f64 v[132:133], v[132:133], v[134:135]
	scratch_store_dwordx2 off, v[132:133], off offset:152
.LBB63_436:
	s_or_b64 exec, exec, s[4:5]
	scratch_load_dwordx2 v[132:133], off, off offset:144
	v_cmp_lt_u32_e64 s[0:1], 18, v0
	s_waitcnt vmcnt(0)
	ds_write_b64 v1, v[132:133]
	s_waitcnt lgkmcnt(0)
	; wave barrier
	s_and_saveexec_b64 s[4:5], s[0:1]
	s_cbranch_execz .LBB63_446
; %bb.437:
	s_andn2_b64 vcc, exec, s[6:7]
	s_cbranch_vccnz .LBB63_439
; %bb.438:
	scratch_load_dwordx2 v[132:133], v17, off
	ds_read_b64 v[134:135], v1
	s_waitcnt vmcnt(0) lgkmcnt(0)
	v_mul_f64 v[132:133], v[132:133], v[134:135]
	s_cbranch_execz .LBB63_440
	s_branch .LBB63_441
.LBB63_439:
                                        ; implicit-def: $vgpr132_vgpr133
.LBB63_440:
	ds_read_b64 v[132:133], v1
.LBB63_441:
	s_and_saveexec_b64 s[8:9], s[2:3]
	s_cbranch_execz .LBB63_445
; %bb.442:
	s_movk_i32 s19, 0x98
	v_subrev_u32_e32 v134, 19, v0
	s_movk_i32 s20, 0x298
	s_mov_b64 s[2:3], 0
.LBB63_443:                             ; =>This Inner Loop Header: Depth=1
	scratch_load_dwordx2 v[136:137], off, s19
	v_mov_b32_e32 v135, s20
	ds_read_b64 v[138:139], v135
	v_add_u32_e32 v134, -1, v134
	s_add_i32 s20, s20, 8
	s_add_i32 s19, s19, 8
	v_cmp_eq_u32_e32 vcc, 0, v134
	s_or_b64 s[2:3], vcc, s[2:3]
	s_waitcnt vmcnt(0) lgkmcnt(0)
	v_fmac_f64_e32 v[132:133], v[136:137], v[138:139]
	s_andn2_b64 exec, exec, s[2:3]
	s_cbranch_execnz .LBB63_443
; %bb.444:
	s_or_b64 exec, exec, s[2:3]
.LBB63_445:
	s_or_b64 exec, exec, s[8:9]
	v_mov_b32_e32 v134, 0
	ds_read_b64 v[134:135], v134 offset:144
	s_waitcnt lgkmcnt(0)
	v_mul_f64 v[132:133], v[132:133], v[134:135]
	scratch_store_dwordx2 off, v[132:133], off offset:144
.LBB63_446:
	s_or_b64 exec, exec, s[4:5]
	scratch_load_dwordx2 v[132:133], off, off offset:136
	v_cmp_lt_u32_e64 s[2:3], 17, v0
	s_waitcnt vmcnt(0)
	ds_write_b64 v1, v[132:133]
	s_waitcnt lgkmcnt(0)
	; wave barrier
	s_and_saveexec_b64 s[4:5], s[2:3]
	s_cbranch_execz .LBB63_456
; %bb.447:
	s_andn2_b64 vcc, exec, s[6:7]
	s_cbranch_vccnz .LBB63_449
; %bb.448:
	scratch_load_dwordx2 v[132:133], v17, off
	ds_read_b64 v[134:135], v1
	s_waitcnt vmcnt(0) lgkmcnt(0)
	v_mul_f64 v[132:133], v[132:133], v[134:135]
	s_cbranch_execz .LBB63_450
	s_branch .LBB63_451
.LBB63_449:
                                        ; implicit-def: $vgpr132_vgpr133
.LBB63_450:
	ds_read_b64 v[132:133], v1
.LBB63_451:
	s_and_saveexec_b64 s[8:9], s[0:1]
	s_cbranch_execz .LBB63_455
; %bb.452:
	v_subrev_u32_e32 v134, 18, v0
	s_movk_i32 s19, 0x290
	s_mov_b64 s[0:1], 0
.LBB63_453:                             ; =>This Inner Loop Header: Depth=1
	scratch_load_dwordx2 v[136:137], off, s18
	v_mov_b32_e32 v135, s19
	ds_read_b64 v[138:139], v135
	v_add_u32_e32 v134, -1, v134
	s_add_i32 s19, s19, 8
	s_add_i32 s18, s18, 8
	v_cmp_eq_u32_e32 vcc, 0, v134
	s_or_b64 s[0:1], vcc, s[0:1]
	s_waitcnt vmcnt(0) lgkmcnt(0)
	v_fmac_f64_e32 v[132:133], v[136:137], v[138:139]
	s_andn2_b64 exec, exec, s[0:1]
	s_cbranch_execnz .LBB63_453
; %bb.454:
	s_or_b64 exec, exec, s[0:1]
.LBB63_455:
	s_or_b64 exec, exec, s[8:9]
	v_mov_b32_e32 v134, 0
	ds_read_b64 v[134:135], v134 offset:136
	s_waitcnt lgkmcnt(0)
	v_mul_f64 v[132:133], v[132:133], v[134:135]
	scratch_store_dwordx2 off, v[132:133], off offset:136
.LBB63_456:
	s_or_b64 exec, exec, s[4:5]
	scratch_load_dwordx2 v[132:133], off, off offset:128
	v_cmp_lt_u32_e64 s[0:1], 16, v0
	s_waitcnt vmcnt(0)
	ds_write_b64 v1, v[132:133]
	s_waitcnt lgkmcnt(0)
	; wave barrier
	s_and_saveexec_b64 s[4:5], s[0:1]
	s_cbranch_execz .LBB63_466
; %bb.457:
	s_andn2_b64 vcc, exec, s[6:7]
	s_cbranch_vccnz .LBB63_459
; %bb.458:
	scratch_load_dwordx2 v[132:133], v17, off
	ds_read_b64 v[134:135], v1
	s_waitcnt vmcnt(0) lgkmcnt(0)
	v_mul_f64 v[132:133], v[132:133], v[134:135]
	s_cbranch_execz .LBB63_460
	s_branch .LBB63_461
.LBB63_459:
                                        ; implicit-def: $vgpr132_vgpr133
.LBB63_460:
	ds_read_b64 v[132:133], v1
.LBB63_461:
	s_and_saveexec_b64 s[8:9], s[2:3]
	s_cbranch_execz .LBB63_465
; %bb.462:
	s_movk_i32 s18, 0x88
	v_subrev_u32_e32 v134, 17, v0
	s_movk_i32 s19, 0x288
	s_mov_b64 s[2:3], 0
.LBB63_463:                             ; =>This Inner Loop Header: Depth=1
	scratch_load_dwordx2 v[136:137], off, s18
	v_mov_b32_e32 v135, s19
	ds_read_b64 v[138:139], v135
	v_add_u32_e32 v134, -1, v134
	s_add_i32 s19, s19, 8
	s_add_i32 s18, s18, 8
	v_cmp_eq_u32_e32 vcc, 0, v134
	s_or_b64 s[2:3], vcc, s[2:3]
	s_waitcnt vmcnt(0) lgkmcnt(0)
	v_fmac_f64_e32 v[132:133], v[136:137], v[138:139]
	s_andn2_b64 exec, exec, s[2:3]
	s_cbranch_execnz .LBB63_463
; %bb.464:
	s_or_b64 exec, exec, s[2:3]
.LBB63_465:
	s_or_b64 exec, exec, s[8:9]
	v_mov_b32_e32 v134, 0
	ds_read_b64 v[134:135], v134 offset:128
	s_waitcnt lgkmcnt(0)
	v_mul_f64 v[132:133], v[132:133], v[134:135]
	scratch_store_dwordx2 off, v[132:133], off offset:128
.LBB63_466:
	s_or_b64 exec, exec, s[4:5]
	scratch_load_dwordx2 v[132:133], off, off offset:120
	v_cmp_lt_u32_e64 s[2:3], 15, v0
	s_waitcnt vmcnt(0)
	ds_write_b64 v1, v[132:133]
	s_waitcnt lgkmcnt(0)
	; wave barrier
	s_and_saveexec_b64 s[4:5], s[2:3]
	s_cbranch_execz .LBB63_476
; %bb.467:
	s_andn2_b64 vcc, exec, s[6:7]
	s_cbranch_vccnz .LBB63_469
; %bb.468:
	scratch_load_dwordx2 v[132:133], v17, off
	ds_read_b64 v[134:135], v1
	s_waitcnt vmcnt(0) lgkmcnt(0)
	v_mul_f64 v[132:133], v[132:133], v[134:135]
	s_cbranch_execz .LBB63_470
	s_branch .LBB63_471
.LBB63_469:
                                        ; implicit-def: $vgpr132_vgpr133
.LBB63_470:
	ds_read_b64 v[132:133], v1
.LBB63_471:
	s_and_saveexec_b64 s[8:9], s[0:1]
	s_cbranch_execz .LBB63_475
; %bb.472:
	v_add_u32_e32 v134, -16, v0
	s_movk_i32 s18, 0x280
	s_mov_b64 s[0:1], 0
.LBB63_473:                             ; =>This Inner Loop Header: Depth=1
	scratch_load_dwordx2 v[136:137], off, s17
	v_mov_b32_e32 v135, s18
	ds_read_b64 v[138:139], v135
	v_add_u32_e32 v134, -1, v134
	s_add_i32 s18, s18, 8
	s_add_i32 s17, s17, 8
	v_cmp_eq_u32_e32 vcc, 0, v134
	s_or_b64 s[0:1], vcc, s[0:1]
	s_waitcnt vmcnt(0) lgkmcnt(0)
	v_fmac_f64_e32 v[132:133], v[136:137], v[138:139]
	s_andn2_b64 exec, exec, s[0:1]
	s_cbranch_execnz .LBB63_473
; %bb.474:
	s_or_b64 exec, exec, s[0:1]
.LBB63_475:
	s_or_b64 exec, exec, s[8:9]
	v_mov_b32_e32 v134, 0
	ds_read_b64 v[134:135], v134 offset:120
	s_waitcnt lgkmcnt(0)
	v_mul_f64 v[132:133], v[132:133], v[134:135]
	scratch_store_dwordx2 off, v[132:133], off offset:120
.LBB63_476:
	s_or_b64 exec, exec, s[4:5]
	scratch_load_dwordx2 v[132:133], off, off offset:112
	v_cmp_lt_u32_e64 s[0:1], 14, v0
	s_waitcnt vmcnt(0)
	ds_write_b64 v1, v[132:133]
	s_waitcnt lgkmcnt(0)
	; wave barrier
	s_and_saveexec_b64 s[4:5], s[0:1]
	s_cbranch_execz .LBB63_486
; %bb.477:
	s_andn2_b64 vcc, exec, s[6:7]
	s_cbranch_vccnz .LBB63_479
; %bb.478:
	scratch_load_dwordx2 v[132:133], v17, off
	ds_read_b64 v[134:135], v1
	s_waitcnt vmcnt(0) lgkmcnt(0)
	v_mul_f64 v[132:133], v[132:133], v[134:135]
	s_cbranch_execz .LBB63_480
	s_branch .LBB63_481
.LBB63_479:
                                        ; implicit-def: $vgpr132_vgpr133
.LBB63_480:
	ds_read_b64 v[132:133], v1
.LBB63_481:
	s_and_saveexec_b64 s[8:9], s[2:3]
	s_cbranch_execz .LBB63_485
; %bb.482:
	s_movk_i32 s17, 0x78
	v_add_u32_e32 v134, -15, v0
	s_movk_i32 s18, 0x278
	s_mov_b64 s[2:3], 0
.LBB63_483:                             ; =>This Inner Loop Header: Depth=1
	scratch_load_dwordx2 v[136:137], off, s17
	v_mov_b32_e32 v135, s18
	ds_read_b64 v[138:139], v135
	v_add_u32_e32 v134, -1, v134
	s_add_i32 s18, s18, 8
	s_add_i32 s17, s17, 8
	v_cmp_eq_u32_e32 vcc, 0, v134
	s_or_b64 s[2:3], vcc, s[2:3]
	s_waitcnt vmcnt(0) lgkmcnt(0)
	v_fmac_f64_e32 v[132:133], v[136:137], v[138:139]
	s_andn2_b64 exec, exec, s[2:3]
	s_cbranch_execnz .LBB63_483
; %bb.484:
	s_or_b64 exec, exec, s[2:3]
.LBB63_485:
	s_or_b64 exec, exec, s[8:9]
	v_mov_b32_e32 v134, 0
	ds_read_b64 v[134:135], v134 offset:112
	s_waitcnt lgkmcnt(0)
	v_mul_f64 v[132:133], v[132:133], v[134:135]
	scratch_store_dwordx2 off, v[132:133], off offset:112
.LBB63_486:
	s_or_b64 exec, exec, s[4:5]
	scratch_load_dwordx2 v[132:133], off, off offset:104
	v_cmp_lt_u32_e64 s[2:3], 13, v0
	s_waitcnt vmcnt(0)
	ds_write_b64 v1, v[132:133]
	s_waitcnt lgkmcnt(0)
	; wave barrier
	s_and_saveexec_b64 s[4:5], s[2:3]
	s_cbranch_execz .LBB63_496
; %bb.487:
	s_andn2_b64 vcc, exec, s[6:7]
	s_cbranch_vccnz .LBB63_489
; %bb.488:
	scratch_load_dwordx2 v[132:133], v17, off
	ds_read_b64 v[134:135], v1
	s_waitcnt vmcnt(0) lgkmcnt(0)
	v_mul_f64 v[132:133], v[132:133], v[134:135]
	s_cbranch_execz .LBB63_490
	s_branch .LBB63_491
.LBB63_489:
                                        ; implicit-def: $vgpr132_vgpr133
.LBB63_490:
	ds_read_b64 v[132:133], v1
.LBB63_491:
	s_and_saveexec_b64 s[8:9], s[0:1]
	s_cbranch_execz .LBB63_495
; %bb.492:
	v_add_u32_e32 v134, -14, v0
	s_movk_i32 s17, 0x270
	s_mov_b64 s[0:1], 0
.LBB63_493:                             ; =>This Inner Loop Header: Depth=1
	scratch_load_dwordx2 v[136:137], off, s16
	v_mov_b32_e32 v135, s17
	ds_read_b64 v[138:139], v135
	v_add_u32_e32 v134, -1, v134
	s_add_i32 s17, s17, 8
	s_add_i32 s16, s16, 8
	v_cmp_eq_u32_e32 vcc, 0, v134
	s_or_b64 s[0:1], vcc, s[0:1]
	s_waitcnt vmcnt(0) lgkmcnt(0)
	v_fmac_f64_e32 v[132:133], v[136:137], v[138:139]
	s_andn2_b64 exec, exec, s[0:1]
	s_cbranch_execnz .LBB63_493
; %bb.494:
	s_or_b64 exec, exec, s[0:1]
.LBB63_495:
	s_or_b64 exec, exec, s[8:9]
	v_mov_b32_e32 v134, 0
	ds_read_b64 v[134:135], v134 offset:104
	s_waitcnt lgkmcnt(0)
	v_mul_f64 v[132:133], v[132:133], v[134:135]
	scratch_store_dwordx2 off, v[132:133], off offset:104
.LBB63_496:
	s_or_b64 exec, exec, s[4:5]
	scratch_load_dwordx2 v[132:133], off, off offset:96
	v_cmp_lt_u32_e64 s[0:1], 12, v0
	s_waitcnt vmcnt(0)
	ds_write_b64 v1, v[132:133]
	s_waitcnt lgkmcnt(0)
	; wave barrier
	s_and_saveexec_b64 s[4:5], s[0:1]
	s_cbranch_execz .LBB63_506
; %bb.497:
	s_andn2_b64 vcc, exec, s[6:7]
	s_cbranch_vccnz .LBB63_499
; %bb.498:
	scratch_load_dwordx2 v[132:133], v17, off
	ds_read_b64 v[134:135], v1
	s_waitcnt vmcnt(0) lgkmcnt(0)
	v_mul_f64 v[132:133], v[132:133], v[134:135]
	s_cbranch_execz .LBB63_500
	s_branch .LBB63_501
.LBB63_499:
                                        ; implicit-def: $vgpr132_vgpr133
.LBB63_500:
	ds_read_b64 v[132:133], v1
.LBB63_501:
	s_and_saveexec_b64 s[8:9], s[2:3]
	s_cbranch_execz .LBB63_505
; %bb.502:
	s_movk_i32 s16, 0x68
	v_add_u32_e32 v134, -13, v0
	s_movk_i32 s17, 0x268
	s_mov_b64 s[2:3], 0
.LBB63_503:                             ; =>This Inner Loop Header: Depth=1
	scratch_load_dwordx2 v[136:137], off, s16
	v_mov_b32_e32 v135, s17
	ds_read_b64 v[138:139], v135
	v_add_u32_e32 v134, -1, v134
	s_add_i32 s17, s17, 8
	s_add_i32 s16, s16, 8
	v_cmp_eq_u32_e32 vcc, 0, v134
	s_or_b64 s[2:3], vcc, s[2:3]
	s_waitcnt vmcnt(0) lgkmcnt(0)
	v_fmac_f64_e32 v[132:133], v[136:137], v[138:139]
	s_andn2_b64 exec, exec, s[2:3]
	s_cbranch_execnz .LBB63_503
; %bb.504:
	s_or_b64 exec, exec, s[2:3]
.LBB63_505:
	s_or_b64 exec, exec, s[8:9]
	v_mov_b32_e32 v134, 0
	ds_read_b64 v[134:135], v134 offset:96
	s_waitcnt lgkmcnt(0)
	v_mul_f64 v[132:133], v[132:133], v[134:135]
	scratch_store_dwordx2 off, v[132:133], off offset:96
.LBB63_506:
	s_or_b64 exec, exec, s[4:5]
	scratch_load_dwordx2 v[132:133], off, off offset:88
	v_cmp_lt_u32_e64 s[2:3], 11, v0
	s_waitcnt vmcnt(0)
	ds_write_b64 v1, v[132:133]
	s_waitcnt lgkmcnt(0)
	; wave barrier
	s_and_saveexec_b64 s[4:5], s[2:3]
	s_cbranch_execz .LBB63_516
; %bb.507:
	s_andn2_b64 vcc, exec, s[6:7]
	s_cbranch_vccnz .LBB63_509
; %bb.508:
	scratch_load_dwordx2 v[132:133], v17, off
	ds_read_b64 v[134:135], v1
	s_waitcnt vmcnt(0) lgkmcnt(0)
	v_mul_f64 v[132:133], v[132:133], v[134:135]
	s_cbranch_execz .LBB63_510
	s_branch .LBB63_511
.LBB63_509:
                                        ; implicit-def: $vgpr132_vgpr133
.LBB63_510:
	ds_read_b64 v[132:133], v1
.LBB63_511:
	s_and_saveexec_b64 s[8:9], s[0:1]
	s_cbranch_execz .LBB63_515
; %bb.512:
	v_add_u32_e32 v134, -12, v0
	s_movk_i32 s16, 0x260
	s_mov_b64 s[0:1], 0
.LBB63_513:                             ; =>This Inner Loop Header: Depth=1
	scratch_load_dwordx2 v[136:137], off, s15
	v_mov_b32_e32 v135, s16
	ds_read_b64 v[138:139], v135
	v_add_u32_e32 v134, -1, v134
	s_add_i32 s16, s16, 8
	s_add_i32 s15, s15, 8
	v_cmp_eq_u32_e32 vcc, 0, v134
	s_or_b64 s[0:1], vcc, s[0:1]
	s_waitcnt vmcnt(0) lgkmcnt(0)
	v_fmac_f64_e32 v[132:133], v[136:137], v[138:139]
	s_andn2_b64 exec, exec, s[0:1]
	s_cbranch_execnz .LBB63_513
; %bb.514:
	s_or_b64 exec, exec, s[0:1]
.LBB63_515:
	s_or_b64 exec, exec, s[8:9]
	v_mov_b32_e32 v134, 0
	ds_read_b64 v[134:135], v134 offset:88
	s_waitcnt lgkmcnt(0)
	v_mul_f64 v[132:133], v[132:133], v[134:135]
	scratch_store_dwordx2 off, v[132:133], off offset:88
.LBB63_516:
	s_or_b64 exec, exec, s[4:5]
	scratch_load_dwordx2 v[132:133], off, off offset:80
	v_cmp_lt_u32_e64 s[0:1], 10, v0
	s_waitcnt vmcnt(0)
	ds_write_b64 v1, v[132:133]
	s_waitcnt lgkmcnt(0)
	; wave barrier
	s_and_saveexec_b64 s[4:5], s[0:1]
	s_cbranch_execz .LBB63_526
; %bb.517:
	s_andn2_b64 vcc, exec, s[6:7]
	s_cbranch_vccnz .LBB63_519
; %bb.518:
	scratch_load_dwordx2 v[132:133], v17, off
	ds_read_b64 v[134:135], v1
	s_waitcnt vmcnt(0) lgkmcnt(0)
	v_mul_f64 v[132:133], v[132:133], v[134:135]
	s_cbranch_execz .LBB63_520
	s_branch .LBB63_521
.LBB63_519:
                                        ; implicit-def: $vgpr132_vgpr133
.LBB63_520:
	ds_read_b64 v[132:133], v1
.LBB63_521:
	s_and_saveexec_b64 s[8:9], s[2:3]
	s_cbranch_execz .LBB63_525
; %bb.522:
	s_movk_i32 s15, 0x58
	v_add_u32_e32 v134, -11, v0
	s_movk_i32 s16, 0x258
	s_mov_b64 s[2:3], 0
.LBB63_523:                             ; =>This Inner Loop Header: Depth=1
	scratch_load_dwordx2 v[136:137], off, s15
	v_mov_b32_e32 v135, s16
	ds_read_b64 v[138:139], v135
	v_add_u32_e32 v134, -1, v134
	s_add_i32 s16, s16, 8
	s_add_i32 s15, s15, 8
	v_cmp_eq_u32_e32 vcc, 0, v134
	s_or_b64 s[2:3], vcc, s[2:3]
	s_waitcnt vmcnt(0) lgkmcnt(0)
	v_fmac_f64_e32 v[132:133], v[136:137], v[138:139]
	s_andn2_b64 exec, exec, s[2:3]
	s_cbranch_execnz .LBB63_523
; %bb.524:
	s_or_b64 exec, exec, s[2:3]
.LBB63_525:
	s_or_b64 exec, exec, s[8:9]
	v_mov_b32_e32 v134, 0
	ds_read_b64 v[134:135], v134 offset:80
	s_waitcnt lgkmcnt(0)
	v_mul_f64 v[132:133], v[132:133], v[134:135]
	scratch_store_dwordx2 off, v[132:133], off offset:80
.LBB63_526:
	s_or_b64 exec, exec, s[4:5]
	scratch_load_dwordx2 v[132:133], off, off offset:72
	v_cmp_lt_u32_e64 s[2:3], 9, v0
	s_waitcnt vmcnt(0)
	ds_write_b64 v1, v[132:133]
	s_waitcnt lgkmcnt(0)
	; wave barrier
	s_and_saveexec_b64 s[4:5], s[2:3]
	s_cbranch_execz .LBB63_536
; %bb.527:
	s_andn2_b64 vcc, exec, s[6:7]
	s_cbranch_vccnz .LBB63_529
; %bb.528:
	scratch_load_dwordx2 v[132:133], v17, off
	ds_read_b64 v[134:135], v1
	s_waitcnt vmcnt(0) lgkmcnt(0)
	v_mul_f64 v[132:133], v[132:133], v[134:135]
	s_cbranch_execz .LBB63_530
	s_branch .LBB63_531
.LBB63_529:
                                        ; implicit-def: $vgpr132_vgpr133
.LBB63_530:
	ds_read_b64 v[132:133], v1
.LBB63_531:
	s_and_saveexec_b64 s[8:9], s[0:1]
	s_cbranch_execz .LBB63_535
; %bb.532:
	v_add_u32_e32 v134, -10, v0
	s_movk_i32 s15, 0x250
	s_mov_b64 s[0:1], 0
.LBB63_533:                             ; =>This Inner Loop Header: Depth=1
	scratch_load_dwordx2 v[136:137], off, s14
	v_mov_b32_e32 v135, s15
	ds_read_b64 v[138:139], v135
	v_add_u32_e32 v134, -1, v134
	s_add_i32 s15, s15, 8
	s_add_i32 s14, s14, 8
	v_cmp_eq_u32_e32 vcc, 0, v134
	s_or_b64 s[0:1], vcc, s[0:1]
	s_waitcnt vmcnt(0) lgkmcnt(0)
	v_fmac_f64_e32 v[132:133], v[136:137], v[138:139]
	s_andn2_b64 exec, exec, s[0:1]
	s_cbranch_execnz .LBB63_533
; %bb.534:
	s_or_b64 exec, exec, s[0:1]
.LBB63_535:
	s_or_b64 exec, exec, s[8:9]
	v_mov_b32_e32 v134, 0
	ds_read_b64 v[134:135], v134 offset:72
	s_waitcnt lgkmcnt(0)
	v_mul_f64 v[132:133], v[132:133], v[134:135]
	scratch_store_dwordx2 off, v[132:133], off offset:72
.LBB63_536:
	s_or_b64 exec, exec, s[4:5]
	scratch_load_dwordx2 v[132:133], off, off offset:64
	v_cmp_lt_u32_e64 s[0:1], 8, v0
	s_waitcnt vmcnt(0)
	ds_write_b64 v1, v[132:133]
	s_waitcnt lgkmcnt(0)
	; wave barrier
	s_and_saveexec_b64 s[4:5], s[0:1]
	s_cbranch_execz .LBB63_546
; %bb.537:
	s_andn2_b64 vcc, exec, s[6:7]
	s_cbranch_vccnz .LBB63_539
; %bb.538:
	scratch_load_dwordx2 v[132:133], v17, off
	ds_read_b64 v[134:135], v1
	s_waitcnt vmcnt(0) lgkmcnt(0)
	v_mul_f64 v[132:133], v[132:133], v[134:135]
	s_cbranch_execz .LBB63_540
	s_branch .LBB63_541
.LBB63_539:
                                        ; implicit-def: $vgpr132_vgpr133
.LBB63_540:
	ds_read_b64 v[132:133], v1
.LBB63_541:
	s_and_saveexec_b64 s[8:9], s[2:3]
	s_cbranch_execz .LBB63_545
; %bb.542:
	s_movk_i32 s14, 0x48
	v_add_u32_e32 v134, -9, v0
	s_movk_i32 s15, 0x248
	s_mov_b64 s[2:3], 0
.LBB63_543:                             ; =>This Inner Loop Header: Depth=1
	scratch_load_dwordx2 v[136:137], off, s14
	v_mov_b32_e32 v135, s15
	ds_read_b64 v[138:139], v135
	v_add_u32_e32 v134, -1, v134
	s_add_i32 s15, s15, 8
	s_add_i32 s14, s14, 8
	v_cmp_eq_u32_e32 vcc, 0, v134
	s_or_b64 s[2:3], vcc, s[2:3]
	s_waitcnt vmcnt(0) lgkmcnt(0)
	v_fmac_f64_e32 v[132:133], v[136:137], v[138:139]
	s_andn2_b64 exec, exec, s[2:3]
	s_cbranch_execnz .LBB63_543
; %bb.544:
	s_or_b64 exec, exec, s[2:3]
.LBB63_545:
	s_or_b64 exec, exec, s[8:9]
	v_mov_b32_e32 v134, 0
	ds_read_b64 v[134:135], v134 offset:64
	s_waitcnt lgkmcnt(0)
	v_mul_f64 v[132:133], v[132:133], v[134:135]
	scratch_store_dwordx2 off, v[132:133], off offset:64
.LBB63_546:
	s_or_b64 exec, exec, s[4:5]
	scratch_load_dwordx2 v[132:133], off, off offset:56
	v_cmp_lt_u32_e64 s[2:3], 7, v0
	s_waitcnt vmcnt(0)
	ds_write_b64 v1, v[132:133]
	s_waitcnt lgkmcnt(0)
	; wave barrier
	s_and_saveexec_b64 s[4:5], s[2:3]
	s_cbranch_execz .LBB63_556
; %bb.547:
	s_andn2_b64 vcc, exec, s[6:7]
	s_cbranch_vccnz .LBB63_549
; %bb.548:
	scratch_load_dwordx2 v[132:133], v17, off
	ds_read_b64 v[134:135], v1
	s_waitcnt vmcnt(0) lgkmcnt(0)
	v_mul_f64 v[132:133], v[132:133], v[134:135]
	s_cbranch_execz .LBB63_550
	s_branch .LBB63_551
.LBB63_549:
                                        ; implicit-def: $vgpr132_vgpr133
.LBB63_550:
	ds_read_b64 v[132:133], v1
.LBB63_551:
	s_and_saveexec_b64 s[8:9], s[0:1]
	s_cbranch_execz .LBB63_555
; %bb.552:
	v_add_u32_e32 v134, -8, v0
	s_movk_i32 s14, 0x240
	s_mov_b64 s[0:1], 0
.LBB63_553:                             ; =>This Inner Loop Header: Depth=1
	scratch_load_dwordx2 v[136:137], off, s13
	v_mov_b32_e32 v135, s14
	ds_read_b64 v[138:139], v135
	v_add_u32_e32 v134, -1, v134
	s_add_i32 s14, s14, 8
	s_add_i32 s13, s13, 8
	v_cmp_eq_u32_e32 vcc, 0, v134
	s_or_b64 s[0:1], vcc, s[0:1]
	s_waitcnt vmcnt(0) lgkmcnt(0)
	v_fmac_f64_e32 v[132:133], v[136:137], v[138:139]
	s_andn2_b64 exec, exec, s[0:1]
	s_cbranch_execnz .LBB63_553
; %bb.554:
	s_or_b64 exec, exec, s[0:1]
.LBB63_555:
	s_or_b64 exec, exec, s[8:9]
	v_mov_b32_e32 v134, 0
	ds_read_b64 v[134:135], v134 offset:56
	s_waitcnt lgkmcnt(0)
	v_mul_f64 v[132:133], v[132:133], v[134:135]
	scratch_store_dwordx2 off, v[132:133], off offset:56
.LBB63_556:
	s_or_b64 exec, exec, s[4:5]
	scratch_load_dwordx2 v[132:133], off, off offset:48
	v_cmp_lt_u32_e64 s[0:1], 6, v0
	s_waitcnt vmcnt(0)
	ds_write_b64 v1, v[132:133]
	s_waitcnt lgkmcnt(0)
	; wave barrier
	s_and_saveexec_b64 s[4:5], s[0:1]
	s_cbranch_execz .LBB63_566
; %bb.557:
	s_andn2_b64 vcc, exec, s[6:7]
	s_cbranch_vccnz .LBB63_559
; %bb.558:
	scratch_load_dwordx2 v[132:133], v17, off
	ds_read_b64 v[134:135], v1
	s_waitcnt vmcnt(0) lgkmcnt(0)
	v_mul_f64 v[132:133], v[132:133], v[134:135]
	s_cbranch_execz .LBB63_560
	s_branch .LBB63_561
.LBB63_559:
                                        ; implicit-def: $vgpr132_vgpr133
.LBB63_560:
	ds_read_b64 v[132:133], v1
.LBB63_561:
	s_and_saveexec_b64 s[8:9], s[2:3]
	s_cbranch_execz .LBB63_565
; %bb.562:
	s_mov_b32 s13, 56
	v_add_u32_e32 v134, -7, v0
	s_movk_i32 s14, 0x238
	s_mov_b64 s[2:3], 0
.LBB63_563:                             ; =>This Inner Loop Header: Depth=1
	scratch_load_dwordx2 v[136:137], off, s13
	v_mov_b32_e32 v135, s14
	ds_read_b64 v[138:139], v135
	v_add_u32_e32 v134, -1, v134
	s_add_i32 s14, s14, 8
	s_add_i32 s13, s13, 8
	v_cmp_eq_u32_e32 vcc, 0, v134
	s_or_b64 s[2:3], vcc, s[2:3]
	s_waitcnt vmcnt(0) lgkmcnt(0)
	v_fmac_f64_e32 v[132:133], v[136:137], v[138:139]
	s_andn2_b64 exec, exec, s[2:3]
	s_cbranch_execnz .LBB63_563
; %bb.564:
	s_or_b64 exec, exec, s[2:3]
.LBB63_565:
	s_or_b64 exec, exec, s[8:9]
	v_mov_b32_e32 v134, 0
	ds_read_b64 v[134:135], v134 offset:48
	s_waitcnt lgkmcnt(0)
	v_mul_f64 v[132:133], v[132:133], v[134:135]
	scratch_store_dwordx2 off, v[132:133], off offset:48
.LBB63_566:
	s_or_b64 exec, exec, s[4:5]
	scratch_load_dwordx2 v[132:133], off, off offset:40
	v_cmp_lt_u32_e64 s[2:3], 5, v0
	s_waitcnt vmcnt(0)
	ds_write_b64 v1, v[132:133]
	s_waitcnt lgkmcnt(0)
	; wave barrier
	s_and_saveexec_b64 s[4:5], s[2:3]
	s_cbranch_execz .LBB63_576
; %bb.567:
	s_andn2_b64 vcc, exec, s[6:7]
	s_cbranch_vccnz .LBB63_569
; %bb.568:
	scratch_load_dwordx2 v[132:133], v17, off
	ds_read_b64 v[134:135], v1
	s_waitcnt vmcnt(0) lgkmcnt(0)
	v_mul_f64 v[132:133], v[132:133], v[134:135]
	s_cbranch_execz .LBB63_570
	s_branch .LBB63_571
.LBB63_569:
                                        ; implicit-def: $vgpr132_vgpr133
.LBB63_570:
	ds_read_b64 v[132:133], v1
.LBB63_571:
	s_and_saveexec_b64 s[8:9], s[0:1]
	s_cbranch_execz .LBB63_575
; %bb.572:
	v_add_u32_e32 v134, -6, v0
	s_movk_i32 s13, 0x230
	s_mov_b64 s[0:1], 0
.LBB63_573:                             ; =>This Inner Loop Header: Depth=1
	scratch_load_dwordx2 v[136:137], off, s12
	v_mov_b32_e32 v135, s13
	ds_read_b64 v[138:139], v135
	v_add_u32_e32 v134, -1, v134
	s_add_i32 s13, s13, 8
	s_add_i32 s12, s12, 8
	v_cmp_eq_u32_e32 vcc, 0, v134
	s_or_b64 s[0:1], vcc, s[0:1]
	s_waitcnt vmcnt(0) lgkmcnt(0)
	v_fmac_f64_e32 v[132:133], v[136:137], v[138:139]
	s_andn2_b64 exec, exec, s[0:1]
	s_cbranch_execnz .LBB63_573
; %bb.574:
	s_or_b64 exec, exec, s[0:1]
.LBB63_575:
	s_or_b64 exec, exec, s[8:9]
	v_mov_b32_e32 v134, 0
	ds_read_b64 v[134:135], v134 offset:40
	s_waitcnt lgkmcnt(0)
	v_mul_f64 v[132:133], v[132:133], v[134:135]
	scratch_store_dwordx2 off, v[132:133], off offset:40
.LBB63_576:
	s_or_b64 exec, exec, s[4:5]
	scratch_load_dwordx2 v[132:133], off, off offset:32
	v_cmp_lt_u32_e64 s[0:1], 4, v0
	s_waitcnt vmcnt(0)
	ds_write_b64 v1, v[132:133]
	s_waitcnt lgkmcnt(0)
	; wave barrier
	s_and_saveexec_b64 s[4:5], s[0:1]
	s_cbranch_execz .LBB63_586
; %bb.577:
	s_andn2_b64 vcc, exec, s[6:7]
	s_cbranch_vccnz .LBB63_579
; %bb.578:
	scratch_load_dwordx2 v[132:133], v17, off
	ds_read_b64 v[134:135], v1
	s_waitcnt vmcnt(0) lgkmcnt(0)
	v_mul_f64 v[132:133], v[132:133], v[134:135]
	s_cbranch_execz .LBB63_580
	s_branch .LBB63_581
.LBB63_579:
                                        ; implicit-def: $vgpr132_vgpr133
.LBB63_580:
	ds_read_b64 v[132:133], v1
.LBB63_581:
	s_and_saveexec_b64 s[8:9], s[2:3]
	s_cbranch_execz .LBB63_585
; %bb.582:
	s_mov_b32 s12, 40
	v_add_u32_e32 v134, -5, v0
	s_movk_i32 s13, 0x228
	s_mov_b64 s[2:3], 0
.LBB63_583:                             ; =>This Inner Loop Header: Depth=1
	scratch_load_dwordx2 v[136:137], off, s12
	v_mov_b32_e32 v135, s13
	ds_read_b64 v[138:139], v135
	v_add_u32_e32 v134, -1, v134
	s_add_i32 s13, s13, 8
	s_add_i32 s12, s12, 8
	v_cmp_eq_u32_e32 vcc, 0, v134
	s_or_b64 s[2:3], vcc, s[2:3]
	s_waitcnt vmcnt(0) lgkmcnt(0)
	v_fmac_f64_e32 v[132:133], v[136:137], v[138:139]
	s_andn2_b64 exec, exec, s[2:3]
	s_cbranch_execnz .LBB63_583
; %bb.584:
	s_or_b64 exec, exec, s[2:3]
.LBB63_585:
	s_or_b64 exec, exec, s[8:9]
	v_mov_b32_e32 v134, 0
	ds_read_b64 v[134:135], v134 offset:32
	s_waitcnt lgkmcnt(0)
	v_mul_f64 v[132:133], v[132:133], v[134:135]
	scratch_store_dwordx2 off, v[132:133], off offset:32
.LBB63_586:
	s_or_b64 exec, exec, s[4:5]
	scratch_load_dwordx2 v[132:133], off, off offset:24
	v_cmp_lt_u32_e64 s[2:3], 3, v0
	s_waitcnt vmcnt(0)
	ds_write_b64 v1, v[132:133]
	s_waitcnt lgkmcnt(0)
	; wave barrier
	s_and_saveexec_b64 s[4:5], s[2:3]
	s_cbranch_execz .LBB63_596
; %bb.587:
	s_andn2_b64 vcc, exec, s[6:7]
	s_cbranch_vccnz .LBB63_589
; %bb.588:
	scratch_load_dwordx2 v[132:133], v17, off
	ds_read_b64 v[134:135], v1
	s_waitcnt vmcnt(0) lgkmcnt(0)
	v_mul_f64 v[132:133], v[132:133], v[134:135]
	s_cbranch_execz .LBB63_590
	s_branch .LBB63_591
.LBB63_589:
                                        ; implicit-def: $vgpr132_vgpr133
.LBB63_590:
	ds_read_b64 v[132:133], v1
.LBB63_591:
	s_and_saveexec_b64 s[8:9], s[0:1]
	s_cbranch_execz .LBB63_595
; %bb.592:
	v_add_u32_e32 v134, -4, v0
	s_movk_i32 s12, 0x220
	s_mov_b64 s[0:1], 0
.LBB63_593:                             ; =>This Inner Loop Header: Depth=1
	scratch_load_dwordx2 v[136:137], off, s11
	v_mov_b32_e32 v135, s12
	ds_read_b64 v[138:139], v135
	v_add_u32_e32 v134, -1, v134
	s_add_i32 s12, s12, 8
	s_add_i32 s11, s11, 8
	v_cmp_eq_u32_e32 vcc, 0, v134
	s_or_b64 s[0:1], vcc, s[0:1]
	s_waitcnt vmcnt(0) lgkmcnt(0)
	v_fmac_f64_e32 v[132:133], v[136:137], v[138:139]
	s_andn2_b64 exec, exec, s[0:1]
	s_cbranch_execnz .LBB63_593
; %bb.594:
	s_or_b64 exec, exec, s[0:1]
.LBB63_595:
	s_or_b64 exec, exec, s[8:9]
	v_mov_b32_e32 v134, 0
	ds_read_b64 v[134:135], v134 offset:24
	s_waitcnt lgkmcnt(0)
	v_mul_f64 v[132:133], v[132:133], v[134:135]
	scratch_store_dwordx2 off, v[132:133], off offset:24
.LBB63_596:
	s_or_b64 exec, exec, s[4:5]
	scratch_load_dwordx2 v[132:133], off, off offset:16
	v_cmp_lt_u32_e64 s[0:1], 2, v0
	s_waitcnt vmcnt(0)
	ds_write_b64 v1, v[132:133]
	s_waitcnt lgkmcnt(0)
	; wave barrier
	s_and_saveexec_b64 s[4:5], s[0:1]
	s_cbranch_execz .LBB63_606
; %bb.597:
	s_andn2_b64 vcc, exec, s[6:7]
	s_cbranch_vccnz .LBB63_599
; %bb.598:
	scratch_load_dwordx2 v[132:133], v17, off
	ds_read_b64 v[134:135], v1
	s_waitcnt vmcnt(0) lgkmcnt(0)
	v_mul_f64 v[132:133], v[132:133], v[134:135]
	s_cbranch_execz .LBB63_600
	s_branch .LBB63_601
.LBB63_599:
                                        ; implicit-def: $vgpr132_vgpr133
.LBB63_600:
	ds_read_b64 v[132:133], v1
.LBB63_601:
	s_and_saveexec_b64 s[8:9], s[2:3]
	s_cbranch_execz .LBB63_605
; %bb.602:
	s_mov_b32 s11, 24
	v_add_u32_e32 v134, -3, v0
	s_movk_i32 s12, 0x218
	s_mov_b64 s[2:3], 0
.LBB63_603:                             ; =>This Inner Loop Header: Depth=1
	scratch_load_dwordx2 v[136:137], off, s11
	v_mov_b32_e32 v135, s12
	ds_read_b64 v[138:139], v135
	v_add_u32_e32 v134, -1, v134
	s_add_i32 s12, s12, 8
	s_add_i32 s11, s11, 8
	v_cmp_eq_u32_e32 vcc, 0, v134
	s_or_b64 s[2:3], vcc, s[2:3]
	s_waitcnt vmcnt(0) lgkmcnt(0)
	v_fmac_f64_e32 v[132:133], v[136:137], v[138:139]
	s_andn2_b64 exec, exec, s[2:3]
	s_cbranch_execnz .LBB63_603
; %bb.604:
	s_or_b64 exec, exec, s[2:3]
.LBB63_605:
	s_or_b64 exec, exec, s[8:9]
	v_mov_b32_e32 v134, 0
	ds_read_b64 v[134:135], v134 offset:16
	s_waitcnt lgkmcnt(0)
	v_mul_f64 v[132:133], v[132:133], v[134:135]
	scratch_store_dwordx2 off, v[132:133], off offset:16
.LBB63_606:
	s_or_b64 exec, exec, s[4:5]
	scratch_load_dwordx2 v[132:133], off, off offset:8
	v_cmp_lt_u32_e64 s[2:3], 1, v0
	s_waitcnt vmcnt(0)
	ds_write_b64 v1, v[132:133]
	s_waitcnt lgkmcnt(0)
	; wave barrier
	s_and_saveexec_b64 s[4:5], s[2:3]
	s_cbranch_execz .LBB63_616
; %bb.607:
	s_andn2_b64 vcc, exec, s[6:7]
	s_cbranch_vccnz .LBB63_609
; %bb.608:
	scratch_load_dwordx2 v[132:133], v17, off
	ds_read_b64 v[134:135], v1
	s_waitcnt vmcnt(0) lgkmcnt(0)
	v_mul_f64 v[132:133], v[132:133], v[134:135]
	s_cbranch_execz .LBB63_610
	s_branch .LBB63_611
.LBB63_609:
                                        ; implicit-def: $vgpr132_vgpr133
.LBB63_610:
	ds_read_b64 v[132:133], v1
.LBB63_611:
	s_and_saveexec_b64 s[8:9], s[0:1]
	s_cbranch_execz .LBB63_615
; %bb.612:
	v_add_u32_e32 v134, -2, v0
	s_movk_i32 s11, 0x210
	s_mov_b64 s[0:1], 0
.LBB63_613:                             ; =>This Inner Loop Header: Depth=1
	scratch_load_dwordx2 v[136:137], off, s10
	v_mov_b32_e32 v135, s11
	ds_read_b64 v[138:139], v135
	v_add_u32_e32 v134, -1, v134
	s_add_i32 s11, s11, 8
	s_add_i32 s10, s10, 8
	v_cmp_eq_u32_e32 vcc, 0, v134
	s_or_b64 s[0:1], vcc, s[0:1]
	s_waitcnt vmcnt(0) lgkmcnt(0)
	v_fmac_f64_e32 v[132:133], v[136:137], v[138:139]
	s_andn2_b64 exec, exec, s[0:1]
	s_cbranch_execnz .LBB63_613
; %bb.614:
	s_or_b64 exec, exec, s[0:1]
.LBB63_615:
	s_or_b64 exec, exec, s[8:9]
	v_mov_b32_e32 v134, 0
	ds_read_b64 v[134:135], v134 offset:8
	s_waitcnt lgkmcnt(0)
	v_mul_f64 v[132:133], v[132:133], v[134:135]
	scratch_store_dwordx2 off, v[132:133], off offset:8
.LBB63_616:
	s_or_b64 exec, exec, s[4:5]
	scratch_load_dwordx2 v[132:133], off, off
	v_cmp_ne_u32_e32 vcc, 0, v0
	s_waitcnt vmcnt(0)
	ds_write_b64 v1, v[132:133]
	s_waitcnt lgkmcnt(0)
	; wave barrier
	s_and_saveexec_b64 s[0:1], vcc
	s_cbranch_execz .LBB63_626
; %bb.617:
	s_andn2_b64 vcc, exec, s[6:7]
	s_cbranch_vccnz .LBB63_619
; %bb.618:
	scratch_load_dwordx2 v[132:133], v17, off
	ds_read_b64 v[134:135], v1
	s_waitcnt vmcnt(0) lgkmcnt(0)
	v_mul_f64 v[132:133], v[132:133], v[134:135]
	s_cbranch_execz .LBB63_620
	s_branch .LBB63_621
.LBB63_619:
                                        ; implicit-def: $vgpr132_vgpr133
.LBB63_620:
	ds_read_b64 v[132:133], v1
.LBB63_621:
	s_and_saveexec_b64 s[4:5], s[2:3]
	s_cbranch_execz .LBB63_625
; %bb.622:
	s_or_b32 s8, 0, 8
	v_add_u32_e32 v134, -1, v0
	s_movk_i32 s9, 0x208
	s_mov_b64 s[2:3], 0
.LBB63_623:                             ; =>This Inner Loop Header: Depth=1
	scratch_load_dwordx2 v[136:137], off, s8
	v_mov_b32_e32 v135, s9
	ds_read_b64 v[138:139], v135
	v_add_u32_e32 v134, -1, v134
	s_add_i32 s9, s9, 8
	s_add_i32 s8, s8, 8
	v_cmp_eq_u32_e32 vcc, 0, v134
	s_or_b64 s[2:3], vcc, s[2:3]
	s_waitcnt vmcnt(0) lgkmcnt(0)
	v_fmac_f64_e32 v[132:133], v[136:137], v[138:139]
	s_andn2_b64 exec, exec, s[2:3]
	s_cbranch_execnz .LBB63_623
; %bb.624:
	s_or_b64 exec, exec, s[2:3]
.LBB63_625:
	s_or_b64 exec, exec, s[4:5]
	v_mov_b32_e32 v134, 0
	ds_read_b64 v[134:135], v134
	s_waitcnt lgkmcnt(0)
	v_mul_f64 v[132:133], v[132:133], v[134:135]
	scratch_store_dwordx2 off, v[132:133], off
.LBB63_626:
	s_or_b64 exec, exec, s[0:1]
	s_mov_b64 s[0:1], 0
.LBB63_627:
	s_and_b64 vcc, exec, s[0:1]
	s_cbranch_vccz .LBB63_1249
; %bb.628:
	scratch_load_dwordx2 v[132:133], off, off offset:8
	v_cmp_eq_u32_e64 s[2:3], 0, v0
	s_waitcnt vmcnt(0)
	ds_write_b64 v1, v[132:133]
	s_waitcnt lgkmcnt(0)
	; wave barrier
	s_and_saveexec_b64 s[0:1], s[2:3]
	s_cbranch_execz .LBB63_634
; %bb.629:
	s_and_b64 vcc, exec, s[6:7]
	s_cbranch_vccz .LBB63_631
; %bb.630:
	scratch_load_dwordx2 v[132:133], v17, off
	ds_read_b64 v[134:135], v1
	s_waitcnt vmcnt(0) lgkmcnt(0)
	v_mul_f64 v[132:133], v[132:133], v[134:135]
	s_cbranch_execz .LBB63_632
	s_branch .LBB63_633
.LBB63_631:
                                        ; implicit-def: $vgpr132_vgpr133
.LBB63_632:
	ds_read_b64 v[132:133], v1
.LBB63_633:
	v_mov_b32_e32 v134, 0
	ds_read_b64 v[134:135], v134 offset:8
	s_waitcnt lgkmcnt(0)
	v_mul_f64 v[132:133], v[132:133], v[134:135]
	scratch_store_dwordx2 off, v[132:133], off offset:8
.LBB63_634:
	s_or_b64 exec, exec, s[0:1]
	scratch_load_dwordx2 v[132:133], off, off offset:16
	v_cndmask_b32_e64 v134, 0, 1, s[6:7]
	v_cmp_gt_u32_e32 vcc, 2, v0
	v_cmp_ne_u32_e64 s[0:1], 1, v134
	s_waitcnt vmcnt(0)
	ds_write_b64 v1, v[132:133]
	s_waitcnt lgkmcnt(0)
	; wave barrier
	s_and_saveexec_b64 s[4:5], vcc
	s_cbranch_execz .LBB63_640
; %bb.635:
	s_and_b64 vcc, exec, s[0:1]
	s_cbranch_vccnz .LBB63_637
; %bb.636:
	scratch_load_dwordx2 v[132:133], v17, off
	ds_read_b64 v[134:135], v1
	s_waitcnt vmcnt(0) lgkmcnt(0)
	v_mul_f64 v[132:133], v[132:133], v[134:135]
	s_cbranch_execz .LBB63_638
	s_branch .LBB63_639
.LBB63_637:
                                        ; implicit-def: $vgpr132_vgpr133
.LBB63_638:
	ds_read_b64 v[132:133], v1
.LBB63_639:
	scratch_load_dwordx2 v[138:139], off, off offset:8
	v_mov_b32_e32 v134, 0
	ds_read2_b64 v[134:137], v134 offset0:2 offset1:65
	s_waitcnt vmcnt(0) lgkmcnt(0)
	v_fma_f64 v[136:137], v[138:139], v[136:137], v[132:133]
	v_cndmask_b32_e64 v133, v133, v137, s[2:3]
	v_cndmask_b32_e64 v132, v132, v136, s[2:3]
	v_mul_f64 v[132:133], v[132:133], v[134:135]
	scratch_store_dwordx2 off, v[132:133], off offset:16
.LBB63_640:
	s_or_b64 exec, exec, s[4:5]
	scratch_load_dwordx2 v[132:133], off, off offset:24
	v_cmp_gt_u32_e32 vcc, 3, v0
	s_waitcnt vmcnt(0)
	ds_write_b64 v1, v[132:133]
	s_waitcnt lgkmcnt(0)
	; wave barrier
	s_and_saveexec_b64 s[4:5], vcc
	s_cbranch_execz .LBB63_648
; %bb.641:
	s_and_b64 vcc, exec, s[0:1]
	s_cbranch_vccnz .LBB63_643
; %bb.642:
	scratch_load_dwordx2 v[132:133], v17, off
	ds_read_b64 v[134:135], v1
	s_waitcnt vmcnt(0) lgkmcnt(0)
	v_mul_f64 v[132:133], v[132:133], v[134:135]
	s_cbranch_execz .LBB63_644
	s_branch .LBB63_645
.LBB63_643:
                                        ; implicit-def: $vgpr132_vgpr133
.LBB63_644:
	ds_read_b64 v[132:133], v1
.LBB63_645:
	v_cmp_ne_u32_e32 vcc, 2, v0
	s_and_saveexec_b64 s[6:7], vcc
	s_cbranch_execz .LBB63_647
; %bb.646:
	scratch_load_dwordx2 v[134:135], v17, off offset:8
	scratch_load_dwordx2 v[136:137], off, off offset:16
	ds_read_b64 v[138:139], v1 offset:8
	v_mov_b32_e32 v140, 0
	ds_read_b64 v[140:141], v140 offset:528
	s_waitcnt vmcnt(1) lgkmcnt(1)
	v_fmac_f64_e32 v[132:133], v[134:135], v[138:139]
	s_waitcnt vmcnt(0) lgkmcnt(0)
	v_fma_f64 v[134:135], v[136:137], v[140:141], v[132:133]
	v_cndmask_b32_e64 v133, v133, v135, s[2:3]
	v_cndmask_b32_e64 v132, v132, v134, s[2:3]
.LBB63_647:
	s_or_b64 exec, exec, s[6:7]
	v_mov_b32_e32 v134, 0
	ds_read_b64 v[134:135], v134 offset:24
	s_waitcnt lgkmcnt(0)
	v_mul_f64 v[132:133], v[132:133], v[134:135]
	scratch_store_dwordx2 off, v[132:133], off offset:24
.LBB63_648:
	s_or_b64 exec, exec, s[4:5]
	scratch_load_dwordx2 v[132:133], off, off offset:32
	v_cmp_gt_u32_e32 vcc, 4, v0
	s_waitcnt vmcnt(0)
	ds_write_b64 v1, v[132:133]
	s_waitcnt lgkmcnt(0)
	; wave barrier
	s_and_saveexec_b64 s[2:3], vcc
	s_cbranch_execz .LBB63_658
; %bb.649:
	s_and_b64 vcc, exec, s[0:1]
	s_cbranch_vccnz .LBB63_651
; %bb.650:
	scratch_load_dwordx2 v[132:133], v17, off
	ds_read_b64 v[134:135], v1
	s_waitcnt vmcnt(0) lgkmcnt(0)
	v_mul_f64 v[132:133], v[132:133], v[134:135]
	s_cbranch_execz .LBB63_652
	s_branch .LBB63_653
.LBB63_651:
                                        ; implicit-def: $vgpr132_vgpr133
.LBB63_652:
	ds_read_b64 v[132:133], v1
.LBB63_653:
	v_cmp_ne_u32_e32 vcc, 3, v0
	s_and_saveexec_b64 s[4:5], vcc
	s_cbranch_execz .LBB63_657
; %bb.654:
	s_mov_b32 s6, 0
	v_add_u32_e32 v134, 0x208, v16
	v_add3_u32 v135, v16, s6, 8
	s_mov_b64 s[6:7], 0
	v_mov_b32_e32 v136, v0
.LBB63_655:                             ; =>This Inner Loop Header: Depth=1
	scratch_load_dwordx2 v[138:139], v135, off
	ds_read_b64 v[140:141], v134
	v_add_u32_e32 v136, 1, v136
	v_cmp_lt_u32_e32 vcc, 2, v136
	v_add_u32_e32 v134, 8, v134
	v_add_u32_e32 v135, 8, v135
	s_or_b64 s[6:7], vcc, s[6:7]
	s_waitcnt vmcnt(0) lgkmcnt(0)
	v_fmac_f64_e32 v[132:133], v[138:139], v[140:141]
	s_andn2_b64 exec, exec, s[6:7]
	s_cbranch_execnz .LBB63_655
; %bb.656:
	s_or_b64 exec, exec, s[6:7]
.LBB63_657:
	s_or_b64 exec, exec, s[4:5]
	v_mov_b32_e32 v134, 0
	ds_read_b64 v[134:135], v134 offset:32
	s_waitcnt lgkmcnt(0)
	v_mul_f64 v[132:133], v[132:133], v[134:135]
	scratch_store_dwordx2 off, v[132:133], off offset:32
.LBB63_658:
	s_or_b64 exec, exec, s[2:3]
	scratch_load_dwordx2 v[132:133], off, off offset:40
	v_cmp_gt_u32_e32 vcc, 5, v0
	s_waitcnt vmcnt(0)
	ds_write_b64 v1, v[132:133]
	s_waitcnt lgkmcnt(0)
	; wave barrier
	s_and_saveexec_b64 s[2:3], vcc
	s_cbranch_execz .LBB63_668
; %bb.659:
	s_and_b64 vcc, exec, s[0:1]
	s_cbranch_vccnz .LBB63_661
; %bb.660:
	scratch_load_dwordx2 v[132:133], v17, off
	ds_read_b64 v[134:135], v1
	s_waitcnt vmcnt(0) lgkmcnt(0)
	v_mul_f64 v[132:133], v[132:133], v[134:135]
	s_cbranch_execz .LBB63_662
	s_branch .LBB63_663
.LBB63_661:
                                        ; implicit-def: $vgpr132_vgpr133
.LBB63_662:
	ds_read_b64 v[132:133], v1
.LBB63_663:
	v_cmp_ne_u32_e32 vcc, 4, v0
	s_and_saveexec_b64 s[4:5], vcc
	s_cbranch_execz .LBB63_667
; %bb.664:
	s_mov_b32 s6, 0
	v_add_u32_e32 v134, 0x208, v16
	v_add3_u32 v135, v16, s6, 8
	s_mov_b64 s[6:7], 0
	v_mov_b32_e32 v136, v0
.LBB63_665:                             ; =>This Inner Loop Header: Depth=1
	scratch_load_dwordx2 v[138:139], v135, off
	ds_read_b64 v[140:141], v134
	v_add_u32_e32 v136, 1, v136
	v_cmp_lt_u32_e32 vcc, 3, v136
	v_add_u32_e32 v134, 8, v134
	v_add_u32_e32 v135, 8, v135
	s_or_b64 s[6:7], vcc, s[6:7]
	s_waitcnt vmcnt(0) lgkmcnt(0)
	v_fmac_f64_e32 v[132:133], v[138:139], v[140:141]
	s_andn2_b64 exec, exec, s[6:7]
	s_cbranch_execnz .LBB63_665
; %bb.666:
	s_or_b64 exec, exec, s[6:7]
.LBB63_667:
	s_or_b64 exec, exec, s[4:5]
	v_mov_b32_e32 v134, 0
	ds_read_b64 v[134:135], v134 offset:40
	s_waitcnt lgkmcnt(0)
	v_mul_f64 v[132:133], v[132:133], v[134:135]
	scratch_store_dwordx2 off, v[132:133], off offset:40
.LBB63_668:
	;; [unrolled: 55-line block ×35, first 2 shown]
	s_or_b64 exec, exec, s[2:3]
	scratch_load_dwordx2 v[132:133], off, off offset:312
	v_cmp_gt_u32_e32 vcc, 39, v0
	s_waitcnt vmcnt(0)
	ds_write_b64 v1, v[132:133]
	s_waitcnt lgkmcnt(0)
	; wave barrier
	s_and_saveexec_b64 s[2:3], vcc
	s_cbranch_execz .LBB63_1008
; %bb.999:
	s_and_b64 vcc, exec, s[0:1]
	s_cbranch_vccnz .LBB63_1001
; %bb.1000:
	scratch_load_dwordx2 v[132:133], v17, off
	ds_read_b64 v[134:135], v1
	s_waitcnt vmcnt(0) lgkmcnt(0)
	v_mul_f64 v[132:133], v[132:133], v[134:135]
	s_cbranch_execz .LBB63_1002
	s_branch .LBB63_1003
.LBB63_1001:
                                        ; implicit-def: $vgpr132_vgpr133
.LBB63_1002:
	ds_read_b64 v[132:133], v1
.LBB63_1003:
	v_cmp_ne_u32_e32 vcc, 38, v0
	s_and_saveexec_b64 s[4:5], vcc
	s_cbranch_execz .LBB63_1007
; %bb.1004:
	s_mov_b32 s6, 0
	v_add_u32_e32 v134, 0x208, v16
	v_add3_u32 v135, v16, s6, 8
	s_mov_b64 s[6:7], 0
	v_mov_b32_e32 v136, v0
.LBB63_1005:                            ; =>This Inner Loop Header: Depth=1
	scratch_load_dwordx2 v[138:139], v135, off
	ds_read_b64 v[140:141], v134
	v_add_u32_e32 v136, 1, v136
	v_cmp_lt_u32_e32 vcc, 37, v136
	v_add_u32_e32 v134, 8, v134
	v_add_u32_e32 v135, 8, v135
	s_or_b64 s[6:7], vcc, s[6:7]
	s_waitcnt vmcnt(0) lgkmcnt(0)
	v_fmac_f64_e32 v[132:133], v[138:139], v[140:141]
	s_andn2_b64 exec, exec, s[6:7]
	s_cbranch_execnz .LBB63_1005
; %bb.1006:
	s_or_b64 exec, exec, s[6:7]
.LBB63_1007:
	s_or_b64 exec, exec, s[4:5]
	v_mov_b32_e32 v134, 0
	ds_read_b64 v[134:135], v134 offset:312
	s_waitcnt lgkmcnt(0)
	v_mul_f64 v[132:133], v[132:133], v[134:135]
	scratch_store_dwordx2 off, v[132:133], off offset:312
.LBB63_1008:
	s_or_b64 exec, exec, s[2:3]
	scratch_load_dwordx2 v[132:133], off, off offset:320
	v_cmp_gt_u32_e32 vcc, 40, v0
	s_waitcnt vmcnt(0)
	ds_write_b64 v1, v[132:133]
	s_waitcnt lgkmcnt(0)
	; wave barrier
	s_and_saveexec_b64 s[2:3], vcc
	s_cbranch_execz .LBB63_1018
; %bb.1009:
	s_and_b64 vcc, exec, s[0:1]
	s_cbranch_vccnz .LBB63_1011
; %bb.1010:
	scratch_load_dwordx2 v[132:133], v17, off
	ds_read_b64 v[134:135], v1
	s_waitcnt vmcnt(0) lgkmcnt(0)
	v_mul_f64 v[132:133], v[132:133], v[134:135]
	s_cbranch_execz .LBB63_1012
	s_branch .LBB63_1013
.LBB63_1011:
                                        ; implicit-def: $vgpr132_vgpr133
.LBB63_1012:
	ds_read_b64 v[132:133], v1
.LBB63_1013:
	v_cmp_ne_u32_e32 vcc, 39, v0
	s_and_saveexec_b64 s[4:5], vcc
	s_cbranch_execz .LBB63_1017
; %bb.1014:
	s_mov_b32 s6, 0
	v_add_u32_e32 v134, 0x208, v16
	v_add3_u32 v135, v16, s6, 8
	s_mov_b64 s[6:7], 0
	v_mov_b32_e32 v136, v0
.LBB63_1015:                            ; =>This Inner Loop Header: Depth=1
	scratch_load_dwordx2 v[138:139], v135, off
	ds_read_b64 v[140:141], v134
	v_add_u32_e32 v136, 1, v136
	v_cmp_lt_u32_e32 vcc, 38, v136
	v_add_u32_e32 v134, 8, v134
	v_add_u32_e32 v135, 8, v135
	s_or_b64 s[6:7], vcc, s[6:7]
	s_waitcnt vmcnt(0) lgkmcnt(0)
	v_fmac_f64_e32 v[132:133], v[138:139], v[140:141]
	s_andn2_b64 exec, exec, s[6:7]
	s_cbranch_execnz .LBB63_1015
; %bb.1016:
	s_or_b64 exec, exec, s[6:7]
.LBB63_1017:
	s_or_b64 exec, exec, s[4:5]
	v_mov_b32_e32 v134, 0
	ds_read_b64 v[134:135], v134 offset:320
	s_waitcnt lgkmcnt(0)
	v_mul_f64 v[132:133], v[132:133], v[134:135]
	scratch_store_dwordx2 off, v[132:133], off offset:320
.LBB63_1018:
	;; [unrolled: 55-line block ×23, first 2 shown]
	s_or_b64 exec, exec, s[2:3]
	scratch_load_dwordx2 v[132:133], off, off offset:496
	v_cmp_gt_u32_e64 s[2:3], 62, v0
	s_waitcnt vmcnt(0)
	ds_write_b64 v1, v[132:133]
	s_waitcnt lgkmcnt(0)
	; wave barrier
	s_and_saveexec_b64 s[4:5], s[2:3]
	s_cbranch_execz .LBB63_1238
; %bb.1229:
	s_and_b64 vcc, exec, s[0:1]
	s_cbranch_vccnz .LBB63_1231
; %bb.1230:
	scratch_load_dwordx2 v[132:133], v17, off
	ds_read_b64 v[134:135], v1
	s_waitcnt vmcnt(0) lgkmcnt(0)
	v_mul_f64 v[132:133], v[132:133], v[134:135]
	s_cbranch_execz .LBB63_1232
	s_branch .LBB63_1233
.LBB63_1231:
                                        ; implicit-def: $vgpr132_vgpr133
.LBB63_1232:
	ds_read_b64 v[132:133], v1
.LBB63_1233:
	v_cmp_ne_u32_e32 vcc, 61, v0
	s_and_saveexec_b64 s[6:7], vcc
	s_cbranch_execz .LBB63_1237
; %bb.1234:
	s_mov_b32 s8, 0
	v_add_u32_e32 v134, 0x208, v16
	v_add3_u32 v135, v16, s8, 8
	s_mov_b64 s[8:9], 0
	v_mov_b32_e32 v136, v0
.LBB63_1235:                            ; =>This Inner Loop Header: Depth=1
	scratch_load_dwordx2 v[138:139], v135, off
	ds_read_b64 v[140:141], v134
	v_add_u32_e32 v136, 1, v136
	v_cmp_lt_u32_e32 vcc, 60, v136
	v_add_u32_e32 v134, 8, v134
	v_add_u32_e32 v135, 8, v135
	s_or_b64 s[8:9], vcc, s[8:9]
	s_waitcnt vmcnt(0) lgkmcnt(0)
	v_fmac_f64_e32 v[132:133], v[138:139], v[140:141]
	s_andn2_b64 exec, exec, s[8:9]
	s_cbranch_execnz .LBB63_1235
; %bb.1236:
	s_or_b64 exec, exec, s[8:9]
.LBB63_1237:
	s_or_b64 exec, exec, s[6:7]
	v_mov_b32_e32 v134, 0
	ds_read_b64 v[134:135], v134 offset:496
	s_waitcnt lgkmcnt(0)
	v_mul_f64 v[132:133], v[132:133], v[134:135]
	scratch_store_dwordx2 off, v[132:133], off offset:496
.LBB63_1238:
	s_or_b64 exec, exec, s[4:5]
	scratch_load_dwordx2 v[132:133], off, off offset:504
	v_cmp_ne_u32_e32 vcc, 63, v0
	s_waitcnt vmcnt(0)
	ds_write_b64 v1, v[132:133]
	s_waitcnt lgkmcnt(0)
	; wave barrier
	s_and_saveexec_b64 s[4:5], vcc
	s_cbranch_execz .LBB63_1248
; %bb.1239:
	s_and_b64 vcc, exec, s[0:1]
	s_cbranch_vccnz .LBB63_1241
; %bb.1240:
	scratch_load_dwordx2 v[132:133], v17, off
	ds_read_b64 v[134:135], v1
	s_waitcnt vmcnt(0) lgkmcnt(0)
	v_mul_f64 v[132:133], v[132:133], v[134:135]
	s_cbranch_execz .LBB63_1242
	s_branch .LBB63_1243
.LBB63_1241:
                                        ; implicit-def: $vgpr132_vgpr133
.LBB63_1242:
	ds_read_b64 v[132:133], v1
.LBB63_1243:
	s_and_saveexec_b64 s[0:1], s[2:3]
	s_cbranch_execz .LBB63_1247
; %bb.1244:
	s_mov_b32 s2, 0
	v_add_u32_e32 v1, 0x208, v16
	v_add3_u32 v16, v16, s2, 8
	s_mov_b64 s[2:3], 0
.LBB63_1245:                            ; =>This Inner Loop Header: Depth=1
	scratch_load_dwordx2 v[134:135], v16, off
	ds_read_b64 v[136:137], v1
	v_add_u32_e32 v0, 1, v0
	v_cmp_lt_u32_e32 vcc, 61, v0
	v_add_u32_e32 v1, 8, v1
	v_add_u32_e32 v16, 8, v16
	s_or_b64 s[2:3], vcc, s[2:3]
	s_waitcnt vmcnt(0) lgkmcnt(0)
	v_fmac_f64_e32 v[132:133], v[134:135], v[136:137]
	s_andn2_b64 exec, exec, s[2:3]
	s_cbranch_execnz .LBB63_1245
; %bb.1246:
	s_or_b64 exec, exec, s[2:3]
.LBB63_1247:
	s_or_b64 exec, exec, s[0:1]
	v_mov_b32_e32 v0, 0
	ds_read_b64 v[0:1], v0 offset:504
	s_waitcnt lgkmcnt(0)
	v_mul_f64 v[0:1], v[132:133], v[0:1]
	scratch_store_dwordx2 off, v[0:1], off offset:504
.LBB63_1248:
	s_or_b64 exec, exec, s[4:5]
.LBB63_1249:
	scratch_load_dwordx4 v[132:135], off, off
	s_waitcnt vmcnt(0)
	global_store_dwordx2 v[2:3], v[132:133], off
	global_store_dwordx2 v[4:5], v[134:135], off
	scratch_load_dwordx4 v[0:3], off, off offset:16
	s_waitcnt vmcnt(0)
	global_store_dwordx2 v[6:7], v[0:1], off
	global_store_dwordx2 v[8:9], v[2:3], off
	scratch_load_dwordx4 v[0:3], off, off offset:32
	;; [unrolled: 4-line block ×31, first 2 shown]
	s_waitcnt vmcnt(0)
	global_store_dwordx2 v[110:111], v[0:1], off
	global_store_dwordx2 v[114:115], v[2:3], off
.LBB63_1250:
	s_endpgm
	.section	.rodata,"a",@progbits
	.p2align	6, 0x0
	.amdhsa_kernel _ZN9rocsolver6v33100L18trti2_kernel_smallILi64EdPdEEv13rocblas_fill_17rocblas_diagonal_T1_iil
		.amdhsa_group_segment_fixed_size 1024
		.amdhsa_private_segment_fixed_size 528
		.amdhsa_kernarg_size 32
		.amdhsa_user_sgpr_count 2
		.amdhsa_user_sgpr_dispatch_ptr 0
		.amdhsa_user_sgpr_queue_ptr 0
		.amdhsa_user_sgpr_kernarg_segment_ptr 1
		.amdhsa_user_sgpr_dispatch_id 0
		.amdhsa_user_sgpr_kernarg_preload_length 0
		.amdhsa_user_sgpr_kernarg_preload_offset 0
		.amdhsa_user_sgpr_private_segment_size 0
		.amdhsa_uses_dynamic_stack 0
		.amdhsa_enable_private_segment 1
		.amdhsa_system_sgpr_workgroup_id_x 1
		.amdhsa_system_sgpr_workgroup_id_y 0
		.amdhsa_system_sgpr_workgroup_id_z 0
		.amdhsa_system_sgpr_workgroup_info 0
		.amdhsa_system_vgpr_workitem_id 0
		.amdhsa_next_free_vgpr 142
		.amdhsa_next_free_sgpr 43
		.amdhsa_accum_offset 144
		.amdhsa_reserve_vcc 1
		.amdhsa_float_round_mode_32 0
		.amdhsa_float_round_mode_16_64 0
		.amdhsa_float_denorm_mode_32 3
		.amdhsa_float_denorm_mode_16_64 3
		.amdhsa_dx10_clamp 1
		.amdhsa_ieee_mode 1
		.amdhsa_fp16_overflow 0
		.amdhsa_tg_split 0
		.amdhsa_exception_fp_ieee_invalid_op 0
		.amdhsa_exception_fp_denorm_src 0
		.amdhsa_exception_fp_ieee_div_zero 0
		.amdhsa_exception_fp_ieee_overflow 0
		.amdhsa_exception_fp_ieee_underflow 0
		.amdhsa_exception_fp_ieee_inexact 0
		.amdhsa_exception_int_div_zero 0
	.end_amdhsa_kernel
	.section	.text._ZN9rocsolver6v33100L18trti2_kernel_smallILi64EdPdEEv13rocblas_fill_17rocblas_diagonal_T1_iil,"axG",@progbits,_ZN9rocsolver6v33100L18trti2_kernel_smallILi64EdPdEEv13rocblas_fill_17rocblas_diagonal_T1_iil,comdat
.Lfunc_end63:
	.size	_ZN9rocsolver6v33100L18trti2_kernel_smallILi64EdPdEEv13rocblas_fill_17rocblas_diagonal_T1_iil, .Lfunc_end63-_ZN9rocsolver6v33100L18trti2_kernel_smallILi64EdPdEEv13rocblas_fill_17rocblas_diagonal_T1_iil
                                        ; -- End function
	.set _ZN9rocsolver6v33100L18trti2_kernel_smallILi64EdPdEEv13rocblas_fill_17rocblas_diagonal_T1_iil.num_vgpr, 142
	.set _ZN9rocsolver6v33100L18trti2_kernel_smallILi64EdPdEEv13rocblas_fill_17rocblas_diagonal_T1_iil.num_agpr, 0
	.set _ZN9rocsolver6v33100L18trti2_kernel_smallILi64EdPdEEv13rocblas_fill_17rocblas_diagonal_T1_iil.numbered_sgpr, 43
	.set _ZN9rocsolver6v33100L18trti2_kernel_smallILi64EdPdEEv13rocblas_fill_17rocblas_diagonal_T1_iil.num_named_barrier, 0
	.set _ZN9rocsolver6v33100L18trti2_kernel_smallILi64EdPdEEv13rocblas_fill_17rocblas_diagonal_T1_iil.private_seg_size, 528
	.set _ZN9rocsolver6v33100L18trti2_kernel_smallILi64EdPdEEv13rocblas_fill_17rocblas_diagonal_T1_iil.uses_vcc, 1
	.set _ZN9rocsolver6v33100L18trti2_kernel_smallILi64EdPdEEv13rocblas_fill_17rocblas_diagonal_T1_iil.uses_flat_scratch, 0
	.set _ZN9rocsolver6v33100L18trti2_kernel_smallILi64EdPdEEv13rocblas_fill_17rocblas_diagonal_T1_iil.has_dyn_sized_stack, 0
	.set _ZN9rocsolver6v33100L18trti2_kernel_smallILi64EdPdEEv13rocblas_fill_17rocblas_diagonal_T1_iil.has_recursion, 0
	.set _ZN9rocsolver6v33100L18trti2_kernel_smallILi64EdPdEEv13rocblas_fill_17rocblas_diagonal_T1_iil.has_indirect_call, 0
	.section	.AMDGPU.csdata,"",@progbits
; Kernel info:
; codeLenInByte = 30620
; TotalNumSgprs: 49
; NumVgprs: 142
; NumAgprs: 0
; TotalNumVgprs: 142
; ScratchSize: 528
; MemoryBound: 0
; FloatMode: 240
; IeeeMode: 1
; LDSByteSize: 1024 bytes/workgroup (compile time only)
; SGPRBlocks: 6
; VGPRBlocks: 17
; NumSGPRsForWavesPerEU: 49
; NumVGPRsForWavesPerEU: 142
; AccumOffset: 144
; Occupancy: 3
; WaveLimiterHint : 0
; COMPUTE_PGM_RSRC2:SCRATCH_EN: 1
; COMPUTE_PGM_RSRC2:USER_SGPR: 2
; COMPUTE_PGM_RSRC2:TRAP_HANDLER: 0
; COMPUTE_PGM_RSRC2:TGID_X_EN: 1
; COMPUTE_PGM_RSRC2:TGID_Y_EN: 0
; COMPUTE_PGM_RSRC2:TGID_Z_EN: 0
; COMPUTE_PGM_RSRC2:TIDIG_COMP_CNT: 0
; COMPUTE_PGM_RSRC3_GFX90A:ACCUM_OFFSET: 35
; COMPUTE_PGM_RSRC3_GFX90A:TG_SPLIT: 0
	.section	.text._ZN9rocsolver6v33100L18trti2_kernel_smallILi1EdPKPdEEv13rocblas_fill_17rocblas_diagonal_T1_iil,"axG",@progbits,_ZN9rocsolver6v33100L18trti2_kernel_smallILi1EdPKPdEEv13rocblas_fill_17rocblas_diagonal_T1_iil,comdat
	.globl	_ZN9rocsolver6v33100L18trti2_kernel_smallILi1EdPKPdEEv13rocblas_fill_17rocblas_diagonal_T1_iil ; -- Begin function _ZN9rocsolver6v33100L18trti2_kernel_smallILi1EdPKPdEEv13rocblas_fill_17rocblas_diagonal_T1_iil
	.p2align	8
	.type	_ZN9rocsolver6v33100L18trti2_kernel_smallILi1EdPKPdEEv13rocblas_fill_17rocblas_diagonal_T1_iil,@function
_ZN9rocsolver6v33100L18trti2_kernel_smallILi1EdPKPdEEv13rocblas_fill_17rocblas_diagonal_T1_iil: ; @_ZN9rocsolver6v33100L18trti2_kernel_smallILi1EdPKPdEEv13rocblas_fill_17rocblas_diagonal_T1_iil
; %bb.0:
	v_cmp_eq_u32_e32 vcc, 0, v0
	s_and_saveexec_b64 s[4:5], vcc
	s_cbranch_execz .LBB64_2
; %bb.1:
	s_load_dword s4, s[0:1], 0x10
	s_load_dwordx2 s[6:7], s[0:1], 0x8
	s_ashr_i32 s3, s2, 31
	s_lshl_b64 s[2:3], s[2:3], 3
	s_waitcnt lgkmcnt(0)
	s_ashr_i32 s5, s4, 31
	s_add_u32 s2, s6, s2
	s_addc_u32 s3, s7, s3
	s_load_dwordx2 s[2:3], s[2:3], 0x0
	s_lshl_b64 s[4:5], s[4:5], 3
	s_waitcnt lgkmcnt(0)
	s_add_u32 s2, s2, s4
	s_addc_u32 s3, s3, s5
	v_mov_b64_e32 v[0:1], s[2:3]
	flat_load_dwordx2 v[2:3], v[0:1]
	s_load_dword s2, s[0:1], 0x4
	s_waitcnt lgkmcnt(0)
	s_cmpk_eq_i32 s2, 0x84
	s_waitcnt vmcnt(0)
	v_div_scale_f64 v[4:5], s[0:1], v[2:3], v[2:3], 1.0
	v_rcp_f64_e32 v[6:7], v[4:5]
	v_div_scale_f64 v[8:9], vcc, 1.0, v[2:3], 1.0
	v_fma_f64 v[10:11], -v[4:5], v[6:7], 1.0
	v_fmac_f64_e32 v[6:7], v[6:7], v[10:11]
	v_fma_f64 v[10:11], -v[4:5], v[6:7], 1.0
	v_fmac_f64_e32 v[6:7], v[6:7], v[10:11]
	v_mul_f64 v[10:11], v[8:9], v[6:7]
	v_fma_f64 v[4:5], -v[4:5], v[10:11], v[8:9]
	v_div_fmas_f64 v[4:5], v[4:5], v[6:7], v[10:11]
	v_div_fixup_f64 v[4:5], v[4:5], v[2:3], 1.0
	s_cselect_b64 vcc, -1, 0
	v_cndmask_b32_e32 v3, v5, v3, vcc
	v_cndmask_b32_e32 v2, v4, v2, vcc
	flat_store_dwordx2 v[0:1], v[2:3]
.LBB64_2:
	s_endpgm
	.section	.rodata,"a",@progbits
	.p2align	6, 0x0
	.amdhsa_kernel _ZN9rocsolver6v33100L18trti2_kernel_smallILi1EdPKPdEEv13rocblas_fill_17rocblas_diagonal_T1_iil
		.amdhsa_group_segment_fixed_size 0
		.amdhsa_private_segment_fixed_size 0
		.amdhsa_kernarg_size 32
		.amdhsa_user_sgpr_count 2
		.amdhsa_user_sgpr_dispatch_ptr 0
		.amdhsa_user_sgpr_queue_ptr 0
		.amdhsa_user_sgpr_kernarg_segment_ptr 1
		.amdhsa_user_sgpr_dispatch_id 0
		.amdhsa_user_sgpr_kernarg_preload_length 0
		.amdhsa_user_sgpr_kernarg_preload_offset 0
		.amdhsa_user_sgpr_private_segment_size 0
		.amdhsa_uses_dynamic_stack 0
		.amdhsa_enable_private_segment 0
		.amdhsa_system_sgpr_workgroup_id_x 1
		.amdhsa_system_sgpr_workgroup_id_y 0
		.amdhsa_system_sgpr_workgroup_id_z 0
		.amdhsa_system_sgpr_workgroup_info 0
		.amdhsa_system_vgpr_workitem_id 0
		.amdhsa_next_free_vgpr 12
		.amdhsa_next_free_sgpr 8
		.amdhsa_accum_offset 12
		.amdhsa_reserve_vcc 1
		.amdhsa_float_round_mode_32 0
		.amdhsa_float_round_mode_16_64 0
		.amdhsa_float_denorm_mode_32 3
		.amdhsa_float_denorm_mode_16_64 3
		.amdhsa_dx10_clamp 1
		.amdhsa_ieee_mode 1
		.amdhsa_fp16_overflow 0
		.amdhsa_tg_split 0
		.amdhsa_exception_fp_ieee_invalid_op 0
		.amdhsa_exception_fp_denorm_src 0
		.amdhsa_exception_fp_ieee_div_zero 0
		.amdhsa_exception_fp_ieee_overflow 0
		.amdhsa_exception_fp_ieee_underflow 0
		.amdhsa_exception_fp_ieee_inexact 0
		.amdhsa_exception_int_div_zero 0
	.end_amdhsa_kernel
	.section	.text._ZN9rocsolver6v33100L18trti2_kernel_smallILi1EdPKPdEEv13rocblas_fill_17rocblas_diagonal_T1_iil,"axG",@progbits,_ZN9rocsolver6v33100L18trti2_kernel_smallILi1EdPKPdEEv13rocblas_fill_17rocblas_diagonal_T1_iil,comdat
.Lfunc_end64:
	.size	_ZN9rocsolver6v33100L18trti2_kernel_smallILi1EdPKPdEEv13rocblas_fill_17rocblas_diagonal_T1_iil, .Lfunc_end64-_ZN9rocsolver6v33100L18trti2_kernel_smallILi1EdPKPdEEv13rocblas_fill_17rocblas_diagonal_T1_iil
                                        ; -- End function
	.set _ZN9rocsolver6v33100L18trti2_kernel_smallILi1EdPKPdEEv13rocblas_fill_17rocblas_diagonal_T1_iil.num_vgpr, 12
	.set _ZN9rocsolver6v33100L18trti2_kernel_smallILi1EdPKPdEEv13rocblas_fill_17rocblas_diagonal_T1_iil.num_agpr, 0
	.set _ZN9rocsolver6v33100L18trti2_kernel_smallILi1EdPKPdEEv13rocblas_fill_17rocblas_diagonal_T1_iil.numbered_sgpr, 8
	.set _ZN9rocsolver6v33100L18trti2_kernel_smallILi1EdPKPdEEv13rocblas_fill_17rocblas_diagonal_T1_iil.num_named_barrier, 0
	.set _ZN9rocsolver6v33100L18trti2_kernel_smallILi1EdPKPdEEv13rocblas_fill_17rocblas_diagonal_T1_iil.private_seg_size, 0
	.set _ZN9rocsolver6v33100L18trti2_kernel_smallILi1EdPKPdEEv13rocblas_fill_17rocblas_diagonal_T1_iil.uses_vcc, 1
	.set _ZN9rocsolver6v33100L18trti2_kernel_smallILi1EdPKPdEEv13rocblas_fill_17rocblas_diagonal_T1_iil.uses_flat_scratch, 0
	.set _ZN9rocsolver6v33100L18trti2_kernel_smallILi1EdPKPdEEv13rocblas_fill_17rocblas_diagonal_T1_iil.has_dyn_sized_stack, 0
	.set _ZN9rocsolver6v33100L18trti2_kernel_smallILi1EdPKPdEEv13rocblas_fill_17rocblas_diagonal_T1_iil.has_recursion, 0
	.set _ZN9rocsolver6v33100L18trti2_kernel_smallILi1EdPKPdEEv13rocblas_fill_17rocblas_diagonal_T1_iil.has_indirect_call, 0
	.section	.AMDGPU.csdata,"",@progbits
; Kernel info:
; codeLenInByte = 208
; TotalNumSgprs: 14
; NumVgprs: 12
; NumAgprs: 0
; TotalNumVgprs: 12
; ScratchSize: 0
; MemoryBound: 0
; FloatMode: 240
; IeeeMode: 1
; LDSByteSize: 0 bytes/workgroup (compile time only)
; SGPRBlocks: 1
; VGPRBlocks: 1
; NumSGPRsForWavesPerEU: 14
; NumVGPRsForWavesPerEU: 12
; AccumOffset: 12
; Occupancy: 8
; WaveLimiterHint : 1
; COMPUTE_PGM_RSRC2:SCRATCH_EN: 0
; COMPUTE_PGM_RSRC2:USER_SGPR: 2
; COMPUTE_PGM_RSRC2:TRAP_HANDLER: 0
; COMPUTE_PGM_RSRC2:TGID_X_EN: 1
; COMPUTE_PGM_RSRC2:TGID_Y_EN: 0
; COMPUTE_PGM_RSRC2:TGID_Z_EN: 0
; COMPUTE_PGM_RSRC2:TIDIG_COMP_CNT: 0
; COMPUTE_PGM_RSRC3_GFX90A:ACCUM_OFFSET: 2
; COMPUTE_PGM_RSRC3_GFX90A:TG_SPLIT: 0
	.section	.text._ZN9rocsolver6v33100L18trti2_kernel_smallILi2EdPKPdEEv13rocblas_fill_17rocblas_diagonal_T1_iil,"axG",@progbits,_ZN9rocsolver6v33100L18trti2_kernel_smallILi2EdPKPdEEv13rocblas_fill_17rocblas_diagonal_T1_iil,comdat
	.globl	_ZN9rocsolver6v33100L18trti2_kernel_smallILi2EdPKPdEEv13rocblas_fill_17rocblas_diagonal_T1_iil ; -- Begin function _ZN9rocsolver6v33100L18trti2_kernel_smallILi2EdPKPdEEv13rocblas_fill_17rocblas_diagonal_T1_iil
	.p2align	8
	.type	_ZN9rocsolver6v33100L18trti2_kernel_smallILi2EdPKPdEEv13rocblas_fill_17rocblas_diagonal_T1_iil,@function
_ZN9rocsolver6v33100L18trti2_kernel_smallILi2EdPKPdEEv13rocblas_fill_17rocblas_diagonal_T1_iil: ; @_ZN9rocsolver6v33100L18trti2_kernel_smallILi2EdPKPdEEv13rocblas_fill_17rocblas_diagonal_T1_iil
; %bb.0:
	v_cmp_gt_u32_e32 vcc, 2, v0
	s_and_saveexec_b64 s[4:5], vcc
	s_cbranch_execz .LBB65_20
; %bb.1:
	s_load_dwordx2 s[8:9], s[0:1], 0x10
	s_load_dwordx4 s[4:7], s[0:1], 0x0
	s_ashr_i32 s3, s2, 31
	s_lshl_b64 s[0:1], s[2:3], 3
	v_mov_b32_e32 v11, 0
	s_waitcnt lgkmcnt(0)
	s_ashr_i32 s3, s8, 31
	s_add_u32 s0, s6, s0
	s_addc_u32 s1, s7, s1
	s_load_dwordx2 s[0:1], s[0:1], 0x0
	s_mov_b32 s2, s8
	s_lshl_b64 s[2:3], s[2:3], 3
	v_lshlrev_b32_e32 v10, 3, v0
	v_mov_b64_e32 v[12:13], -1.0
	s_waitcnt lgkmcnt(0)
	s_add_u32 s0, s0, s2
	s_addc_u32 s1, s1, s3
	s_ashr_i32 s3, s9, 31
	v_lshl_add_u64 v[6:7], s[0:1], 0, v[10:11]
	s_mov_b32 s2, s9
	v_lshl_add_u64 v[8:9], s[2:3], 3, v[6:7]
	flat_load_dwordx2 v[2:3], v[6:7]
	flat_load_dwordx2 v[4:5], v[8:9]
	s_cmpk_lg_i32 s5, 0x84
	s_cselect_b64 s[2:3], -1, 0
	s_cmpk_eq_i32 s5, 0x84
	s_cbranch_scc1 .LBB65_3
; %bb.2:
	v_cmp_eq_u32_e64 s[0:1], 1, v0
	s_waitcnt vmcnt(0) lgkmcnt(0)
	s_nop 0
	v_cndmask_b32_e64 v13, v3, v5, s[0:1]
	v_cndmask_b32_e64 v12, v2, v4, s[0:1]
	v_div_scale_f64 v[14:15], s[6:7], v[12:13], v[12:13], 1.0
	v_rcp_f64_e32 v[16:17], v[14:15]
	s_nop 0
	v_fma_f64 v[18:19], -v[14:15], v[16:17], 1.0
	v_fmac_f64_e32 v[16:17], v[16:17], v[18:19]
	v_fma_f64 v[18:19], -v[14:15], v[16:17], 1.0
	v_fmac_f64_e32 v[16:17], v[16:17], v[18:19]
	v_div_scale_f64 v[18:19], vcc, 1.0, v[12:13], 1.0
	v_mul_f64 v[20:21], v[18:19], v[16:17]
	v_fma_f64 v[14:15], -v[14:15], v[20:21], v[18:19]
	s_nop 1
	v_div_fmas_f64 v[14:15], v[14:15], v[16:17], v[20:21]
	v_div_fixup_f64 v[12:13], v[14:15], v[12:13], 1.0
	v_cmp_eq_u32_e32 vcc, 0, v0
	v_cndmask_b32_e64 v5, v5, v13, s[0:1]
	v_cndmask_b32_e64 v4, v4, v12, s[0:1]
	v_cndmask_b32_e32 v3, v3, v13, vcc
	v_cndmask_b32_e32 v2, v2, v12, vcc
	v_xor_b32_e32 v13, 0x80000000, v13
.LBB65_3:
	ds_write_b64 v10, v[12:13]
	s_cmpk_eq_i32 s4, 0x79
	v_add_u32_e32 v12, 16, v10
	s_cbranch_scc1 .LBB65_7
; %bb.4:
	s_waitcnt vmcnt(0) lgkmcnt(0)
	v_mov_b64_e32 v[16:17], v[4:5]
	v_cmp_eq_u32_e32 vcc, 1, v0
	v_mov_b64_e32 v[14:15], v[2:3]
	ds_write_b64 v12, v[2:3]
	s_waitcnt lgkmcnt(0)
	; wave barrier
	s_and_saveexec_b64 s[0:1], vcc
	s_cbranch_execz .LBB65_11
; %bb.5:
	s_and_b64 vcc, exec, s[2:3]
	s_cbranch_vccz .LBB65_8
; %bb.6:
	ds_read_b64 v[10:11], v12
	v_cmp_eq_u32_e32 vcc, 1, v0
	s_nop 1
	v_cndmask_b32_e32 v15, v3, v5, vcc
	v_cndmask_b32_e32 v14, v2, v4, vcc
	s_waitcnt lgkmcnt(0)
	v_mul_f64 v[10:11], v[14:15], v[10:11]
	s_cbranch_execz .LBB65_9
	s_branch .LBB65_10
.LBB65_7:
                                        ; implicit-def: $vgpr14_vgpr15_vgpr16_vgpr17
	s_branch .LBB65_12
.LBB65_8:
                                        ; implicit-def: $vgpr10_vgpr11
.LBB65_9:
	ds_read_b64 v[10:11], v12
.LBB65_10:
	v_mov_b32_e32 v1, 0
	ds_read_b64 v[18:19], v1
	v_mov_b64_e32 v[16:17], v[4:5]
	v_mov_b64_e32 v[14:15], v[2:3]
	s_waitcnt lgkmcnt(0)
	v_mul_f64 v[10:11], v[10:11], v[18:19]
	v_mov_b32_e32 v14, v10
	v_mov_b32_e32 v15, v11
.LBB65_11:
	s_or_b64 exec, exec, s[0:1]
	s_cbranch_execnz .LBB65_19
.LBB65_12:
	v_cmp_eq_u32_e32 vcc, 0, v0
	s_waitcnt vmcnt(0) lgkmcnt(0)
	ds_write_b64 v12, v[4:5]
	s_waitcnt lgkmcnt(0)
	; wave barrier
	s_and_saveexec_b64 s[0:1], vcc
	s_cbranch_execz .LBB65_18
; %bb.13:
	s_and_b64 vcc, exec, s[2:3]
	s_cbranch_vccz .LBB65_15
; %bb.14:
	ds_read_b64 v[10:11], v12
	v_cmp_eq_u32_e32 vcc, 1, v0
	s_nop 1
	v_cndmask_b32_e32 v1, v3, v5, vcc
	v_cndmask_b32_e32 v0, v2, v4, vcc
	s_waitcnt lgkmcnt(0)
	v_mul_f64 v[0:1], v[0:1], v[10:11]
	s_cbranch_execz .LBB65_16
	s_branch .LBB65_17
.LBB65_15:
                                        ; implicit-def: $vgpr0_vgpr1
.LBB65_16:
	ds_read_b64 v[0:1], v12
.LBB65_17:
	v_mov_b32_e32 v4, 0
	ds_read_b64 v[4:5], v4 offset:8
	s_waitcnt lgkmcnt(0)
	v_mul_f64 v[4:5], v[0:1], v[4:5]
.LBB65_18:
	s_or_b64 exec, exec, s[0:1]
	v_mov_b64_e32 v[16:17], v[4:5]
	v_mov_b64_e32 v[14:15], v[2:3]
.LBB65_19:
	flat_store_dwordx2 v[6:7], v[14:15]
	flat_store_dwordx2 v[8:9], v[16:17]
.LBB65_20:
	s_endpgm
	.section	.rodata,"a",@progbits
	.p2align	6, 0x0
	.amdhsa_kernel _ZN9rocsolver6v33100L18trti2_kernel_smallILi2EdPKPdEEv13rocblas_fill_17rocblas_diagonal_T1_iil
		.amdhsa_group_segment_fixed_size 32
		.amdhsa_private_segment_fixed_size 0
		.amdhsa_kernarg_size 32
		.amdhsa_user_sgpr_count 2
		.amdhsa_user_sgpr_dispatch_ptr 0
		.amdhsa_user_sgpr_queue_ptr 0
		.amdhsa_user_sgpr_kernarg_segment_ptr 1
		.amdhsa_user_sgpr_dispatch_id 0
		.amdhsa_user_sgpr_kernarg_preload_length 0
		.amdhsa_user_sgpr_kernarg_preload_offset 0
		.amdhsa_user_sgpr_private_segment_size 0
		.amdhsa_uses_dynamic_stack 0
		.amdhsa_enable_private_segment 0
		.amdhsa_system_sgpr_workgroup_id_x 1
		.amdhsa_system_sgpr_workgroup_id_y 0
		.amdhsa_system_sgpr_workgroup_id_z 0
		.amdhsa_system_sgpr_workgroup_info 0
		.amdhsa_system_vgpr_workitem_id 0
		.amdhsa_next_free_vgpr 22
		.amdhsa_next_free_sgpr 10
		.amdhsa_accum_offset 24
		.amdhsa_reserve_vcc 1
		.amdhsa_float_round_mode_32 0
		.amdhsa_float_round_mode_16_64 0
		.amdhsa_float_denorm_mode_32 3
		.amdhsa_float_denorm_mode_16_64 3
		.amdhsa_dx10_clamp 1
		.amdhsa_ieee_mode 1
		.amdhsa_fp16_overflow 0
		.amdhsa_tg_split 0
		.amdhsa_exception_fp_ieee_invalid_op 0
		.amdhsa_exception_fp_denorm_src 0
		.amdhsa_exception_fp_ieee_div_zero 0
		.amdhsa_exception_fp_ieee_overflow 0
		.amdhsa_exception_fp_ieee_underflow 0
		.amdhsa_exception_fp_ieee_inexact 0
		.amdhsa_exception_int_div_zero 0
	.end_amdhsa_kernel
	.section	.text._ZN9rocsolver6v33100L18trti2_kernel_smallILi2EdPKPdEEv13rocblas_fill_17rocblas_diagonal_T1_iil,"axG",@progbits,_ZN9rocsolver6v33100L18trti2_kernel_smallILi2EdPKPdEEv13rocblas_fill_17rocblas_diagonal_T1_iil,comdat
.Lfunc_end65:
	.size	_ZN9rocsolver6v33100L18trti2_kernel_smallILi2EdPKPdEEv13rocblas_fill_17rocblas_diagonal_T1_iil, .Lfunc_end65-_ZN9rocsolver6v33100L18trti2_kernel_smallILi2EdPKPdEEv13rocblas_fill_17rocblas_diagonal_T1_iil
                                        ; -- End function
	.set _ZN9rocsolver6v33100L18trti2_kernel_smallILi2EdPKPdEEv13rocblas_fill_17rocblas_diagonal_T1_iil.num_vgpr, 22
	.set _ZN9rocsolver6v33100L18trti2_kernel_smallILi2EdPKPdEEv13rocblas_fill_17rocblas_diagonal_T1_iil.num_agpr, 0
	.set _ZN9rocsolver6v33100L18trti2_kernel_smallILi2EdPKPdEEv13rocblas_fill_17rocblas_diagonal_T1_iil.numbered_sgpr, 10
	.set _ZN9rocsolver6v33100L18trti2_kernel_smallILi2EdPKPdEEv13rocblas_fill_17rocblas_diagonal_T1_iil.num_named_barrier, 0
	.set _ZN9rocsolver6v33100L18trti2_kernel_smallILi2EdPKPdEEv13rocblas_fill_17rocblas_diagonal_T1_iil.private_seg_size, 0
	.set _ZN9rocsolver6v33100L18trti2_kernel_smallILi2EdPKPdEEv13rocblas_fill_17rocblas_diagonal_T1_iil.uses_vcc, 1
	.set _ZN9rocsolver6v33100L18trti2_kernel_smallILi2EdPKPdEEv13rocblas_fill_17rocblas_diagonal_T1_iil.uses_flat_scratch, 0
	.set _ZN9rocsolver6v33100L18trti2_kernel_smallILi2EdPKPdEEv13rocblas_fill_17rocblas_diagonal_T1_iil.has_dyn_sized_stack, 0
	.set _ZN9rocsolver6v33100L18trti2_kernel_smallILi2EdPKPdEEv13rocblas_fill_17rocblas_diagonal_T1_iil.has_recursion, 0
	.set _ZN9rocsolver6v33100L18trti2_kernel_smallILi2EdPKPdEEv13rocblas_fill_17rocblas_diagonal_T1_iil.has_indirect_call, 0
	.section	.AMDGPU.csdata,"",@progbits
; Kernel info:
; codeLenInByte = 612
; TotalNumSgprs: 16
; NumVgprs: 22
; NumAgprs: 0
; TotalNumVgprs: 22
; ScratchSize: 0
; MemoryBound: 0
; FloatMode: 240
; IeeeMode: 1
; LDSByteSize: 32 bytes/workgroup (compile time only)
; SGPRBlocks: 1
; VGPRBlocks: 2
; NumSGPRsForWavesPerEU: 16
; NumVGPRsForWavesPerEU: 22
; AccumOffset: 24
; Occupancy: 8
; WaveLimiterHint : 1
; COMPUTE_PGM_RSRC2:SCRATCH_EN: 0
; COMPUTE_PGM_RSRC2:USER_SGPR: 2
; COMPUTE_PGM_RSRC2:TRAP_HANDLER: 0
; COMPUTE_PGM_RSRC2:TGID_X_EN: 1
; COMPUTE_PGM_RSRC2:TGID_Y_EN: 0
; COMPUTE_PGM_RSRC2:TGID_Z_EN: 0
; COMPUTE_PGM_RSRC2:TIDIG_COMP_CNT: 0
; COMPUTE_PGM_RSRC3_GFX90A:ACCUM_OFFSET: 5
; COMPUTE_PGM_RSRC3_GFX90A:TG_SPLIT: 0
	.section	.text._ZN9rocsolver6v33100L18trti2_kernel_smallILi3EdPKPdEEv13rocblas_fill_17rocblas_diagonal_T1_iil,"axG",@progbits,_ZN9rocsolver6v33100L18trti2_kernel_smallILi3EdPKPdEEv13rocblas_fill_17rocblas_diagonal_T1_iil,comdat
	.globl	_ZN9rocsolver6v33100L18trti2_kernel_smallILi3EdPKPdEEv13rocblas_fill_17rocblas_diagonal_T1_iil ; -- Begin function _ZN9rocsolver6v33100L18trti2_kernel_smallILi3EdPKPdEEv13rocblas_fill_17rocblas_diagonal_T1_iil
	.p2align	8
	.type	_ZN9rocsolver6v33100L18trti2_kernel_smallILi3EdPKPdEEv13rocblas_fill_17rocblas_diagonal_T1_iil,@function
_ZN9rocsolver6v33100L18trti2_kernel_smallILi3EdPKPdEEv13rocblas_fill_17rocblas_diagonal_T1_iil: ; @_ZN9rocsolver6v33100L18trti2_kernel_smallILi3EdPKPdEEv13rocblas_fill_17rocblas_diagonal_T1_iil
; %bb.0:
	v_cmp_gt_u32_e32 vcc, 3, v0
	s_and_saveexec_b64 s[4:5], vcc
	s_cbranch_execz .LBB66_32
; %bb.1:
	s_load_dwordx2 s[8:9], s[0:1], 0x10
	s_load_dwordx4 s[4:7], s[0:1], 0x0
	s_ashr_i32 s3, s2, 31
	s_lshl_b64 s[0:1], s[2:3], 3
	v_mov_b32_e32 v9, 0
	s_waitcnt lgkmcnt(0)
	s_ashr_i32 s3, s8, 31
	s_add_u32 s0, s6, s0
	s_addc_u32 s1, s7, s1
	s_load_dwordx2 s[0:1], s[0:1], 0x0
	s_mov_b32 s2, s8
	s_lshl_b64 s[2:3], s[2:3], 3
	v_lshlrev_b32_e32 v8, 3, v0
	v_mov_b64_e32 v[10:11], -1.0
	s_waitcnt lgkmcnt(0)
	s_add_u32 s0, s0, s2
	s_addc_u32 s1, s1, s3
	s_ashr_i32 s3, s9, 31
	v_lshl_add_u64 v[14:15], s[0:1], 0, v[8:9]
	s_mov_b32 s2, s9
	v_lshl_add_u64 v[16:17], s[2:3], 3, v[14:15]
	s_add_i32 s2, s9, s9
	v_add_u32_e32 v2, s2, v0
	v_ashrrev_i32_e32 v3, 31, v2
	v_lshl_add_u64 v[18:19], v[2:3], 3, s[0:1]
	flat_load_dwordx2 v[2:3], v[14:15]
	flat_load_dwordx2 v[4:5], v[16:17]
	;; [unrolled: 1-line block ×3, first 2 shown]
	s_cmpk_lg_i32 s5, 0x84
	s_cselect_b64 s[6:7], -1, 0
	s_cmpk_eq_i32 s5, 0x84
	s_cbranch_scc1 .LBB66_3
; %bb.2:
	v_cmp_eq_u32_e64 s[0:1], 1, v0
	v_cmp_eq_u32_e64 s[2:3], 2, v0
	s_waitcnt vmcnt(0) lgkmcnt(0)
	v_cndmask_b32_e64 v1, v3, v5, s[0:1]
	v_cndmask_b32_e64 v11, v1, v7, s[2:3]
	;; [unrolled: 1-line block ×4, first 2 shown]
	v_div_scale_f64 v[12:13], s[8:9], v[10:11], v[10:11], 1.0
	v_rcp_f64_e32 v[20:21], v[12:13]
	s_nop 0
	v_fma_f64 v[22:23], -v[12:13], v[20:21], 1.0
	v_fmac_f64_e32 v[20:21], v[20:21], v[22:23]
	v_fma_f64 v[22:23], -v[12:13], v[20:21], 1.0
	v_fmac_f64_e32 v[20:21], v[20:21], v[22:23]
	v_div_scale_f64 v[22:23], vcc, 1.0, v[10:11], 1.0
	v_mul_f64 v[24:25], v[22:23], v[20:21]
	v_fma_f64 v[12:13], -v[12:13], v[24:25], v[22:23]
	s_nop 1
	v_div_fmas_f64 v[12:13], v[12:13], v[20:21], v[24:25]
	v_div_fixup_f64 v[10:11], v[12:13], v[10:11], 1.0
	v_cmp_eq_u32_e32 vcc, 0, v0
	v_cndmask_b32_e64 v7, v7, v11, s[2:3]
	v_cndmask_b32_e64 v6, v6, v10, s[2:3]
	;; [unrolled: 1-line block ×4, first 2 shown]
	v_cndmask_b32_e32 v3, v3, v11, vcc
	v_cndmask_b32_e32 v2, v2, v10, vcc
	v_xor_b32_e32 v11, 0x80000000, v11
.LBB66_3:
	s_cmpk_eq_i32 s4, 0x79
	v_add_u32_e32 v22, 32, v8
	s_waitcnt vmcnt(0) lgkmcnt(0)
	ds_write2_b64 v8, v[10:11], v[4:5] offset1:4
	s_waitcnt lgkmcnt(0)
	s_cbranch_scc1 .LBB66_7
; %bb.4:
	v_mov_b64_e32 v[12:13], v[6:7]
	v_cmp_eq_u32_e64 s[0:1], 2, v0
	v_mov_b64_e32 v[10:11], v[4:5]
	v_mov_b64_e32 v[8:9], v[2:3]
	; wave barrier
	s_and_saveexec_b64 s[4:5], s[0:1]
	s_cbranch_execz .LBB66_11
; %bb.5:
	s_and_b64 vcc, exec, s[6:7]
	s_cbranch_vccz .LBB66_8
; %bb.6:
	ds_read_b64 v[8:9], v22
	v_cmp_eq_u32_e32 vcc, 1, v0
	v_cmp_eq_u32_e64 s[2:3], 2, v0
	s_nop 0
	v_cndmask_b32_e32 v1, v3, v5, vcc
	v_cndmask_b32_e64 v11, v1, v7, s[2:3]
	v_cndmask_b32_e32 v1, v2, v4, vcc
	v_cndmask_b32_e64 v10, v1, v6, s[2:3]
	s_waitcnt lgkmcnt(0)
	v_mul_f64 v[20:21], v[10:11], v[8:9]
	s_cbranch_execz .LBB66_9
	s_branch .LBB66_10
.LBB66_7:
                                        ; implicit-def: $vgpr8_vgpr9_vgpr10_vgpr11_vgpr12_vgpr13
	s_cbranch_execnz .LBB66_18
	s_branch .LBB66_31
.LBB66_8:
                                        ; implicit-def: $vgpr20_vgpr21
.LBB66_9:
	ds_read_b64 v[20:21], v22
.LBB66_10:
	v_mov_b32_e32 v1, 0
	ds_read_b64 v[24:25], v1 offset:8
	v_mov_b64_e32 v[12:13], v[6:7]
	v_mov_b64_e32 v[10:11], v[4:5]
	;; [unrolled: 1-line block ×3, first 2 shown]
	s_waitcnt lgkmcnt(0)
	v_mul_f64 v[10:11], v[20:21], v[24:25]
.LBB66_11:
	s_or_b64 exec, exec, s[4:5]
	v_cmp_ne_u32_e32 vcc, 0, v0
	ds_write_b64 v22, v[8:9]
	s_waitcnt lgkmcnt(0)
	; wave barrier
	s_and_saveexec_b64 s[4:5], vcc
	s_cbranch_execz .LBB66_17
; %bb.12:
	s_andn2_b64 vcc, exec, s[6:7]
	s_cbranch_vccnz .LBB66_14
; %bb.13:
	ds_read_b64 v[20:21], v22
	v_cmp_eq_u32_e32 vcc, 1, v0
	v_cmp_eq_u32_e64 s[2:3], 2, v0
	s_nop 0
	v_cndmask_b32_e32 v1, v9, v11, vcc
	v_cndmask_b32_e64 v9, v1, v13, s[2:3]
	v_cndmask_b32_e32 v1, v8, v10, vcc
	v_cndmask_b32_e64 v8, v1, v12, s[2:3]
	s_waitcnt lgkmcnt(0)
	v_mul_f64 v[8:9], v[8:9], v[20:21]
	s_cbranch_execz .LBB66_15
	s_branch .LBB66_16
.LBB66_14:
                                        ; implicit-def: $vgpr8_vgpr9
.LBB66_15:
	ds_read_b64 v[8:9], v22
.LBB66_16:
	v_mov_b32_e32 v1, 0
	ds_read2_b64 v[24:27], v1 offset1:5
	s_waitcnt lgkmcnt(0)
	v_fma_f64 v[20:21], v[10:11], v[26:27], v[8:9]
	v_cndmask_b32_e64 v9, v9, v21, s[0:1]
	v_cndmask_b32_e64 v8, v8, v20, s[0:1]
	v_mul_f64 v[8:9], v[8:9], v[24:25]
.LBB66_17:
	s_or_b64 exec, exec, s[4:5]
	s_branch .LBB66_31
.LBB66_18:
	v_cmp_eq_u32_e64 s[0:1], 0, v0
	; wave barrier
	s_and_saveexec_b64 s[4:5], s[0:1]
	s_cbranch_execz .LBB66_24
; %bb.19:
	s_and_b64 vcc, exec, s[6:7]
	s_cbranch_vccz .LBB66_21
; %bb.20:
	ds_read_b64 v[8:9], v22
	v_cmp_eq_u32_e32 vcc, 1, v0
	v_cmp_eq_u32_e64 s[2:3], 2, v0
	s_nop 0
	v_cndmask_b32_e32 v1, v3, v5, vcc
	v_cndmask_b32_e64 v5, v1, v7, s[2:3]
	v_cndmask_b32_e32 v1, v2, v4, vcc
	v_cndmask_b32_e64 v4, v1, v6, s[2:3]
	s_waitcnt lgkmcnt(0)
	v_mul_f64 v[4:5], v[4:5], v[8:9]
	s_cbranch_execz .LBB66_22
	s_branch .LBB66_23
.LBB66_21:
                                        ; implicit-def: $vgpr4_vgpr5
.LBB66_22:
	ds_read_b64 v[4:5], v22
.LBB66_23:
	v_mov_b32_e32 v1, 0
	ds_read_b64 v[8:9], v1 offset:8
	s_waitcnt lgkmcnt(0)
	v_mul_f64 v[4:5], v[4:5], v[8:9]
.LBB66_24:
	s_or_b64 exec, exec, s[4:5]
	v_cmp_ne_u32_e32 vcc, 2, v0
	ds_write_b64 v22, v[6:7]
	s_waitcnt lgkmcnt(0)
	; wave barrier
	s_and_saveexec_b64 s[4:5], vcc
	s_cbranch_execz .LBB66_30
; %bb.25:
	s_andn2_b64 vcc, exec, s[6:7]
	s_cbranch_vccnz .LBB66_27
; %bb.26:
	ds_read_b64 v[8:9], v22
	v_cmp_eq_u32_e32 vcc, 1, v0
	v_cmp_eq_u32_e64 s[2:3], 2, v0
	s_nop 0
	v_cndmask_b32_e32 v1, v3, v5, vcc
	v_cndmask_b32_e32 v0, v2, v4, vcc
	v_cndmask_b32_e64 v1, v1, v7, s[2:3]
	v_cndmask_b32_e64 v0, v0, v6, s[2:3]
	s_waitcnt lgkmcnt(0)
	v_mul_f64 v[0:1], v[0:1], v[8:9]
	s_cbranch_execz .LBB66_28
	s_branch .LBB66_29
.LBB66_27:
                                        ; implicit-def: $vgpr0_vgpr1
.LBB66_28:
	ds_read_b64 v[0:1], v22
.LBB66_29:
	v_mov_b32_e32 v6, 0
	ds_read2_b64 v[6:9], v6 offset0:2 offset1:5
	s_waitcnt lgkmcnt(0)
	v_fma_f64 v[8:9], v[4:5], v[8:9], v[0:1]
	v_cndmask_b32_e64 v1, v1, v9, s[0:1]
	v_cndmask_b32_e64 v0, v0, v8, s[0:1]
	v_mul_f64 v[6:7], v[0:1], v[6:7]
.LBB66_30:
	s_or_b64 exec, exec, s[4:5]
	v_mov_b64_e32 v[12:13], v[6:7]
	v_mov_b64_e32 v[10:11], v[4:5]
	v_mov_b64_e32 v[8:9], v[2:3]
.LBB66_31:
	flat_store_dwordx2 v[14:15], v[8:9]
	flat_store_dwordx2 v[16:17], v[10:11]
	flat_store_dwordx2 v[18:19], v[12:13]
.LBB66_32:
	s_endpgm
	.section	.rodata,"a",@progbits
	.p2align	6, 0x0
	.amdhsa_kernel _ZN9rocsolver6v33100L18trti2_kernel_smallILi3EdPKPdEEv13rocblas_fill_17rocblas_diagonal_T1_iil
		.amdhsa_group_segment_fixed_size 56
		.amdhsa_private_segment_fixed_size 0
		.amdhsa_kernarg_size 32
		.amdhsa_user_sgpr_count 2
		.amdhsa_user_sgpr_dispatch_ptr 0
		.amdhsa_user_sgpr_queue_ptr 0
		.amdhsa_user_sgpr_kernarg_segment_ptr 1
		.amdhsa_user_sgpr_dispatch_id 0
		.amdhsa_user_sgpr_kernarg_preload_length 0
		.amdhsa_user_sgpr_kernarg_preload_offset 0
		.amdhsa_user_sgpr_private_segment_size 0
		.amdhsa_uses_dynamic_stack 0
		.amdhsa_enable_private_segment 0
		.amdhsa_system_sgpr_workgroup_id_x 1
		.amdhsa_system_sgpr_workgroup_id_y 0
		.amdhsa_system_sgpr_workgroup_id_z 0
		.amdhsa_system_sgpr_workgroup_info 0
		.amdhsa_system_vgpr_workitem_id 0
		.amdhsa_next_free_vgpr 28
		.amdhsa_next_free_sgpr 10
		.amdhsa_accum_offset 28
		.amdhsa_reserve_vcc 1
		.amdhsa_float_round_mode_32 0
		.amdhsa_float_round_mode_16_64 0
		.amdhsa_float_denorm_mode_32 3
		.amdhsa_float_denorm_mode_16_64 3
		.amdhsa_dx10_clamp 1
		.amdhsa_ieee_mode 1
		.amdhsa_fp16_overflow 0
		.amdhsa_tg_split 0
		.amdhsa_exception_fp_ieee_invalid_op 0
		.amdhsa_exception_fp_denorm_src 0
		.amdhsa_exception_fp_ieee_div_zero 0
		.amdhsa_exception_fp_ieee_overflow 0
		.amdhsa_exception_fp_ieee_underflow 0
		.amdhsa_exception_fp_ieee_inexact 0
		.amdhsa_exception_int_div_zero 0
	.end_amdhsa_kernel
	.section	.text._ZN9rocsolver6v33100L18trti2_kernel_smallILi3EdPKPdEEv13rocblas_fill_17rocblas_diagonal_T1_iil,"axG",@progbits,_ZN9rocsolver6v33100L18trti2_kernel_smallILi3EdPKPdEEv13rocblas_fill_17rocblas_diagonal_T1_iil,comdat
.Lfunc_end66:
	.size	_ZN9rocsolver6v33100L18trti2_kernel_smallILi3EdPKPdEEv13rocblas_fill_17rocblas_diagonal_T1_iil, .Lfunc_end66-_ZN9rocsolver6v33100L18trti2_kernel_smallILi3EdPKPdEEv13rocblas_fill_17rocblas_diagonal_T1_iil
                                        ; -- End function
	.set _ZN9rocsolver6v33100L18trti2_kernel_smallILi3EdPKPdEEv13rocblas_fill_17rocblas_diagonal_T1_iil.num_vgpr, 28
	.set _ZN9rocsolver6v33100L18trti2_kernel_smallILi3EdPKPdEEv13rocblas_fill_17rocblas_diagonal_T1_iil.num_agpr, 0
	.set _ZN9rocsolver6v33100L18trti2_kernel_smallILi3EdPKPdEEv13rocblas_fill_17rocblas_diagonal_T1_iil.numbered_sgpr, 10
	.set _ZN9rocsolver6v33100L18trti2_kernel_smallILi3EdPKPdEEv13rocblas_fill_17rocblas_diagonal_T1_iil.num_named_barrier, 0
	.set _ZN9rocsolver6v33100L18trti2_kernel_smallILi3EdPKPdEEv13rocblas_fill_17rocblas_diagonal_T1_iil.private_seg_size, 0
	.set _ZN9rocsolver6v33100L18trti2_kernel_smallILi3EdPKPdEEv13rocblas_fill_17rocblas_diagonal_T1_iil.uses_vcc, 1
	.set _ZN9rocsolver6v33100L18trti2_kernel_smallILi3EdPKPdEEv13rocblas_fill_17rocblas_diagonal_T1_iil.uses_flat_scratch, 0
	.set _ZN9rocsolver6v33100L18trti2_kernel_smallILi3EdPKPdEEv13rocblas_fill_17rocblas_diagonal_T1_iil.has_dyn_sized_stack, 0
	.set _ZN9rocsolver6v33100L18trti2_kernel_smallILi3EdPKPdEEv13rocblas_fill_17rocblas_diagonal_T1_iil.has_recursion, 0
	.set _ZN9rocsolver6v33100L18trti2_kernel_smallILi3EdPKPdEEv13rocblas_fill_17rocblas_diagonal_T1_iil.has_indirect_call, 0
	.section	.AMDGPU.csdata,"",@progbits
; Kernel info:
; codeLenInByte = 1044
; TotalNumSgprs: 16
; NumVgprs: 28
; NumAgprs: 0
; TotalNumVgprs: 28
; ScratchSize: 0
; MemoryBound: 0
; FloatMode: 240
; IeeeMode: 1
; LDSByteSize: 56 bytes/workgroup (compile time only)
; SGPRBlocks: 1
; VGPRBlocks: 3
; NumSGPRsForWavesPerEU: 16
; NumVGPRsForWavesPerEU: 28
; AccumOffset: 28
; Occupancy: 8
; WaveLimiterHint : 1
; COMPUTE_PGM_RSRC2:SCRATCH_EN: 0
; COMPUTE_PGM_RSRC2:USER_SGPR: 2
; COMPUTE_PGM_RSRC2:TRAP_HANDLER: 0
; COMPUTE_PGM_RSRC2:TGID_X_EN: 1
; COMPUTE_PGM_RSRC2:TGID_Y_EN: 0
; COMPUTE_PGM_RSRC2:TGID_Z_EN: 0
; COMPUTE_PGM_RSRC2:TIDIG_COMP_CNT: 0
; COMPUTE_PGM_RSRC3_GFX90A:ACCUM_OFFSET: 6
; COMPUTE_PGM_RSRC3_GFX90A:TG_SPLIT: 0
	.section	.text._ZN9rocsolver6v33100L18trti2_kernel_smallILi4EdPKPdEEv13rocblas_fill_17rocblas_diagonal_T1_iil,"axG",@progbits,_ZN9rocsolver6v33100L18trti2_kernel_smallILi4EdPKPdEEv13rocblas_fill_17rocblas_diagonal_T1_iil,comdat
	.globl	_ZN9rocsolver6v33100L18trti2_kernel_smallILi4EdPKPdEEv13rocblas_fill_17rocblas_diagonal_T1_iil ; -- Begin function _ZN9rocsolver6v33100L18trti2_kernel_smallILi4EdPKPdEEv13rocblas_fill_17rocblas_diagonal_T1_iil
	.p2align	8
	.type	_ZN9rocsolver6v33100L18trti2_kernel_smallILi4EdPKPdEEv13rocblas_fill_17rocblas_diagonal_T1_iil,@function
_ZN9rocsolver6v33100L18trti2_kernel_smallILi4EdPKPdEEv13rocblas_fill_17rocblas_diagonal_T1_iil: ; @_ZN9rocsolver6v33100L18trti2_kernel_smallILi4EdPKPdEEv13rocblas_fill_17rocblas_diagonal_T1_iil
; %bb.0:
	v_cmp_gt_u32_e32 vcc, 4, v0
	s_and_saveexec_b64 s[4:5], vcc
	s_cbranch_execz .LBB67_56
; %bb.1:
	s_load_dwordx2 s[4:5], s[0:1], 0x10
	s_load_dwordx4 s[8:11], s[0:1], 0x0
	s_ashr_i32 s3, s2, 31
	s_lshl_b64 s[0:1], s[2:3], 3
	v_mov_b32_e32 v11, 0
	s_waitcnt lgkmcnt(0)
	s_ashr_i32 s3, s4, 31
	s_add_u32 s0, s10, s0
	s_addc_u32 s1, s11, s1
	s_load_dwordx2 s[0:1], s[0:1], 0x0
	s_mov_b32 s2, s4
	s_lshl_b64 s[2:3], s[2:3], 3
	v_lshlrev_b32_e32 v10, 3, v0
	v_mov_b64_e32 v[12:13], -1.0
	s_waitcnt lgkmcnt(0)
	s_add_u32 s0, s0, s2
	s_addc_u32 s1, s1, s3
	s_ashr_i32 s3, s5, 31
	v_lshl_add_u64 v[18:19], s[0:1], 0, v[10:11]
	s_mov_b32 s2, s5
	v_lshl_add_u64 v[20:21], s[2:3], 3, v[18:19]
	s_add_i32 s2, s5, s5
	v_add_u32_e32 v2, s2, v0
	v_ashrrev_i32_e32 v3, 31, v2
	v_lshl_add_u64 v[22:23], v[2:3], 3, s[0:1]
	v_add_u32_e32 v2, s5, v2
	v_ashrrev_i32_e32 v3, 31, v2
	v_lshl_add_u64 v[24:25], v[2:3], 3, s[0:1]
	flat_load_dwordx2 v[2:3], v[18:19]
	flat_load_dwordx2 v[4:5], v[20:21]
	flat_load_dwordx2 v[6:7], v[22:23]
	flat_load_dwordx2 v[8:9], v[24:25]
	s_cmpk_lg_i32 s9, 0x84
	s_cselect_b64 s[10:11], -1, 0
	s_cmpk_eq_i32 s9, 0x84
	s_cbranch_scc1 .LBB67_3
; %bb.2:
	v_cmp_eq_u32_e64 s[0:1], 1, v0
	v_cmp_eq_u32_e64 s[2:3], 2, v0
	;; [unrolled: 1-line block ×3, first 2 shown]
	s_waitcnt vmcnt(0) lgkmcnt(0)
	v_cndmask_b32_e64 v1, v3, v5, s[0:1]
	v_cndmask_b32_e64 v1, v1, v7, s[2:3]
	v_cndmask_b32_e64 v13, v1, v9, s[4:5]
	v_cndmask_b32_e64 v1, v2, v4, s[0:1]
	v_cndmask_b32_e64 v1, v1, v6, s[2:3]
	v_cndmask_b32_e64 v12, v1, v8, s[4:5]
	v_div_scale_f64 v[14:15], s[6:7], v[12:13], v[12:13], 1.0
	v_rcp_f64_e32 v[16:17], v[14:15]
	s_nop 0
	v_fma_f64 v[26:27], -v[14:15], v[16:17], 1.0
	v_fmac_f64_e32 v[16:17], v[16:17], v[26:27]
	v_fma_f64 v[26:27], -v[14:15], v[16:17], 1.0
	v_fmac_f64_e32 v[16:17], v[16:17], v[26:27]
	v_div_scale_f64 v[26:27], vcc, 1.0, v[12:13], 1.0
	v_mul_f64 v[28:29], v[26:27], v[16:17]
	v_fma_f64 v[14:15], -v[14:15], v[28:29], v[26:27]
	s_nop 1
	v_div_fmas_f64 v[14:15], v[14:15], v[16:17], v[28:29]
	v_div_fixup_f64 v[12:13], v[14:15], v[12:13], 1.0
	v_cmp_eq_u32_e32 vcc, 0, v0
	v_cndmask_b32_e64 v9, v9, v13, s[4:5]
	v_cndmask_b32_e64 v8, v8, v12, s[4:5]
	;; [unrolled: 1-line block ×6, first 2 shown]
	v_cndmask_b32_e32 v3, v3, v13, vcc
	v_cndmask_b32_e32 v2, v2, v12, vcc
	v_xor_b32_e32 v13, 0x80000000, v13
.LBB67_3:
	s_cmpk_eq_i32 s8, 0x79
	v_add_u32_e32 v1, 32, v10
	ds_write_b64 v10, v[12:13]
	s_cbranch_scc1 .LBB67_7
; %bb.4:
	s_waitcnt vmcnt(0) lgkmcnt(0)
	v_mov_b64_e32 v[16:17], v[8:9]
	v_cmp_eq_u32_e64 s[2:3], 3, v0
	v_mov_b64_e32 v[14:15], v[6:7]
	v_mov_b64_e32 v[12:13], v[4:5]
	v_mov_b64_e32 v[10:11], v[2:3]
	ds_write_b64 v1, v[6:7]
	s_waitcnt lgkmcnt(0)
	; wave barrier
	s_and_saveexec_b64 s[6:7], s[2:3]
	s_cbranch_execz .LBB67_11
; %bb.5:
	s_and_b64 vcc, exec, s[10:11]
	s_cbranch_vccz .LBB67_8
; %bb.6:
	v_cmp_eq_u32_e32 vcc, 1, v0
	v_cmp_eq_u32_e64 s[0:1], 2, v0
	v_cmp_eq_u32_e64 s[4:5], 3, v0
	v_cndmask_b32_e32 v10, v3, v5, vcc
	v_cndmask_b32_e64 v12, v10, v7, s[0:1]
	ds_read_b64 v[10:11], v1
	v_cndmask_b32_e64 v13, v12, v9, s[4:5]
	v_cndmask_b32_e32 v12, v2, v4, vcc
	v_cndmask_b32_e64 v12, v12, v6, s[0:1]
	v_cndmask_b32_e64 v12, v12, v8, s[4:5]
	s_waitcnt lgkmcnt(0)
	v_mul_f64 v[26:27], v[12:13], v[10:11]
	s_cbranch_execz .LBB67_9
	s_branch .LBB67_10
.LBB67_7:
                                        ; implicit-def: $vgpr10_vgpr11_vgpr12_vgpr13_vgpr14_vgpr15_vgpr16_vgpr17
	s_cbranch_execnz .LBB67_34
	s_branch .LBB67_55
.LBB67_8:
                                        ; implicit-def: $vgpr26_vgpr27
.LBB67_9:
	ds_read_b64 v[26:27], v1
.LBB67_10:
	v_mov_b32_e32 v10, 0
	ds_read_b64 v[28:29], v10 offset:16
	v_mov_b64_e32 v[16:17], v[8:9]
	v_mov_b64_e32 v[14:15], v[6:7]
	;; [unrolled: 1-line block ×4, first 2 shown]
	s_waitcnt lgkmcnt(0)
	v_mul_f64 v[14:15], v[26:27], v[28:29]
.LBB67_11:
	s_or_b64 exec, exec, s[6:7]
	v_cmp_lt_u32_e64 s[0:1], 1, v0
	ds_write_b64 v1, v[12:13]
	s_waitcnt lgkmcnt(0)
	; wave barrier
	s_and_saveexec_b64 s[8:9], s[0:1]
	s_cbranch_execz .LBB67_17
; %bb.12:
	s_andn2_b64 vcc, exec, s[10:11]
	s_cbranch_vccnz .LBB67_14
; %bb.13:
	ds_read_b64 v[26:27], v1
	v_cmp_eq_u32_e32 vcc, 1, v0
	v_cmp_eq_u32_e64 s[4:5], 2, v0
	v_cmp_eq_u32_e64 s[6:7], 3, v0
	v_cndmask_b32_e32 v13, v11, v13, vcc
	v_cndmask_b32_e32 v12, v10, v12, vcc
	v_cndmask_b32_e64 v13, v13, v15, s[4:5]
	v_cndmask_b32_e64 v12, v12, v14, s[4:5]
	;; [unrolled: 1-line block ×4, first 2 shown]
	s_waitcnt lgkmcnt(0)
	v_mul_f64 v[12:13], v[12:13], v[26:27]
	s_cbranch_execz .LBB67_15
	s_branch .LBB67_16
.LBB67_14:
                                        ; implicit-def: $vgpr12_vgpr13
.LBB67_15:
	ds_read_b64 v[12:13], v1
.LBB67_16:
	v_mov_b32_e32 v26, 0
	ds_read2_b64 v[26:29], v26 offset0:1 offset1:6
	s_waitcnt lgkmcnt(0)
	v_fma_f64 v[28:29], v[14:15], v[28:29], v[12:13]
	v_cndmask_b32_e64 v13, v13, v29, s[2:3]
	v_cndmask_b32_e64 v12, v12, v28, s[2:3]
	v_mul_f64 v[12:13], v[12:13], v[26:27]
.LBB67_17:
	s_or_b64 exec, exec, s[8:9]
	v_cmp_ne_u32_e32 vcc, 0, v0
	ds_write_b64 v1, v[10:11]
	s_waitcnt lgkmcnt(0)
	; wave barrier
	s_and_saveexec_b64 s[6:7], vcc
	s_cbranch_execz .LBB67_33
; %bb.18:
	s_andn2_b64 vcc, exec, s[10:11]
	s_cbranch_vccnz .LBB67_20
; %bb.19:
	v_cmp_eq_u32_e32 vcc, 1, v0
	v_cmp_eq_u32_e64 s[2:3], 2, v0
	v_cmp_eq_u32_e64 s[4:5], 3, v0
	v_cndmask_b32_e32 v26, v11, v13, vcc
	v_cndmask_b32_e64 v28, v26, v15, s[2:3]
	ds_read_b64 v[26:27], v1
	v_cndmask_b32_e64 v29, v28, v17, s[4:5]
	v_cndmask_b32_e32 v28, v10, v12, vcc
	v_cndmask_b32_e64 v28, v28, v14, s[2:3]
	v_cndmask_b32_e64 v28, v28, v16, s[4:5]
	s_waitcnt lgkmcnt(0)
	v_mul_f64 v[26:27], v[28:29], v[26:27]
	s_cbranch_execz .LBB67_21
	s_branch .LBB67_22
.LBB67_20:
                                        ; implicit-def: $vgpr26_vgpr27
.LBB67_21:
	ds_read_b64 v[26:27], v1
.LBB67_22:
	s_and_saveexec_b64 s[4:5], s[0:1]
	s_cbranch_execz .LBB67_32
; %bb.23:
	v_add_u32_e32 v28, -2, v0
	v_add_u32_e32 v29, -1, v0
	v_cmp_lt_u32_e32 vcc, 6, v28
	v_mov_b32_e32 v30, 1
	s_and_saveexec_b64 s[2:3], vcc
	s_cbranch_execz .LBB67_27
; %bb.24:
	v_and_b32_e32 v28, -8, v29
	v_sub_u32_e32 v28, 0, v28
	s_mov_b64 s[8:9], 8
	s_mov_b32 s14, 40
	s_mov_b64 s[12:13], 0
.LBB67_25:                              ; =>This Inner Loop Header: Depth=1
	s_add_i32 s15, s8, -7
	s_cmp_eq_u32 s15, 1
	s_cselect_b64 vcc, -1, 0
	s_cmp_eq_u32 s15, 2
	v_cndmask_b32_e32 v46, v11, v13, vcc
	s_cselect_b64 s[0:1], -1, 0
	s_cmp_eq_u32 s15, 3
	v_mov_b32_e32 v42, s14
	v_cndmask_b32_e64 v46, v46, v15, s[0:1]
	v_cndmask_b32_e32 v48, v10, v12, vcc
	s_cselect_b64 vcc, -1, 0
	s_add_i32 s15, s8, -6
	ds_read2_b64 v[30:33], v42 offset1:1
	ds_read2_b64 v[34:37], v42 offset0:2 offset1:3
	ds_read2_b64 v[38:41], v42 offset0:4 offset1:5
	;; [unrolled: 1-line block ×3, first 2 shown]
	v_cndmask_b32_e32 v47, v46, v17, vcc
	v_cndmask_b32_e64 v46, v48, v14, s[0:1]
	s_cmp_eq_u32 s15, 1
	v_cndmask_b32_e32 v46, v46, v16, vcc
	s_cselect_b64 vcc, -1, 0
	s_cmp_eq_u32 s15, 2
	s_waitcnt lgkmcnt(3)
	v_fmac_f64_e32 v[26:27], v[46:47], v[30:31]
	v_cndmask_b32_e32 v30, v11, v13, vcc
	s_cselect_b64 s[0:1], -1, 0
	s_cmp_eq_u32 s15, 3
	v_cndmask_b32_e64 v30, v30, v15, s[0:1]
	v_cndmask_b32_e32 v46, v10, v12, vcc
	s_cselect_b64 vcc, -1, 0
	s_add_i32 s15, s8, -5
	v_cndmask_b32_e32 v31, v30, v17, vcc
	v_cndmask_b32_e64 v30, v46, v14, s[0:1]
	s_cmp_eq_u32 s15, 1
	v_cndmask_b32_e32 v30, v30, v16, vcc
	s_cselect_b64 vcc, -1, 0
	s_cmp_eq_u32 s15, 2
	v_fmac_f64_e32 v[26:27], v[30:31], v[32:33]
	v_cndmask_b32_e32 v30, v11, v13, vcc
	s_cselect_b64 s[0:1], -1, 0
	s_cmp_eq_u32 s15, 3
	v_cndmask_b32_e64 v30, v30, v15, s[0:1]
	v_cndmask_b32_e32 v32, v10, v12, vcc
	s_cselect_b64 vcc, -1, 0
	s_add_i32 s15, s8, -4
	v_cndmask_b32_e32 v31, v30, v17, vcc
	v_cndmask_b32_e64 v30, v32, v14, s[0:1]
	s_cmp_eq_u32 s15, 1
	v_cndmask_b32_e32 v30, v30, v16, vcc
	s_cselect_b64 vcc, -1, 0
	s_cmp_eq_u32 s15, 2
	s_waitcnt lgkmcnt(2)
	v_fmac_f64_e32 v[26:27], v[30:31], v[34:35]
	v_cndmask_b32_e32 v30, v11, v13, vcc
	s_cselect_b64 s[0:1], -1, 0
	s_cmp_eq_u32 s15, 3
	v_cndmask_b32_e64 v30, v30, v15, s[0:1]
	v_cndmask_b32_e32 v32, v10, v12, vcc
	s_cselect_b64 vcc, -1, 0
	s_add_i32 s15, s8, -3
	v_cndmask_b32_e32 v31, v30, v17, vcc
	v_cndmask_b32_e64 v30, v32, v14, s[0:1]
	s_cmp_eq_u32 s15, 1
	v_cndmask_b32_e32 v30, v30, v16, vcc
	s_cselect_b64 vcc, -1, 0
	s_cmp_eq_u32 s15, 2
	v_fmac_f64_e32 v[26:27], v[30:31], v[36:37]
	v_cndmask_b32_e32 v30, v11, v13, vcc
	s_cselect_b64 s[0:1], -1, 0
	s_cmp_eq_u32 s15, 3
	v_cndmask_b32_e64 v30, v30, v15, s[0:1]
	v_cndmask_b32_e32 v32, v10, v12, vcc
	s_cselect_b64 vcc, -1, 0
	s_add_i32 s15, s8, -2
	v_cndmask_b32_e32 v31, v30, v17, vcc
	v_cndmask_b32_e64 v30, v32, v14, s[0:1]
	s_cmp_eq_u32 s15, 1
	v_cndmask_b32_e32 v30, v30, v16, vcc
	s_cselect_b64 vcc, -1, 0
	s_cmp_eq_u32 s15, 2
	s_waitcnt lgkmcnt(1)
	v_fmac_f64_e32 v[26:27], v[30:31], v[38:39]
	v_cndmask_b32_e32 v30, v11, v13, vcc
	s_cselect_b64 s[0:1], -1, 0
	s_cmp_eq_u32 s15, 3
	v_cndmask_b32_e64 v30, v30, v15, s[0:1]
	v_cndmask_b32_e32 v32, v10, v12, vcc
	s_cselect_b64 vcc, -1, 0
	s_add_i32 s15, s8, -1
	v_cndmask_b32_e32 v31, v30, v17, vcc
	v_cndmask_b32_e64 v30, v32, v14, s[0:1]
	s_cmp_eq_u32 s15, 1
	v_cndmask_b32_e32 v30, v30, v16, vcc
	s_cselect_b64 vcc, -1, 0
	s_cmp_eq_u32 s15, 2
	v_fmac_f64_e32 v[26:27], v[30:31], v[40:41]
	v_cndmask_b32_e32 v30, v11, v13, vcc
	s_cselect_b64 s[0:1], -1, 0
	s_cmp_eq_u32 s15, 3
	v_cndmask_b32_e64 v30, v30, v15, s[0:1]
	v_cndmask_b32_e32 v32, v10, v12, vcc
	s_cselect_b64 vcc, -1, 0
	v_cndmask_b32_e32 v31, v30, v17, vcc
	v_cndmask_b32_e64 v30, v32, v14, s[0:1]
	s_cmp_eq_u32 s8, 1
	v_cndmask_b32_e32 v30, v30, v16, vcc
	s_cselect_b64 vcc, -1, 0
	s_cmp_eq_u32 s8, 2
	v_cndmask_b32_e32 v32, v11, v13, vcc
	s_cselect_b64 s[0:1], -1, 0
	s_cmp_eq_u32 s8, 3
	s_waitcnt lgkmcnt(0)
	v_fmac_f64_e32 v[26:27], v[30:31], v[42:43]
	v_cndmask_b32_e64 v30, v32, v15, s[0:1]
	v_cndmask_b32_e32 v32, v10, v12, vcc
	s_cselect_b64 vcc, -1, 0
	s_add_u32 s8, s8, 8
	v_cndmask_b32_e32 v31, v30, v17, vcc
	v_cndmask_b32_e64 v30, v32, v14, s[0:1]
	v_add_u32_e32 v32, s8, v28
	v_cndmask_b32_e32 v30, v30, v16, vcc
	s_addc_u32 s9, s9, 0
	s_add_i32 s14, s14, 64
	s_add_i32 s0, s8, -7
	v_cmp_eq_u32_e32 vcc, 8, v32
	v_fmac_f64_e32 v[26:27], v[30:31], v[44:45]
	s_or_b64 s[12:13], vcc, s[12:13]
	v_mov_b32_e32 v30, s0
	s_andn2_b64 exec, exec, s[12:13]
	s_cbranch_execnz .LBB67_25
; %bb.26:
	s_or_b64 exec, exec, s[12:13]
.LBB67_27:
	s_or_b64 exec, exec, s[2:3]
	v_and_b32_e32 v28, 7, v29
	v_cmp_ne_u32_e32 vcc, 0, v28
	s_and_saveexec_b64 s[8:9], vcc
	s_cbranch_execz .LBB67_31
; %bb.28:
	v_lshl_add_u32 v29, v30, 3, 32
	v_mov_b32_e32 v31, 0
	s_mov_b64 s[12:13], 0
.LBB67_29:                              ; =>This Inner Loop Header: Depth=1
	v_cmp_eq_u32_e32 vcc, 1, v30
	ds_read_b64 v[32:33], v29
	v_cmp_eq_u32_e64 s[0:1], 2, v30
	v_cndmask_b32_e32 v34, v11, v13, vcc
	v_cmp_eq_u32_e64 s[2:3], 3, v30
	v_cndmask_b32_e64 v34, v34, v15, s[0:1]
	v_cndmask_b32_e32 v36, v10, v12, vcc
	v_add_u32_e32 v28, -1, v28
	v_cndmask_b32_e64 v35, v34, v17, s[2:3]
	v_cndmask_b32_e64 v34, v36, v14, s[0:1]
	v_cmp_eq_u32_e32 vcc, 0, v28
	v_cndmask_b32_e64 v34, v34, v16, s[2:3]
	v_add_u32_e32 v29, 8, v29
	v_lshl_add_u64 v[30:31], v[30:31], 0, 1
	s_or_b64 s[12:13], vcc, s[12:13]
	s_waitcnt lgkmcnt(0)
	v_fmac_f64_e32 v[26:27], v[34:35], v[32:33]
	s_andn2_b64 exec, exec, s[12:13]
	s_cbranch_execnz .LBB67_29
; %bb.30:
	s_or_b64 exec, exec, s[12:13]
.LBB67_31:
	s_or_b64 exec, exec, s[8:9]
.LBB67_32:
	s_or_b64 exec, exec, s[4:5]
	v_mov_b32_e32 v10, 0
	ds_read_b64 v[10:11], v10
	s_waitcnt lgkmcnt(0)
	v_mul_f64 v[10:11], v[26:27], v[10:11]
.LBB67_33:
	s_or_b64 exec, exec, s[6:7]
	s_branch .LBB67_55
.LBB67_34:
	v_cmp_eq_u32_e64 s[0:1], 0, v0
	s_waitcnt vmcnt(0) lgkmcnt(0)
	ds_write_b64 v1, v[4:5]
	s_waitcnt lgkmcnt(0)
	; wave barrier
	s_and_saveexec_b64 s[6:7], s[0:1]
	s_cbranch_execz .LBB67_40
; %bb.35:
	s_and_b64 vcc, exec, s[10:11]
	s_cbranch_vccz .LBB67_37
; %bb.36:
	ds_read_b64 v[10:11], v1
	v_cmp_eq_u32_e32 vcc, 1, v0
	v_cmp_eq_u32_e64 s[2:3], 2, v0
	v_cmp_eq_u32_e64 s[4:5], 3, v0
	v_cndmask_b32_e32 v5, v3, v5, vcc
	v_cndmask_b32_e32 v4, v2, v4, vcc
	v_cndmask_b32_e64 v5, v5, v7, s[2:3]
	v_cndmask_b32_e64 v4, v4, v6, s[2:3]
	;; [unrolled: 1-line block ×4, first 2 shown]
	s_waitcnt lgkmcnt(0)
	v_mul_f64 v[4:5], v[4:5], v[10:11]
	s_cbranch_execz .LBB67_38
	s_branch .LBB67_39
.LBB67_37:
                                        ; implicit-def: $vgpr4_vgpr5
.LBB67_38:
	ds_read_b64 v[4:5], v1
.LBB67_39:
	v_mov_b32_e32 v10, 0
	ds_read_b64 v[10:11], v10 offset:8
	s_waitcnt lgkmcnt(0)
	v_mul_f64 v[4:5], v[4:5], v[10:11]
.LBB67_40:
	s_or_b64 exec, exec, s[6:7]
	v_cndmask_b32_e64 v10, 0, 1, s[10:11]
	v_cmp_gt_u32_e64 s[2:3], 2, v0
	v_cmp_ne_u32_e64 s[4:5], 1, v10
	ds_write_b64 v1, v[6:7]
	s_waitcnt lgkmcnt(0)
	; wave barrier
	s_and_saveexec_b64 s[10:11], s[2:3]
	s_cbranch_execz .LBB67_46
; %bb.41:
	s_and_b64 vcc, exec, s[4:5]
	s_cbranch_vccnz .LBB67_43
; %bb.42:
	v_cmp_eq_u32_e32 vcc, 1, v0
	v_cmp_eq_u32_e64 s[6:7], 2, v0
	v_cmp_eq_u32_e64 s[8:9], 3, v0
	v_cndmask_b32_e32 v10, v3, v5, vcc
	v_cndmask_b32_e64 v7, v10, v7, s[6:7]
	ds_read_b64 v[10:11], v1
	v_cndmask_b32_e32 v12, v2, v4, vcc
	v_cndmask_b32_e64 v6, v12, v6, s[6:7]
	v_cndmask_b32_e64 v7, v7, v9, s[8:9]
	;; [unrolled: 1-line block ×3, first 2 shown]
	s_waitcnt lgkmcnt(0)
	v_mul_f64 v[6:7], v[6:7], v[10:11]
	s_cbranch_execz .LBB67_44
	s_branch .LBB67_45
.LBB67_43:
                                        ; implicit-def: $vgpr6_vgpr7
.LBB67_44:
	ds_read_b64 v[6:7], v1
.LBB67_45:
	v_mov_b32_e32 v10, 0
	ds_read2_b64 v[10:13], v10 offset0:2 offset1:5
	s_waitcnt lgkmcnt(0)
	v_fma_f64 v[12:13], v[4:5], v[12:13], v[6:7]
	v_cndmask_b32_e64 v7, v7, v13, s[0:1]
	v_cndmask_b32_e64 v6, v6, v12, s[0:1]
	v_mul_f64 v[6:7], v[6:7], v[10:11]
.LBB67_46:
	s_or_b64 exec, exec, s[10:11]
	v_cmp_ne_u32_e32 vcc, 3, v0
	ds_write_b64 v1, v[8:9]
	s_waitcnt lgkmcnt(0)
	; wave barrier
	s_and_saveexec_b64 s[8:9], vcc
	s_cbranch_execz .LBB67_54
; %bb.47:
	s_and_b64 vcc, exec, s[4:5]
	s_cbranch_vccnz .LBB67_49
; %bb.48:
	v_cmp_eq_u32_e32 vcc, 1, v0
	v_cmp_eq_u32_e64 s[4:5], 2, v0
	v_cmp_eq_u32_e64 s[6:7], 3, v0
	v_cndmask_b32_e32 v10, v3, v5, vcc
	v_cndmask_b32_e64 v12, v10, v7, s[4:5]
	ds_read_b64 v[10:11], v1
	v_cndmask_b32_e64 v13, v12, v9, s[6:7]
	v_cndmask_b32_e32 v12, v2, v4, vcc
	v_cndmask_b32_e64 v12, v12, v6, s[4:5]
	v_cndmask_b32_e64 v12, v12, v8, s[6:7]
	s_waitcnt lgkmcnt(0)
	v_mul_f64 v[10:11], v[12:13], v[10:11]
	s_cbranch_execz .LBB67_50
	s_branch .LBB67_51
.LBB67_49:
                                        ; implicit-def: $vgpr10_vgpr11
.LBB67_50:
	ds_read_b64 v[10:11], v1
.LBB67_51:
	s_and_saveexec_b64 s[6:7], s[2:3]
	s_cbranch_execz .LBB67_53
; %bb.52:
	v_add_u32_e32 v0, 1, v0
	v_cmp_eq_u32_e32 vcc, 1, v0
	v_cmp_eq_u32_e64 s[2:3], 2, v0
	v_cmp_eq_u32_e64 s[4:5], 3, v0
	v_cndmask_b32_e32 v12, v3, v5, vcc
	v_cndmask_b32_e64 v12, v12, v7, s[2:3]
	v_cndmask_b32_e64 v9, v12, v9, s[4:5]
	v_mov_b32_e32 v12, 0
	ds_read_b64 v[0:1], v1 offset:8
	ds_read_b64 v[12:13], v12 offset:48
	v_cndmask_b32_e32 v14, v2, v4, vcc
	v_cndmask_b32_e64 v14, v14, v6, s[2:3]
	v_cndmask_b32_e64 v8, v14, v8, s[4:5]
	s_waitcnt lgkmcnt(1)
	v_fmac_f64_e32 v[10:11], v[8:9], v[0:1]
	s_waitcnt lgkmcnt(0)
	v_fma_f64 v[0:1], v[6:7], v[12:13], v[10:11]
	v_cndmask_b32_e64 v11, v11, v1, s[0:1]
	v_cndmask_b32_e64 v10, v10, v0, s[0:1]
.LBB67_53:
	s_or_b64 exec, exec, s[6:7]
	v_mov_b32_e32 v0, 0
	ds_read_b64 v[0:1], v0 offset:24
	s_waitcnt lgkmcnt(0)
	v_mul_f64 v[8:9], v[10:11], v[0:1]
.LBB67_54:
	s_or_b64 exec, exec, s[8:9]
	v_mov_b64_e32 v[16:17], v[8:9]
	v_mov_b64_e32 v[14:15], v[6:7]
	;; [unrolled: 1-line block ×4, first 2 shown]
.LBB67_55:
	flat_store_dwordx2 v[18:19], v[10:11]
	flat_store_dwordx2 v[20:21], v[12:13]
	;; [unrolled: 1-line block ×4, first 2 shown]
.LBB67_56:
	s_endpgm
	.section	.rodata,"a",@progbits
	.p2align	6, 0x0
	.amdhsa_kernel _ZN9rocsolver6v33100L18trti2_kernel_smallILi4EdPKPdEEv13rocblas_fill_17rocblas_diagonal_T1_iil
		.amdhsa_group_segment_fixed_size 64
		.amdhsa_private_segment_fixed_size 0
		.amdhsa_kernarg_size 32
		.amdhsa_user_sgpr_count 2
		.amdhsa_user_sgpr_dispatch_ptr 0
		.amdhsa_user_sgpr_queue_ptr 0
		.amdhsa_user_sgpr_kernarg_segment_ptr 1
		.amdhsa_user_sgpr_dispatch_id 0
		.amdhsa_user_sgpr_kernarg_preload_length 0
		.amdhsa_user_sgpr_kernarg_preload_offset 0
		.amdhsa_user_sgpr_private_segment_size 0
		.amdhsa_uses_dynamic_stack 0
		.amdhsa_enable_private_segment 0
		.amdhsa_system_sgpr_workgroup_id_x 1
		.amdhsa_system_sgpr_workgroup_id_y 0
		.amdhsa_system_sgpr_workgroup_id_z 0
		.amdhsa_system_sgpr_workgroup_info 0
		.amdhsa_system_vgpr_workitem_id 0
		.amdhsa_next_free_vgpr 49
		.amdhsa_next_free_sgpr 16
		.amdhsa_accum_offset 52
		.amdhsa_reserve_vcc 1
		.amdhsa_float_round_mode_32 0
		.amdhsa_float_round_mode_16_64 0
		.amdhsa_float_denorm_mode_32 3
		.amdhsa_float_denorm_mode_16_64 3
		.amdhsa_dx10_clamp 1
		.amdhsa_ieee_mode 1
		.amdhsa_fp16_overflow 0
		.amdhsa_tg_split 0
		.amdhsa_exception_fp_ieee_invalid_op 0
		.amdhsa_exception_fp_denorm_src 0
		.amdhsa_exception_fp_ieee_div_zero 0
		.amdhsa_exception_fp_ieee_overflow 0
		.amdhsa_exception_fp_ieee_underflow 0
		.amdhsa_exception_fp_ieee_inexact 0
		.amdhsa_exception_int_div_zero 0
	.end_amdhsa_kernel
	.section	.text._ZN9rocsolver6v33100L18trti2_kernel_smallILi4EdPKPdEEv13rocblas_fill_17rocblas_diagonal_T1_iil,"axG",@progbits,_ZN9rocsolver6v33100L18trti2_kernel_smallILi4EdPKPdEEv13rocblas_fill_17rocblas_diagonal_T1_iil,comdat
.Lfunc_end67:
	.size	_ZN9rocsolver6v33100L18trti2_kernel_smallILi4EdPKPdEEv13rocblas_fill_17rocblas_diagonal_T1_iil, .Lfunc_end67-_ZN9rocsolver6v33100L18trti2_kernel_smallILi4EdPKPdEEv13rocblas_fill_17rocblas_diagonal_T1_iil
                                        ; -- End function
	.set _ZN9rocsolver6v33100L18trti2_kernel_smallILi4EdPKPdEEv13rocblas_fill_17rocblas_diagonal_T1_iil.num_vgpr, 49
	.set _ZN9rocsolver6v33100L18trti2_kernel_smallILi4EdPKPdEEv13rocblas_fill_17rocblas_diagonal_T1_iil.num_agpr, 0
	.set _ZN9rocsolver6v33100L18trti2_kernel_smallILi4EdPKPdEEv13rocblas_fill_17rocblas_diagonal_T1_iil.numbered_sgpr, 16
	.set _ZN9rocsolver6v33100L18trti2_kernel_smallILi4EdPKPdEEv13rocblas_fill_17rocblas_diagonal_T1_iil.num_named_barrier, 0
	.set _ZN9rocsolver6v33100L18trti2_kernel_smallILi4EdPKPdEEv13rocblas_fill_17rocblas_diagonal_T1_iil.private_seg_size, 0
	.set _ZN9rocsolver6v33100L18trti2_kernel_smallILi4EdPKPdEEv13rocblas_fill_17rocblas_diagonal_T1_iil.uses_vcc, 1
	.set _ZN9rocsolver6v33100L18trti2_kernel_smallILi4EdPKPdEEv13rocblas_fill_17rocblas_diagonal_T1_iil.uses_flat_scratch, 0
	.set _ZN9rocsolver6v33100L18trti2_kernel_smallILi4EdPKPdEEv13rocblas_fill_17rocblas_diagonal_T1_iil.has_dyn_sized_stack, 0
	.set _ZN9rocsolver6v33100L18trti2_kernel_smallILi4EdPKPdEEv13rocblas_fill_17rocblas_diagonal_T1_iil.has_recursion, 0
	.set _ZN9rocsolver6v33100L18trti2_kernel_smallILi4EdPKPdEEv13rocblas_fill_17rocblas_diagonal_T1_iil.has_indirect_call, 0
	.section	.AMDGPU.csdata,"",@progbits
; Kernel info:
; codeLenInByte = 2512
; TotalNumSgprs: 22
; NumVgprs: 49
; NumAgprs: 0
; TotalNumVgprs: 49
; ScratchSize: 0
; MemoryBound: 0
; FloatMode: 240
; IeeeMode: 1
; LDSByteSize: 64 bytes/workgroup (compile time only)
; SGPRBlocks: 2
; VGPRBlocks: 6
; NumSGPRsForWavesPerEU: 22
; NumVGPRsForWavesPerEU: 49
; AccumOffset: 52
; Occupancy: 8
; WaveLimiterHint : 1
; COMPUTE_PGM_RSRC2:SCRATCH_EN: 0
; COMPUTE_PGM_RSRC2:USER_SGPR: 2
; COMPUTE_PGM_RSRC2:TRAP_HANDLER: 0
; COMPUTE_PGM_RSRC2:TGID_X_EN: 1
; COMPUTE_PGM_RSRC2:TGID_Y_EN: 0
; COMPUTE_PGM_RSRC2:TGID_Z_EN: 0
; COMPUTE_PGM_RSRC2:TIDIG_COMP_CNT: 0
; COMPUTE_PGM_RSRC3_GFX90A:ACCUM_OFFSET: 12
; COMPUTE_PGM_RSRC3_GFX90A:TG_SPLIT: 0
	.section	.text._ZN9rocsolver6v33100L18trti2_kernel_smallILi5EdPKPdEEv13rocblas_fill_17rocblas_diagonal_T1_iil,"axG",@progbits,_ZN9rocsolver6v33100L18trti2_kernel_smallILi5EdPKPdEEv13rocblas_fill_17rocblas_diagonal_T1_iil,comdat
	.globl	_ZN9rocsolver6v33100L18trti2_kernel_smallILi5EdPKPdEEv13rocblas_fill_17rocblas_diagonal_T1_iil ; -- Begin function _ZN9rocsolver6v33100L18trti2_kernel_smallILi5EdPKPdEEv13rocblas_fill_17rocblas_diagonal_T1_iil
	.p2align	8
	.type	_ZN9rocsolver6v33100L18trti2_kernel_smallILi5EdPKPdEEv13rocblas_fill_17rocblas_diagonal_T1_iil,@function
_ZN9rocsolver6v33100L18trti2_kernel_smallILi5EdPKPdEEv13rocblas_fill_17rocblas_diagonal_T1_iil: ; @_ZN9rocsolver6v33100L18trti2_kernel_smallILi5EdPKPdEEv13rocblas_fill_17rocblas_diagonal_T1_iil
; %bb.0:
	v_cmp_gt_u32_e32 vcc, 5, v0
	s_and_saveexec_b64 s[4:5], vcc
	s_cbranch_execz .LBB68_82
; %bb.1:
	s_load_dwordx2 s[4:5], s[0:1], 0x10
	s_load_dwordx4 s[8:11], s[0:1], 0x0
	s_ashr_i32 s3, s2, 31
	s_lshl_b64 s[0:1], s[2:3], 3
	v_mov_b32_e32 v1, 0
	s_waitcnt lgkmcnt(0)
	s_ashr_i32 s3, s4, 31
	s_add_u32 s0, s10, s0
	s_addc_u32 s1, s11, s1
	s_load_dwordx2 s[0:1], s[0:1], 0x0
	s_mov_b32 s2, s4
	s_lshl_b64 s[2:3], s[2:3], 3
	v_lshlrev_b32_e32 v18, 3, v0
	v_mov_b32_e32 v19, v1
	s_waitcnt lgkmcnt(0)
	s_add_u32 s0, s0, s2
	s_addc_u32 s1, s1, s3
	v_lshl_add_u64 v[34:35], s[0:1], 0, v[18:19]
	s_ashr_i32 s3, s5, 31
	s_mov_b32 s2, s5
	v_lshl_add_u64 v[36:37], s[2:3], 3, v[34:35]
	s_add_i32 s2, s5, s5
	v_add_u32_e32 v2, s2, v0
	v_add_u32_e32 v10, s5, v2
	v_ashrrev_i32_e32 v11, 31, v10
	v_ashrrev_i32_e32 v3, 31, v2
	v_lshl_add_u64 v[40:41], v[10:11], 3, s[0:1]
	v_add_u32_e32 v10, s5, v10
	v_lshl_add_u64 v[38:39], v[2:3], 3, s[0:1]
	flat_load_dwordx2 v[2:3], v[34:35]
	flat_load_dwordx2 v[4:5], v[36:37]
	;; [unrolled: 1-line block ×4, first 2 shown]
	v_ashrrev_i32_e32 v11, 31, v10
	v_lshl_add_u64 v[42:43], v[10:11], 3, s[0:1]
	flat_load_dwordx2 v[10:11], v[42:43]
	s_cmpk_lg_i32 s9, 0x84
	s_cselect_b64 s[10:11], -1, 0
	s_cmpk_eq_i32 s9, 0x84
	v_mov_b64_e32 v[20:21], -1.0
	s_cbranch_scc1 .LBB68_3
; %bb.2:
	v_cmp_eq_u32_e64 s[0:1], 1, v0
	v_cmp_eq_u32_e64 s[2:3], 2, v0
	;; [unrolled: 1-line block ×3, first 2 shown]
	s_waitcnt vmcnt(0) lgkmcnt(0)
	v_cndmask_b32_e64 v12, v3, v5, s[0:1]
	v_cndmask_b32_e64 v12, v12, v7, s[2:3]
	;; [unrolled: 1-line block ×3, first 2 shown]
	v_cmp_eq_u32_e64 s[6:7], 4, v0
	s_nop 1
	v_cndmask_b32_e64 v13, v12, v11, s[6:7]
	v_cndmask_b32_e64 v12, v2, v4, s[0:1]
	;; [unrolled: 1-line block ×5, first 2 shown]
	v_div_scale_f64 v[14:15], s[12:13], v[12:13], v[12:13], 1.0
	v_rcp_f64_e32 v[16:17], v[14:15]
	s_nop 0
	v_fma_f64 v[20:21], -v[14:15], v[16:17], 1.0
	v_fmac_f64_e32 v[16:17], v[16:17], v[20:21]
	v_fma_f64 v[20:21], -v[14:15], v[16:17], 1.0
	v_fmac_f64_e32 v[16:17], v[16:17], v[20:21]
	v_div_scale_f64 v[20:21], vcc, 1.0, v[12:13], 1.0
	v_mul_f64 v[22:23], v[20:21], v[16:17]
	v_fma_f64 v[14:15], -v[14:15], v[22:23], v[20:21]
	s_nop 1
	v_div_fmas_f64 v[14:15], v[14:15], v[16:17], v[22:23]
	v_div_fixup_f64 v[20:21], v[14:15], v[12:13], 1.0
	v_cmp_eq_u32_e32 vcc, 0, v0
	v_cndmask_b32_e64 v11, v11, v21, s[6:7]
	v_cndmask_b32_e64 v10, v10, v20, s[6:7]
	;; [unrolled: 1-line block ×8, first 2 shown]
	v_cndmask_b32_e32 v3, v3, v21, vcc
	v_cndmask_b32_e32 v2, v2, v20, vcc
	v_xor_b32_e32 v21, 0x80000000, v21
.LBB68_3:
	s_cmpk_eq_i32 s8, 0x79
	v_add_u32_e32 v44, 48, v18
	ds_write_b64 v18, v[20:21]
	s_cbranch_scc1 .LBB68_7
; %bb.4:
	s_waitcnt vmcnt(0) lgkmcnt(0)
	v_mov_b64_e32 v[32:33], v[16:17]
	v_cmp_eq_u32_e64 s[0:1], 4, v0
	v_mov_b64_e32 v[26:27], v[10:11]
	v_mov_b64_e32 v[24:25], v[8:9]
	;; [unrolled: 1-line block ×5, first 2 shown]
	ds_write_b64 v44, v[8:9]
	s_waitcnt lgkmcnt(0)
	; wave barrier
	v_mov_b64_e32 v[30:31], v[14:15]
	v_mov_b64_e32 v[28:29], v[12:13]
	s_and_saveexec_b64 s[8:9], s[0:1]
	s_cbranch_execz .LBB68_11
; %bb.5:
	s_and_b64 vcc, exec, s[10:11]
	s_cbranch_vccz .LBB68_8
; %bb.6:
	v_cmp_eq_u32_e32 vcc, 1, v0
	v_cmp_eq_u32_e64 s[2:3], 2, v0
	v_cmp_eq_u32_e64 s[4:5], 3, v0
	v_cndmask_b32_e32 v18, v3, v5, vcc
	v_cndmask_b32_e64 v18, v18, v7, s[2:3]
	v_cndmask_b32_e64 v18, v18, v9, s[4:5]
	v_cmp_eq_u32_e64 s[6:7], 4, v0
	ds_read_b64 v[20:21], v44
	s_nop 0
	v_cndmask_b32_e64 v19, v18, v11, s[6:7]
	v_cndmask_b32_e32 v18, v2, v4, vcc
	v_cndmask_b32_e64 v18, v18, v6, s[2:3]
	v_cndmask_b32_e64 v18, v18, v8, s[4:5]
	;; [unrolled: 1-line block ×3, first 2 shown]
	s_waitcnt lgkmcnt(0)
	v_mul_f64 v[22:23], v[18:19], v[20:21]
	s_cbranch_execz .LBB68_9
	s_branch .LBB68_10
.LBB68_7:
                                        ; implicit-def: $vgpr18_vgpr19_vgpr20_vgpr21_vgpr22_vgpr23_vgpr24_vgpr25_vgpr26_vgpr27_vgpr28_vgpr29_vgpr30_vgpr31_vgpr32_vgpr33
	s_cbranch_execnz .LBB68_50
	s_branch .LBB68_81
.LBB68_8:
                                        ; implicit-def: $vgpr22_vgpr23
.LBB68_9:
	ds_read_b64 v[22:23], v44
.LBB68_10:
	v_mov_b32_e32 v18, 0
	ds_read_b64 v[24:25], v18 offset:24
	v_mov_b32_e32 v18, v2
	v_mov_b32_e32 v19, v3
	;; [unrolled: 1-line block ×4, first 2 shown]
	s_waitcnt lgkmcnt(0)
	v_mul_f64 v[24:25], v[22:23], v[24:25]
	v_mov_b32_e32 v22, v6
	v_mov_b32_e32 v23, v7
	;; [unrolled: 1-line block ×4, first 2 shown]
.LBB68_11:
	s_or_b64 exec, exec, s[8:9]
	v_cmp_lt_u32_e64 s[2:3], 2, v0
	ds_write_b64 v44, v[22:23]
	s_waitcnt lgkmcnt(0)
	; wave barrier
	s_and_saveexec_b64 s[12:13], s[2:3]
	s_cbranch_execz .LBB68_17
; %bb.12:
	s_andn2_b64 vcc, exec, s[10:11]
	s_cbranch_vccnz .LBB68_14
; %bb.13:
	v_cmp_eq_u32_e32 vcc, 1, v0
	v_cmp_eq_u32_e64 s[4:5], 2, v0
	v_cmp_eq_u32_e64 s[6:7], 3, v0
	v_cndmask_b32_e32 v28, v19, v21, vcc
	v_cndmask_b32_e64 v23, v28, v23, s[4:5]
	ds_read_b64 v[28:29], v44
	v_cndmask_b32_e32 v30, v18, v20, vcc
	v_cndmask_b32_e64 v22, v30, v22, s[4:5]
	v_cndmask_b32_e64 v23, v23, v25, s[6:7]
	v_cmp_eq_u32_e64 s[8:9], 4, v0
	v_cndmask_b32_e64 v22, v22, v24, s[6:7]
	s_nop 0
	v_cndmask_b32_e64 v23, v23, v27, s[8:9]
	v_cndmask_b32_e64 v22, v22, v26, s[8:9]
	s_waitcnt lgkmcnt(0)
	v_mul_f64 v[22:23], v[22:23], v[28:29]
	s_cbranch_execz .LBB68_15
	s_branch .LBB68_16
.LBB68_14:
                                        ; implicit-def: $vgpr22_vgpr23
.LBB68_15:
	ds_read_b64 v[22:23], v44
.LBB68_16:
	v_mov_b32_e32 v28, 0
	ds_read2_b64 v[28:31], v28 offset0:2 offset1:9
	s_waitcnt lgkmcnt(0)
	v_fma_f64 v[30:31], v[24:25], v[30:31], v[22:23]
	v_cndmask_b32_e64 v23, v23, v31, s[0:1]
	v_cndmask_b32_e64 v22, v22, v30, s[0:1]
	v_mul_f64 v[22:23], v[22:23], v[28:29]
.LBB68_17:
	s_or_b64 exec, exec, s[12:13]
	v_cmp_lt_u32_e64 s[0:1], 1, v0
	ds_write_b64 v44, v[20:21]
	s_waitcnt lgkmcnt(0)
	; wave barrier
	s_and_saveexec_b64 s[12:13], s[0:1]
	s_cbranch_execz .LBB68_33
; %bb.18:
	s_andn2_b64 vcc, exec, s[10:11]
	s_cbranch_vccnz .LBB68_20
; %bb.19:
	v_cmp_eq_u32_e32 vcc, 1, v0
	v_cmp_eq_u32_e64 s[4:5], 2, v0
	v_cmp_eq_u32_e64 s[6:7], 3, v0
	v_cndmask_b32_e32 v28, v19, v21, vcc
	v_cndmask_b32_e64 v28, v28, v23, s[4:5]
	v_cndmask_b32_e64 v28, v28, v25, s[6:7]
	v_cmp_eq_u32_e64 s[8:9], 4, v0
	ds_read_b64 v[30:31], v44
	s_nop 0
	v_cndmask_b32_e64 v29, v28, v27, s[8:9]
	v_cndmask_b32_e32 v28, v18, v20, vcc
	v_cndmask_b32_e64 v28, v28, v22, s[4:5]
	v_cndmask_b32_e64 v28, v28, v24, s[6:7]
	;; [unrolled: 1-line block ×3, first 2 shown]
	s_waitcnt lgkmcnt(0)
	v_mul_f64 v[28:29], v[28:29], v[30:31]
	s_cbranch_execz .LBB68_21
	s_branch .LBB68_22
.LBB68_20:
                                        ; implicit-def: $vgpr28_vgpr29
.LBB68_21:
	ds_read_b64 v[28:29], v44
.LBB68_22:
	s_and_saveexec_b64 s[8:9], s[2:3]
	s_cbranch_execz .LBB68_32
; %bb.23:
	v_add_u32_e32 v30, -3, v0
	v_add_u32_e32 v31, -2, v0
	v_cmp_lt_u32_e32 vcc, 6, v30
	v_mov_b32_e32 v32, 2
	s_and_saveexec_b64 s[4:5], vcc
	s_cbranch_execz .LBB68_27
; %bb.24:
	v_and_b32_e32 v30, -8, v31
	v_sub_u32_e32 v30, 0, v30
	s_mov_b64 s[6:7], 9
	s_mov_b32 s16, 64
	s_mov_b64 s[14:15], 0
.LBB68_25:                              ; =>This Inner Loop Header: Depth=1
	s_add_i32 s17, s6, -7
	s_cmp_eq_u32 s17, 1
	v_mov_b32_e32 v32, s16
	s_cselect_b64 vcc, -1, 0
	s_cmp_eq_u32 s17, 2
	ds_read_b128 v[46:49], v32
	ds_read_b128 v[50:53], v32 offset:16
	ds_read_b128 v[54:57], v32 offset:32
	;; [unrolled: 1-line block ×3, first 2 shown]
	v_cndmask_b32_e32 v32, v19, v21, vcc
	s_cselect_b64 s[2:3], -1, 0
	s_cmp_eq_u32 s17, 3
	v_cndmask_b32_e64 v32, v32, v23, s[2:3]
	v_cndmask_b32_e32 v33, v18, v20, vcc
	s_cselect_b64 vcc, -1, 0
	s_cmp_eq_u32 s17, 4
	v_cndmask_b32_e32 v32, v32, v25, vcc
	v_cndmask_b32_e64 v45, v33, v22, s[2:3]
	s_cselect_b64 s[2:3], -1, 0
	s_add_i32 s17, s6, -6
	v_cndmask_b32_e64 v33, v32, v27, s[2:3]
	v_cndmask_b32_e32 v32, v45, v24, vcc
	s_cmp_eq_u32 s17, 1
	v_cndmask_b32_e64 v32, v32, v26, s[2:3]
	s_cselect_b64 vcc, -1, 0
	s_cmp_eq_u32 s17, 2
	s_waitcnt lgkmcnt(3)
	v_fmac_f64_e32 v[28:29], v[32:33], v[46:47]
	v_cndmask_b32_e32 v32, v19, v21, vcc
	s_cselect_b64 s[2:3], -1, 0
	s_cmp_eq_u32 s17, 3
	v_cndmask_b32_e64 v32, v32, v23, s[2:3]
	v_cndmask_b32_e32 v33, v18, v20, vcc
	s_cselect_b64 vcc, -1, 0
	s_cmp_eq_u32 s17, 4
	v_cndmask_b32_e32 v32, v32, v25, vcc
	v_cndmask_b32_e64 v45, v33, v22, s[2:3]
	s_cselect_b64 s[2:3], -1, 0
	s_add_i32 s17, s6, -5
	v_cndmask_b32_e64 v33, v32, v27, s[2:3]
	v_cndmask_b32_e32 v32, v45, v24, vcc
	s_cmp_eq_u32 s17, 1
	v_cndmask_b32_e64 v32, v32, v26, s[2:3]
	s_cselect_b64 vcc, -1, 0
	s_cmp_eq_u32 s17, 2
	v_fmac_f64_e32 v[28:29], v[32:33], v[48:49]
	v_cndmask_b32_e32 v32, v19, v21, vcc
	s_cselect_b64 s[2:3], -1, 0
	s_cmp_eq_u32 s17, 3
	v_cndmask_b32_e64 v32, v32, v23, s[2:3]
	v_cndmask_b32_e32 v33, v18, v20, vcc
	s_cselect_b64 vcc, -1, 0
	s_cmp_eq_u32 s17, 4
	v_cndmask_b32_e32 v32, v32, v25, vcc
	v_cndmask_b32_e64 v45, v33, v22, s[2:3]
	s_cselect_b64 s[2:3], -1, 0
	s_add_i32 s17, s6, -4
	v_cndmask_b32_e64 v33, v32, v27, s[2:3]
	v_cndmask_b32_e32 v32, v45, v24, vcc
	s_cmp_eq_u32 s17, 1
	v_cndmask_b32_e64 v32, v32, v26, s[2:3]
	s_cselect_b64 vcc, -1, 0
	s_cmp_eq_u32 s17, 2
	s_waitcnt lgkmcnt(2)
	v_fmac_f64_e32 v[28:29], v[32:33], v[50:51]
	v_cndmask_b32_e32 v32, v19, v21, vcc
	s_cselect_b64 s[2:3], -1, 0
	s_cmp_eq_u32 s17, 3
	v_cndmask_b32_e64 v32, v32, v23, s[2:3]
	v_cndmask_b32_e32 v33, v18, v20, vcc
	s_cselect_b64 vcc, -1, 0
	s_cmp_eq_u32 s17, 4
	v_cndmask_b32_e32 v32, v32, v25, vcc
	v_cndmask_b32_e64 v45, v33, v22, s[2:3]
	s_cselect_b64 s[2:3], -1, 0
	s_add_i32 s17, s6, -3
	v_cndmask_b32_e64 v33, v32, v27, s[2:3]
	v_cndmask_b32_e32 v32, v45, v24, vcc
	s_cmp_eq_u32 s17, 1
	v_cndmask_b32_e64 v32, v32, v26, s[2:3]
	s_cselect_b64 vcc, -1, 0
	s_cmp_eq_u32 s17, 2
	v_fmac_f64_e32 v[28:29], v[32:33], v[52:53]
	;; [unrolled: 37-line block ×3, first 2 shown]
	v_cndmask_b32_e32 v32, v19, v21, vcc
	s_cselect_b64 s[2:3], -1, 0
	s_cmp_eq_u32 s17, 3
	v_cndmask_b32_e64 v32, v32, v23, s[2:3]
	v_cndmask_b32_e32 v33, v18, v20, vcc
	s_cselect_b64 vcc, -1, 0
	s_cmp_eq_u32 s17, 4
	v_cndmask_b32_e32 v32, v32, v25, vcc
	v_cndmask_b32_e64 v45, v33, v22, s[2:3]
	s_cselect_b64 s[2:3], -1, 0
	s_cmp_eq_u32 s6, 1
	v_cndmask_b32_e64 v33, v32, v27, s[2:3]
	v_cndmask_b32_e32 v32, v45, v24, vcc
	s_cselect_b64 vcc, -1, 0
	s_cmp_eq_u32 s6, 2
	v_cndmask_b32_e64 v32, v32, v26, s[2:3]
	v_cndmask_b32_e32 v45, v19, v21, vcc
	s_cselect_b64 s[2:3], -1, 0
	s_cmp_eq_u32 s6, 3
	s_waitcnt lgkmcnt(0)
	v_fmac_f64_e32 v[28:29], v[32:33], v[58:59]
	v_cndmask_b32_e64 v32, v45, v23, s[2:3]
	v_cndmask_b32_e32 v33, v18, v20, vcc
	s_cselect_b64 vcc, -1, 0
	s_cmp_eq_u32 s6, 4
	v_cndmask_b32_e32 v32, v32, v25, vcc
	v_cndmask_b32_e64 v45, v33, v22, s[2:3]
	s_cselect_b64 s[2:3], -1, 0
	s_add_u32 s6, s6, 8
	v_cndmask_b32_e64 v33, v32, v27, s[2:3]
	v_cndmask_b32_e32 v32, v45, v24, vcc
	v_add_u32_e32 v45, s6, v30
	v_cndmask_b32_e64 v32, v32, v26, s[2:3]
	s_addc_u32 s7, s7, 0
	s_add_i32 s16, s16, 64
	s_add_i32 s2, s6, -7
	v_cmp_eq_u32_e32 vcc, 9, v45
	v_fmac_f64_e32 v[28:29], v[32:33], v[60:61]
	s_or_b64 s[14:15], vcc, s[14:15]
	v_mov_b32_e32 v32, s2
	s_andn2_b64 exec, exec, s[14:15]
	s_cbranch_execnz .LBB68_25
; %bb.26:
	s_or_b64 exec, exec, s[14:15]
.LBB68_27:
	s_or_b64 exec, exec, s[4:5]
	v_and_b32_e32 v30, 7, v31
	v_cmp_ne_u32_e32 vcc, 0, v30
	s_and_saveexec_b64 s[14:15], vcc
	s_cbranch_execz .LBB68_31
; %bb.28:
	v_lshl_add_u32 v31, v32, 3, 48
	v_mov_b32_e32 v33, 0
	s_mov_b64 s[16:17], 0
.LBB68_29:                              ; =>This Inner Loop Header: Depth=1
	v_cmp_eq_u32_e32 vcc, 1, v32
	ds_read_b64 v[46:47], v31
	v_cmp_eq_u32_e64 s[2:3], 2, v32
	v_cndmask_b32_e32 v45, v19, v21, vcc
	v_cndmask_b32_e32 v48, v18, v20, vcc
	v_cndmask_b32_e64 v45, v45, v23, s[2:3]
	v_cmp_eq_u32_e64 s[4:5], 3, v32
	v_cmp_eq_u32_e64 s[6:7], 4, v32
	v_cndmask_b32_e64 v48, v48, v22, s[2:3]
	v_cndmask_b32_e64 v45, v45, v25, s[4:5]
	v_add_u32_e32 v30, -1, v30
	v_cndmask_b32_e64 v49, v45, v27, s[6:7]
	v_cndmask_b32_e64 v45, v48, v24, s[4:5]
	v_cmp_eq_u32_e32 vcc, 0, v30
	v_cndmask_b32_e64 v48, v45, v26, s[6:7]
	v_add_u32_e32 v31, 8, v31
	v_lshl_add_u64 v[32:33], v[32:33], 0, 1
	s_or_b64 s[16:17], vcc, s[16:17]
	s_waitcnt lgkmcnt(0)
	v_fmac_f64_e32 v[28:29], v[48:49], v[46:47]
	s_andn2_b64 exec, exec, s[16:17]
	s_cbranch_execnz .LBB68_29
; %bb.30:
	s_or_b64 exec, exec, s[16:17]
.LBB68_31:
	s_or_b64 exec, exec, s[14:15]
.LBB68_32:
	s_or_b64 exec, exec, s[8:9]
	v_mov_b32_e32 v20, 0
	ds_read_b64 v[20:21], v20 offset:8
	s_waitcnt lgkmcnt(0)
	v_mul_f64 v[20:21], v[28:29], v[20:21]
.LBB68_33:
	s_or_b64 exec, exec, s[12:13]
	v_cmp_ne_u32_e32 vcc, 0, v0
	ds_write_b64 v44, v[18:19]
	s_waitcnt lgkmcnt(0)
	; wave barrier
	s_and_saveexec_b64 s[8:9], vcc
	s_cbranch_execz .LBB68_49
; %bb.34:
	s_andn2_b64 vcc, exec, s[10:11]
	s_cbranch_vccnz .LBB68_36
; %bb.35:
	v_cmp_eq_u32_e32 vcc, 1, v0
	v_cmp_eq_u32_e64 s[2:3], 2, v0
	v_cmp_eq_u32_e64 s[4:5], 3, v0
	v_cndmask_b32_e32 v28, v19, v21, vcc
	v_cndmask_b32_e64 v28, v28, v23, s[2:3]
	v_cndmask_b32_e64 v28, v28, v25, s[4:5]
	v_cmp_eq_u32_e64 s[6:7], 4, v0
	ds_read_b64 v[30:31], v44
	s_nop 0
	v_cndmask_b32_e64 v29, v28, v27, s[6:7]
	v_cndmask_b32_e32 v28, v18, v20, vcc
	v_cndmask_b32_e64 v28, v28, v22, s[2:3]
	v_cndmask_b32_e64 v28, v28, v24, s[4:5]
	;; [unrolled: 1-line block ×3, first 2 shown]
	s_waitcnt lgkmcnt(0)
	v_mul_f64 v[28:29], v[28:29], v[30:31]
	s_cbranch_execz .LBB68_37
	s_branch .LBB68_38
.LBB68_36:
                                        ; implicit-def: $vgpr28_vgpr29
.LBB68_37:
	ds_read_b64 v[28:29], v44
.LBB68_38:
	s_and_saveexec_b64 s[6:7], s[0:1]
	s_cbranch_execz .LBB68_48
; %bb.39:
	v_add_u32_e32 v30, -2, v0
	v_add_u32_e32 v31, -1, v0
	v_cmp_lt_u32_e32 vcc, 6, v30
	v_mov_b32_e32 v32, 1
	s_and_saveexec_b64 s[2:3], vcc
	s_cbranch_execz .LBB68_43
; %bb.40:
	v_and_b32_e32 v30, -8, v31
	v_sub_u32_e32 v30, 0, v30
	s_mov_b64 s[4:5], 8
	s_mov_b32 s14, 56
	s_mov_b64 s[12:13], 0
.LBB68_41:                              ; =>This Inner Loop Header: Depth=1
	s_add_i32 s15, s4, -7
	s_cmp_eq_u32 s15, 1
	v_mov_b32_e32 v32, s14
	s_cselect_b64 vcc, -1, 0
	s_cmp_eq_u32 s15, 2
	ds_read2_b64 v[46:49], v32 offset1:1
	ds_read2_b64 v[50:53], v32 offset0:2 offset1:3
	ds_read2_b64 v[54:57], v32 offset0:4 offset1:5
	;; [unrolled: 1-line block ×3, first 2 shown]
	v_cndmask_b32_e32 v32, v19, v21, vcc
	s_cselect_b64 s[0:1], -1, 0
	s_cmp_eq_u32 s15, 3
	v_cndmask_b32_e64 v32, v32, v23, s[0:1]
	v_cndmask_b32_e32 v33, v18, v20, vcc
	s_cselect_b64 vcc, -1, 0
	s_cmp_eq_u32 s15, 4
	v_cndmask_b32_e32 v32, v32, v25, vcc
	v_cndmask_b32_e64 v45, v33, v22, s[0:1]
	s_cselect_b64 s[0:1], -1, 0
	s_add_i32 s15, s4, -6
	v_cndmask_b32_e64 v33, v32, v27, s[0:1]
	v_cndmask_b32_e32 v32, v45, v24, vcc
	s_cmp_eq_u32 s15, 1
	v_cndmask_b32_e64 v32, v32, v26, s[0:1]
	s_cselect_b64 vcc, -1, 0
	s_cmp_eq_u32 s15, 2
	s_waitcnt lgkmcnt(3)
	v_fmac_f64_e32 v[28:29], v[32:33], v[46:47]
	v_cndmask_b32_e32 v32, v19, v21, vcc
	s_cselect_b64 s[0:1], -1, 0
	s_cmp_eq_u32 s15, 3
	v_cndmask_b32_e64 v32, v32, v23, s[0:1]
	v_cndmask_b32_e32 v33, v18, v20, vcc
	s_cselect_b64 vcc, -1, 0
	s_cmp_eq_u32 s15, 4
	v_cndmask_b32_e32 v32, v32, v25, vcc
	v_cndmask_b32_e64 v45, v33, v22, s[0:1]
	s_cselect_b64 s[0:1], -1, 0
	s_add_i32 s15, s4, -5
	v_cndmask_b32_e64 v33, v32, v27, s[0:1]
	v_cndmask_b32_e32 v32, v45, v24, vcc
	s_cmp_eq_u32 s15, 1
	v_cndmask_b32_e64 v32, v32, v26, s[0:1]
	s_cselect_b64 vcc, -1, 0
	s_cmp_eq_u32 s15, 2
	v_fmac_f64_e32 v[28:29], v[32:33], v[48:49]
	v_cndmask_b32_e32 v32, v19, v21, vcc
	s_cselect_b64 s[0:1], -1, 0
	s_cmp_eq_u32 s15, 3
	v_cndmask_b32_e64 v32, v32, v23, s[0:1]
	v_cndmask_b32_e32 v33, v18, v20, vcc
	s_cselect_b64 vcc, -1, 0
	s_cmp_eq_u32 s15, 4
	v_cndmask_b32_e32 v32, v32, v25, vcc
	v_cndmask_b32_e64 v45, v33, v22, s[0:1]
	s_cselect_b64 s[0:1], -1, 0
	s_add_i32 s15, s4, -4
	v_cndmask_b32_e64 v33, v32, v27, s[0:1]
	v_cndmask_b32_e32 v32, v45, v24, vcc
	s_cmp_eq_u32 s15, 1
	v_cndmask_b32_e64 v32, v32, v26, s[0:1]
	s_cselect_b64 vcc, -1, 0
	s_cmp_eq_u32 s15, 2
	s_waitcnt lgkmcnt(2)
	v_fmac_f64_e32 v[28:29], v[32:33], v[50:51]
	v_cndmask_b32_e32 v32, v19, v21, vcc
	s_cselect_b64 s[0:1], -1, 0
	s_cmp_eq_u32 s15, 3
	v_cndmask_b32_e64 v32, v32, v23, s[0:1]
	v_cndmask_b32_e32 v33, v18, v20, vcc
	s_cselect_b64 vcc, -1, 0
	s_cmp_eq_u32 s15, 4
	v_cndmask_b32_e32 v32, v32, v25, vcc
	v_cndmask_b32_e64 v45, v33, v22, s[0:1]
	s_cselect_b64 s[0:1], -1, 0
	s_add_i32 s15, s4, -3
	v_cndmask_b32_e64 v33, v32, v27, s[0:1]
	v_cndmask_b32_e32 v32, v45, v24, vcc
	s_cmp_eq_u32 s15, 1
	v_cndmask_b32_e64 v32, v32, v26, s[0:1]
	s_cselect_b64 vcc, -1, 0
	s_cmp_eq_u32 s15, 2
	v_fmac_f64_e32 v[28:29], v[32:33], v[52:53]
	;; [unrolled: 37-line block ×3, first 2 shown]
	v_cndmask_b32_e32 v32, v19, v21, vcc
	s_cselect_b64 s[0:1], -1, 0
	s_cmp_eq_u32 s15, 3
	v_cndmask_b32_e64 v32, v32, v23, s[0:1]
	v_cndmask_b32_e32 v33, v18, v20, vcc
	s_cselect_b64 vcc, -1, 0
	s_cmp_eq_u32 s15, 4
	v_cndmask_b32_e32 v32, v32, v25, vcc
	v_cndmask_b32_e64 v45, v33, v22, s[0:1]
	s_cselect_b64 s[0:1], -1, 0
	s_cmp_eq_u32 s4, 1
	v_cndmask_b32_e64 v33, v32, v27, s[0:1]
	v_cndmask_b32_e32 v32, v45, v24, vcc
	s_cselect_b64 vcc, -1, 0
	s_cmp_eq_u32 s4, 2
	v_cndmask_b32_e64 v32, v32, v26, s[0:1]
	v_cndmask_b32_e32 v45, v19, v21, vcc
	s_cselect_b64 s[0:1], -1, 0
	s_cmp_eq_u32 s4, 3
	s_waitcnt lgkmcnt(0)
	v_fmac_f64_e32 v[28:29], v[32:33], v[58:59]
	v_cndmask_b32_e64 v32, v45, v23, s[0:1]
	v_cndmask_b32_e32 v33, v18, v20, vcc
	s_cselect_b64 vcc, -1, 0
	s_cmp_eq_u32 s4, 4
	v_cndmask_b32_e32 v32, v32, v25, vcc
	v_cndmask_b32_e64 v45, v33, v22, s[0:1]
	s_cselect_b64 s[0:1], -1, 0
	s_add_u32 s4, s4, 8
	v_cndmask_b32_e64 v33, v32, v27, s[0:1]
	v_cndmask_b32_e32 v32, v45, v24, vcc
	v_add_u32_e32 v45, s4, v30
	v_cndmask_b32_e64 v32, v32, v26, s[0:1]
	s_addc_u32 s5, s5, 0
	s_add_i32 s14, s14, 64
	s_add_i32 s0, s4, -7
	v_cmp_eq_u32_e32 vcc, 8, v45
	v_fmac_f64_e32 v[28:29], v[32:33], v[60:61]
	s_or_b64 s[12:13], vcc, s[12:13]
	v_mov_b32_e32 v32, s0
	s_andn2_b64 exec, exec, s[12:13]
	s_cbranch_execnz .LBB68_41
; %bb.42:
	s_or_b64 exec, exec, s[12:13]
.LBB68_43:
	s_or_b64 exec, exec, s[2:3]
	v_and_b32_e32 v30, 7, v31
	v_cmp_ne_u32_e32 vcc, 0, v30
	s_and_saveexec_b64 s[12:13], vcc
	s_cbranch_execz .LBB68_47
; %bb.44:
	v_lshl_add_u32 v31, v32, 3, 48
	v_mov_b32_e32 v33, 0
	s_mov_b64 s[14:15], 0
.LBB68_45:                              ; =>This Inner Loop Header: Depth=1
	v_cmp_eq_u32_e32 vcc, 1, v32
	ds_read_b64 v[46:47], v31
	v_cmp_eq_u32_e64 s[0:1], 2, v32
	v_cndmask_b32_e32 v45, v19, v21, vcc
	v_cndmask_b32_e32 v48, v18, v20, vcc
	v_cndmask_b32_e64 v45, v45, v23, s[0:1]
	v_cmp_eq_u32_e64 s[2:3], 3, v32
	v_cmp_eq_u32_e64 s[4:5], 4, v32
	v_cndmask_b32_e64 v48, v48, v22, s[0:1]
	v_cndmask_b32_e64 v45, v45, v25, s[2:3]
	v_add_u32_e32 v30, -1, v30
	v_cndmask_b32_e64 v49, v45, v27, s[4:5]
	v_cndmask_b32_e64 v45, v48, v24, s[2:3]
	v_cmp_eq_u32_e32 vcc, 0, v30
	v_cndmask_b32_e64 v48, v45, v26, s[4:5]
	v_add_u32_e32 v31, 8, v31
	v_lshl_add_u64 v[32:33], v[32:33], 0, 1
	s_or_b64 s[14:15], vcc, s[14:15]
	s_waitcnt lgkmcnt(0)
	v_fmac_f64_e32 v[28:29], v[48:49], v[46:47]
	s_andn2_b64 exec, exec, s[14:15]
	s_cbranch_execnz .LBB68_45
; %bb.46:
	s_or_b64 exec, exec, s[14:15]
.LBB68_47:
	s_or_b64 exec, exec, s[12:13]
.LBB68_48:
	s_or_b64 exec, exec, s[6:7]
	v_mov_b32_e32 v18, 0
	ds_read_b64 v[18:19], v18
	s_waitcnt lgkmcnt(0)
	v_mul_f64 v[18:19], v[28:29], v[18:19]
.LBB68_49:
	s_or_b64 exec, exec, s[8:9]
	s_branch .LBB68_81
.LBB68_50:
	v_cmp_eq_u32_e64 s[0:1], 0, v0
	s_waitcnt vmcnt(0) lgkmcnt(0)
	ds_write_b64 v44, v[4:5]
	s_waitcnt lgkmcnt(0)
	; wave barrier
	s_and_saveexec_b64 s[8:9], s[0:1]
	s_cbranch_execz .LBB68_56
; %bb.51:
	s_and_b64 vcc, exec, s[10:11]
	s_cbranch_vccz .LBB68_53
; %bb.52:
	v_cmp_eq_u32_e32 vcc, 1, v0
	ds_read_b64 v[12:13], v44
	v_cmp_eq_u32_e64 s[2:3], 2, v0
	v_cndmask_b32_e32 v5, v3, v5, vcc
	v_cndmask_b32_e32 v4, v2, v4, vcc
	v_cndmask_b32_e64 v5, v5, v7, s[2:3]
	v_cmp_eq_u32_e64 s[4:5], 3, v0
	v_cndmask_b32_e64 v4, v4, v6, s[2:3]
	v_cmp_eq_u32_e64 s[6:7], 4, v0
	v_cndmask_b32_e64 v5, v5, v9, s[4:5]
	v_cndmask_b32_e64 v4, v4, v8, s[4:5]
	;; [unrolled: 1-line block ×4, first 2 shown]
	s_waitcnt lgkmcnt(0)
	v_mul_f64 v[4:5], v[4:5], v[12:13]
	s_cbranch_execz .LBB68_54
	s_branch .LBB68_55
.LBB68_53:
                                        ; implicit-def: $vgpr4_vgpr5
.LBB68_54:
	ds_read_b64 v[4:5], v44
.LBB68_55:
	v_mov_b32_e32 v12, 0
	ds_read_b64 v[12:13], v12 offset:8
	s_waitcnt lgkmcnt(0)
	v_mul_f64 v[4:5], v[4:5], v[12:13]
.LBB68_56:
	s_or_b64 exec, exec, s[8:9]
	v_cndmask_b32_e64 v18, 0, 1, s[10:11]
	v_cmp_gt_u32_e32 vcc, 2, v0
	v_cmp_ne_u32_e64 s[2:3], 1, v18
	ds_write_b64 v44, v[6:7]
	s_waitcnt lgkmcnt(0)
	; wave barrier
	s_and_saveexec_b64 s[10:11], vcc
	s_cbranch_execz .LBB68_62
; %bb.57:
	s_and_b64 vcc, exec, s[2:3]
	s_cbranch_vccnz .LBB68_59
; %bb.58:
	v_cmp_eq_u32_e32 vcc, 1, v0
	v_cmp_eq_u32_e64 s[4:5], 2, v0
	v_cmp_eq_u32_e64 s[6:7], 3, v0
	v_cndmask_b32_e32 v12, v3, v5, vcc
	v_cndmask_b32_e64 v7, v12, v7, s[4:5]
	ds_read_b64 v[12:13], v44
	v_cndmask_b32_e32 v14, v2, v4, vcc
	v_cndmask_b32_e64 v6, v14, v6, s[4:5]
	v_cndmask_b32_e64 v7, v7, v9, s[6:7]
	v_cmp_eq_u32_e64 s[8:9], 4, v0
	v_cndmask_b32_e64 v6, v6, v8, s[6:7]
	s_nop 0
	v_cndmask_b32_e64 v7, v7, v11, s[8:9]
	v_cndmask_b32_e64 v6, v6, v10, s[8:9]
	s_waitcnt lgkmcnt(0)
	v_mul_f64 v[6:7], v[6:7], v[12:13]
	s_cbranch_execz .LBB68_60
	s_branch .LBB68_61
.LBB68_59:
                                        ; implicit-def: $vgpr6_vgpr7
.LBB68_60:
	ds_read_b64 v[6:7], v44
.LBB68_61:
	v_mov_b32_e32 v12, 0
	ds_read2_b64 v[12:15], v12 offset0:2 offset1:7
	s_waitcnt lgkmcnt(0)
	v_fma_f64 v[14:15], v[4:5], v[14:15], v[6:7]
	v_cndmask_b32_e64 v7, v7, v15, s[0:1]
	v_cndmask_b32_e64 v6, v6, v14, s[0:1]
	v_mul_f64 v[6:7], v[6:7], v[12:13]
.LBB68_62:
	s_or_b64 exec, exec, s[10:11]
	v_cmp_gt_u32_e64 s[4:5], 3, v0
	ds_write_b64 v44, v[8:9]
	s_waitcnt lgkmcnt(0)
	; wave barrier
	s_and_saveexec_b64 s[12:13], s[4:5]
	s_cbranch_execz .LBB68_70
; %bb.63:
	s_and_b64 vcc, exec, s[2:3]
	s_cbranch_vccnz .LBB68_65
; %bb.64:
	v_cmp_eq_u32_e32 vcc, 1, v0
	v_cmp_eq_u32_e64 s[6:7], 2, v0
	v_cmp_eq_u32_e64 s[8:9], 3, v0
	v_cndmask_b32_e32 v12, v3, v5, vcc
	v_cndmask_b32_e64 v12, v12, v7, s[6:7]
	v_cndmask_b32_e64 v12, v12, v9, s[8:9]
	v_cmp_eq_u32_e64 s[10:11], 4, v0
	ds_read_b64 v[14:15], v44
	s_nop 0
	v_cndmask_b32_e64 v13, v12, v11, s[10:11]
	v_cndmask_b32_e32 v12, v2, v4, vcc
	v_cndmask_b32_e64 v12, v12, v6, s[6:7]
	v_cndmask_b32_e64 v12, v12, v8, s[8:9]
	;; [unrolled: 1-line block ×3, first 2 shown]
	s_waitcnt lgkmcnt(0)
	v_mul_f64 v[12:13], v[12:13], v[14:15]
	s_cbranch_execz .LBB68_66
	s_branch .LBB68_67
.LBB68_65:
                                        ; implicit-def: $vgpr12_vgpr13
.LBB68_66:
	ds_read_b64 v[12:13], v44
.LBB68_67:
	v_cmp_ne_u32_e32 vcc, 2, v0
	s_and_saveexec_b64 s[14:15], vcc
	s_cbranch_execz .LBB68_69
; %bb.68:
	v_add_u32_e32 v14, 1, v0
	v_cmp_eq_u32_e32 vcc, 1, v14
	v_cmp_eq_u32_e64 s[6:7], 2, v14
	v_cmp_eq_u32_e64 s[8:9], 3, v14
	v_cndmask_b32_e32 v15, v3, v5, vcc
	v_cndmask_b32_e64 v15, v15, v7, s[6:7]
	v_mov_b32_e32 v16, 0
	v_cndmask_b32_e64 v9, v15, v9, s[8:9]
	v_cmp_eq_u32_e64 s[10:11], 4, v14
	v_cndmask_b32_e32 v18, v2, v4, vcc
	ds_read_b64 v[14:15], v44 offset:8
	ds_read_b64 v[16:17], v16 offset:64
	v_cndmask_b32_e64 v18, v18, v6, s[6:7]
	v_cndmask_b32_e64 v8, v18, v8, s[8:9]
	;; [unrolled: 1-line block ×4, first 2 shown]
	s_waitcnt lgkmcnt(1)
	v_fmac_f64_e32 v[12:13], v[8:9], v[14:15]
	s_waitcnt lgkmcnt(0)
	v_fma_f64 v[8:9], v[6:7], v[16:17], v[12:13]
	v_cndmask_b32_e64 v13, v13, v9, s[0:1]
	v_cndmask_b32_e64 v12, v12, v8, s[0:1]
.LBB68_69:
	s_or_b64 exec, exec, s[14:15]
	v_mov_b32_e32 v8, 0
	ds_read_b64 v[8:9], v8 offset:24
	s_waitcnt lgkmcnt(0)
	v_mul_f64 v[8:9], v[12:13], v[8:9]
.LBB68_70:
	s_or_b64 exec, exec, s[12:13]
	v_cmp_ne_u32_e32 vcc, 4, v0
	ds_write_b64 v44, v[10:11]
	s_waitcnt lgkmcnt(0)
	; wave barrier
	s_and_saveexec_b64 s[8:9], vcc
	s_cbranch_execz .LBB68_80
; %bb.71:
	s_and_b64 vcc, exec, s[2:3]
	s_cbranch_vccnz .LBB68_73
; %bb.72:
	v_cmp_eq_u32_e32 vcc, 1, v0
	v_cmp_eq_u32_e64 s[0:1], 2, v0
	v_cmp_eq_u32_e64 s[2:3], 3, v0
	v_cndmask_b32_e32 v12, v3, v5, vcc
	v_cndmask_b32_e64 v12, v12, v7, s[0:1]
	v_cndmask_b32_e64 v12, v12, v9, s[2:3]
	v_cmp_eq_u32_e64 s[6:7], 4, v0
	ds_read_b64 v[14:15], v44
	s_nop 0
	v_cndmask_b32_e64 v13, v12, v11, s[6:7]
	v_cndmask_b32_e32 v12, v2, v4, vcc
	v_cndmask_b32_e64 v12, v12, v6, s[0:1]
	v_cndmask_b32_e64 v12, v12, v8, s[2:3]
	;; [unrolled: 1-line block ×3, first 2 shown]
	s_waitcnt lgkmcnt(0)
	v_mul_f64 v[12:13], v[12:13], v[14:15]
	s_cbranch_execz .LBB68_74
	s_branch .LBB68_75
.LBB68_73:
                                        ; implicit-def: $vgpr12_vgpr13
.LBB68_74:
	ds_read_b64 v[12:13], v44
.LBB68_75:
	s_and_saveexec_b64 s[6:7], s[4:5]
	s_cbranch_execz .LBB68_79
; %bb.76:
	v_lshl_add_u32 v14, v0, 3, 56
	s_mov_b64 s[4:5], 0
.LBB68_77:                              ; =>This Inner Loop Header: Depth=1
	v_lshl_add_u64 v[0:1], v[0:1], 0, 1
	v_cmp_eq_u32_e32 vcc, 1, v0
	ds_read_b64 v[16:17], v14
	v_cmp_eq_u32_e64 s[2:3], 2, v0
	v_cndmask_b32_e32 v15, v3, v5, vcc
	v_cmp_lt_u32_e64 s[0:1], 2, v0
	v_cndmask_b32_e64 v15, v15, v7, s[2:3]
	v_cndmask_b32_e32 v18, v2, v4, vcc
	v_cmp_eq_u32_e32 vcc, 3, v0
	s_or_b64 s[4:5], s[0:1], s[4:5]
	v_cndmask_b32_e64 v18, v18, v6, s[2:3]
	v_cndmask_b32_e32 v15, v15, v9, vcc
	v_cmp_eq_u32_e64 s[0:1], 4, v0
	v_add_u32_e32 v14, 8, v14
	s_nop 0
	v_cndmask_b32_e64 v19, v15, v11, s[0:1]
	v_cndmask_b32_e32 v15, v18, v8, vcc
	v_cndmask_b32_e64 v18, v15, v10, s[0:1]
	s_waitcnt lgkmcnt(0)
	v_fmac_f64_e32 v[12:13], v[18:19], v[16:17]
	s_andn2_b64 exec, exec, s[4:5]
	s_cbranch_execnz .LBB68_77
; %bb.78:
	s_or_b64 exec, exec, s[4:5]
.LBB68_79:
	s_or_b64 exec, exec, s[6:7]
	v_mov_b32_e32 v0, 0
	ds_read_b64 v[0:1], v0 offset:32
	s_waitcnt lgkmcnt(0)
	v_mul_f64 v[10:11], v[12:13], v[0:1]
.LBB68_80:
	s_or_b64 exec, exec, s[8:9]
	v_mov_b64_e32 v[32:33], v[16:17]
	v_mov_b64_e32 v[30:31], v[14:15]
	v_mov_b64_e32 v[28:29], v[12:13]
	v_mov_b64_e32 v[26:27], v[10:11]
	v_mov_b64_e32 v[24:25], v[8:9]
	v_mov_b64_e32 v[22:23], v[6:7]
	v_mov_b64_e32 v[20:21], v[4:5]
	v_mov_b64_e32 v[18:19], v[2:3]
.LBB68_81:
	flat_store_dwordx2 v[34:35], v[18:19]
	flat_store_dwordx2 v[36:37], v[20:21]
	;; [unrolled: 1-line block ×5, first 2 shown]
.LBB68_82:
	s_endpgm
	.section	.rodata,"a",@progbits
	.p2align	6, 0x0
	.amdhsa_kernel _ZN9rocsolver6v33100L18trti2_kernel_smallILi5EdPKPdEEv13rocblas_fill_17rocblas_diagonal_T1_iil
		.amdhsa_group_segment_fixed_size 88
		.amdhsa_private_segment_fixed_size 0
		.amdhsa_kernarg_size 32
		.amdhsa_user_sgpr_count 2
		.amdhsa_user_sgpr_dispatch_ptr 0
		.amdhsa_user_sgpr_queue_ptr 0
		.amdhsa_user_sgpr_kernarg_segment_ptr 1
		.amdhsa_user_sgpr_dispatch_id 0
		.amdhsa_user_sgpr_kernarg_preload_length 0
		.amdhsa_user_sgpr_kernarg_preload_offset 0
		.amdhsa_user_sgpr_private_segment_size 0
		.amdhsa_uses_dynamic_stack 0
		.amdhsa_enable_private_segment 0
		.amdhsa_system_sgpr_workgroup_id_x 1
		.amdhsa_system_sgpr_workgroup_id_y 0
		.amdhsa_system_sgpr_workgroup_id_z 0
		.amdhsa_system_sgpr_workgroup_info 0
		.amdhsa_system_vgpr_workitem_id 0
		.amdhsa_next_free_vgpr 62
		.amdhsa_next_free_sgpr 18
		.amdhsa_accum_offset 64
		.amdhsa_reserve_vcc 1
		.amdhsa_float_round_mode_32 0
		.amdhsa_float_round_mode_16_64 0
		.amdhsa_float_denorm_mode_32 3
		.amdhsa_float_denorm_mode_16_64 3
		.amdhsa_dx10_clamp 1
		.amdhsa_ieee_mode 1
		.amdhsa_fp16_overflow 0
		.amdhsa_tg_split 0
		.amdhsa_exception_fp_ieee_invalid_op 0
		.amdhsa_exception_fp_denorm_src 0
		.amdhsa_exception_fp_ieee_div_zero 0
		.amdhsa_exception_fp_ieee_overflow 0
		.amdhsa_exception_fp_ieee_underflow 0
		.amdhsa_exception_fp_ieee_inexact 0
		.amdhsa_exception_int_div_zero 0
	.end_amdhsa_kernel
	.section	.text._ZN9rocsolver6v33100L18trti2_kernel_smallILi5EdPKPdEEv13rocblas_fill_17rocblas_diagonal_T1_iil,"axG",@progbits,_ZN9rocsolver6v33100L18trti2_kernel_smallILi5EdPKPdEEv13rocblas_fill_17rocblas_diagonal_T1_iil,comdat
.Lfunc_end68:
	.size	_ZN9rocsolver6v33100L18trti2_kernel_smallILi5EdPKPdEEv13rocblas_fill_17rocblas_diagonal_T1_iil, .Lfunc_end68-_ZN9rocsolver6v33100L18trti2_kernel_smallILi5EdPKPdEEv13rocblas_fill_17rocblas_diagonal_T1_iil
                                        ; -- End function
	.set _ZN9rocsolver6v33100L18trti2_kernel_smallILi5EdPKPdEEv13rocblas_fill_17rocblas_diagonal_T1_iil.num_vgpr, 62
	.set _ZN9rocsolver6v33100L18trti2_kernel_smallILi5EdPKPdEEv13rocblas_fill_17rocblas_diagonal_T1_iil.num_agpr, 0
	.set _ZN9rocsolver6v33100L18trti2_kernel_smallILi5EdPKPdEEv13rocblas_fill_17rocblas_diagonal_T1_iil.numbered_sgpr, 18
	.set _ZN9rocsolver6v33100L18trti2_kernel_smallILi5EdPKPdEEv13rocblas_fill_17rocblas_diagonal_T1_iil.num_named_barrier, 0
	.set _ZN9rocsolver6v33100L18trti2_kernel_smallILi5EdPKPdEEv13rocblas_fill_17rocblas_diagonal_T1_iil.private_seg_size, 0
	.set _ZN9rocsolver6v33100L18trti2_kernel_smallILi5EdPKPdEEv13rocblas_fill_17rocblas_diagonal_T1_iil.uses_vcc, 1
	.set _ZN9rocsolver6v33100L18trti2_kernel_smallILi5EdPKPdEEv13rocblas_fill_17rocblas_diagonal_T1_iil.uses_flat_scratch, 0
	.set _ZN9rocsolver6v33100L18trti2_kernel_smallILi5EdPKPdEEv13rocblas_fill_17rocblas_diagonal_T1_iil.has_dyn_sized_stack, 0
	.set _ZN9rocsolver6v33100L18trti2_kernel_smallILi5EdPKPdEEv13rocblas_fill_17rocblas_diagonal_T1_iil.has_recursion, 0
	.set _ZN9rocsolver6v33100L18trti2_kernel_smallILi5EdPKPdEEv13rocblas_fill_17rocblas_diagonal_T1_iil.has_indirect_call, 0
	.section	.AMDGPU.csdata,"",@progbits
; Kernel info:
; codeLenInByte = 4600
; TotalNumSgprs: 24
; NumVgprs: 62
; NumAgprs: 0
; TotalNumVgprs: 62
; ScratchSize: 0
; MemoryBound: 0
; FloatMode: 240
; IeeeMode: 1
; LDSByteSize: 88 bytes/workgroup (compile time only)
; SGPRBlocks: 2
; VGPRBlocks: 7
; NumSGPRsForWavesPerEU: 24
; NumVGPRsForWavesPerEU: 62
; AccumOffset: 64
; Occupancy: 8
; WaveLimiterHint : 1
; COMPUTE_PGM_RSRC2:SCRATCH_EN: 0
; COMPUTE_PGM_RSRC2:USER_SGPR: 2
; COMPUTE_PGM_RSRC2:TRAP_HANDLER: 0
; COMPUTE_PGM_RSRC2:TGID_X_EN: 1
; COMPUTE_PGM_RSRC2:TGID_Y_EN: 0
; COMPUTE_PGM_RSRC2:TGID_Z_EN: 0
; COMPUTE_PGM_RSRC2:TIDIG_COMP_CNT: 0
; COMPUTE_PGM_RSRC3_GFX90A:ACCUM_OFFSET: 15
; COMPUTE_PGM_RSRC3_GFX90A:TG_SPLIT: 0
	.section	.text._ZN9rocsolver6v33100L18trti2_kernel_smallILi6EdPKPdEEv13rocblas_fill_17rocblas_diagonal_T1_iil,"axG",@progbits,_ZN9rocsolver6v33100L18trti2_kernel_smallILi6EdPKPdEEv13rocblas_fill_17rocblas_diagonal_T1_iil,comdat
	.globl	_ZN9rocsolver6v33100L18trti2_kernel_smallILi6EdPKPdEEv13rocblas_fill_17rocblas_diagonal_T1_iil ; -- Begin function _ZN9rocsolver6v33100L18trti2_kernel_smallILi6EdPKPdEEv13rocblas_fill_17rocblas_diagonal_T1_iil
	.p2align	8
	.type	_ZN9rocsolver6v33100L18trti2_kernel_smallILi6EdPKPdEEv13rocblas_fill_17rocblas_diagonal_T1_iil,@function
_ZN9rocsolver6v33100L18trti2_kernel_smallILi6EdPKPdEEv13rocblas_fill_17rocblas_diagonal_T1_iil: ; @_ZN9rocsolver6v33100L18trti2_kernel_smallILi6EdPKPdEEv13rocblas_fill_17rocblas_diagonal_T1_iil
; %bb.0:
	v_cmp_gt_u32_e32 vcc, 6, v0
	s_and_saveexec_b64 s[4:5], vcc
	s_cbranch_execz .LBB69_108
; %bb.1:
	s_load_dwordx2 s[4:5], s[0:1], 0x10
	s_load_dwordx4 s[12:15], s[0:1], 0x0
	s_ashr_i32 s3, s2, 31
	s_lshl_b64 s[0:1], s[2:3], 3
	v_mov_b32_e32 v1, 0
	s_waitcnt lgkmcnt(0)
	s_ashr_i32 s3, s4, 31
	s_add_u32 s0, s14, s0
	s_addc_u32 s1, s15, s1
	s_load_dwordx2 s[0:1], s[0:1], 0x0
	s_mov_b32 s2, s4
	s_lshl_b64 s[2:3], s[2:3], 3
	v_lshlrev_b32_e32 v18, 3, v0
	v_mov_b32_e32 v19, v1
	s_waitcnt lgkmcnt(0)
	s_add_u32 s0, s0, s2
	s_addc_u32 s1, s1, s3
	v_lshl_add_u64 v[34:35], s[0:1], 0, v[18:19]
	s_ashr_i32 s3, s5, 31
	s_mov_b32 s2, s5
	v_lshl_add_u64 v[36:37], s[2:3], 3, v[34:35]
	s_add_i32 s2, s5, s5
	v_add_u32_e32 v2, s2, v0
	v_add_u32_e32 v10, s5, v2
	v_ashrrev_i32_e32 v11, 31, v10
	v_lshl_add_u64 v[40:41], v[10:11], 3, s[0:1]
	v_add_u32_e32 v10, s5, v10
	v_ashrrev_i32_e32 v3, 31, v2
	v_ashrrev_i32_e32 v11, 31, v10
	v_lshl_add_u64 v[38:39], v[2:3], 3, s[0:1]
	flat_load_dwordx2 v[2:3], v[34:35]
	flat_load_dwordx2 v[4:5], v[36:37]
	;; [unrolled: 1-line block ×4, first 2 shown]
	v_lshl_add_u64 v[42:43], v[10:11], 3, s[0:1]
	v_add_u32_e32 v10, s5, v10
	v_ashrrev_i32_e32 v11, 31, v10
	v_lshl_add_u64 v[44:45], v[10:11], 3, s[0:1]
	flat_load_dwordx2 v[10:11], v[42:43]
	flat_load_dwordx2 v[12:13], v[44:45]
	s_cmpk_lg_i32 s13, 0x84
	s_cselect_b64 s[14:15], -1, 0
	s_cmpk_eq_i32 s13, 0x84
	v_mov_b64_e32 v[20:21], -1.0
	s_cbranch_scc1 .LBB69_3
; %bb.2:
	v_cmp_eq_u32_e64 s[0:1], 1, v0
	v_cmp_eq_u32_e64 s[2:3], 2, v0
	;; [unrolled: 1-line block ×3, first 2 shown]
	s_waitcnt vmcnt(0) lgkmcnt(0)
	v_cndmask_b32_e64 v14, v3, v5, s[0:1]
	v_cndmask_b32_e64 v14, v14, v7, s[2:3]
	v_cndmask_b32_e64 v14, v14, v9, s[4:5]
	v_cmp_eq_u32_e64 s[6:7], 4, v0
	v_cmp_eq_u32_e64 s[8:9], 5, v0
	s_nop 0
	v_cndmask_b32_e64 v14, v14, v11, s[6:7]
	v_cndmask_b32_e64 v15, v14, v13, s[8:9]
	;; [unrolled: 1-line block ×7, first 2 shown]
	v_div_scale_f64 v[16:17], s[10:11], v[14:15], v[14:15], 1.0
	v_rcp_f64_e32 v[20:21], v[16:17]
	s_nop 0
	v_fma_f64 v[22:23], -v[16:17], v[20:21], 1.0
	v_fmac_f64_e32 v[20:21], v[20:21], v[22:23]
	v_fma_f64 v[22:23], -v[16:17], v[20:21], 1.0
	v_fmac_f64_e32 v[20:21], v[20:21], v[22:23]
	v_div_scale_f64 v[22:23], vcc, 1.0, v[14:15], 1.0
	v_mul_f64 v[24:25], v[22:23], v[20:21]
	v_fma_f64 v[16:17], -v[16:17], v[24:25], v[22:23]
	s_nop 1
	v_div_fmas_f64 v[16:17], v[16:17], v[20:21], v[24:25]
	v_div_fixup_f64 v[20:21], v[16:17], v[14:15], 1.0
	v_cmp_eq_u32_e32 vcc, 0, v0
	v_cndmask_b32_e64 v13, v13, v21, s[8:9]
	v_cndmask_b32_e64 v12, v12, v20, s[8:9]
	;; [unrolled: 1-line block ×10, first 2 shown]
	v_cndmask_b32_e32 v3, v3, v21, vcc
	v_cndmask_b32_e32 v2, v2, v20, vcc
	v_xor_b32_e32 v21, 0x80000000, v21
.LBB69_3:
	s_cmpk_eq_i32 s12, 0x79
	v_add_u32_e32 v49, 48, v18
	ds_write_b64 v18, v[20:21]
	s_cbranch_scc1 .LBB69_7
; %bb.4:
	s_waitcnt vmcnt(0) lgkmcnt(0)
	v_mov_b64_e32 v[32:33], v[16:17]
	v_cmp_eq_u32_e64 s[0:1], 5, v0
	v_mov_b64_e32 v[30:31], v[14:15]
	v_mov_b64_e32 v[28:29], v[12:13]
	;; [unrolled: 1-line block ×7, first 2 shown]
	ds_write_b64 v49, v[10:11]
	s_waitcnt lgkmcnt(0)
	; wave barrier
	s_and_saveexec_b64 s[10:11], s[0:1]
	s_cbranch_execz .LBB69_11
; %bb.5:
	s_and_b64 vcc, exec, s[14:15]
	s_cbranch_vccz .LBB69_8
; %bb.6:
	v_cmp_eq_u32_e32 vcc, 1, v0
	v_cmp_eq_u32_e64 s[2:3], 2, v0
	v_cmp_eq_u32_e64 s[4:5], 3, v0
	v_cndmask_b32_e32 v18, v3, v5, vcc
	v_cndmask_b32_e64 v18, v18, v7, s[2:3]
	v_cndmask_b32_e64 v18, v18, v9, s[4:5]
	v_cmp_eq_u32_e64 s[6:7], 4, v0
	v_cmp_eq_u32_e64 s[8:9], 5, v0
	ds_read_b64 v[20:21], v49
	v_cndmask_b32_e64 v18, v18, v11, s[6:7]
	v_cndmask_b32_e64 v19, v18, v13, s[8:9]
	v_cndmask_b32_e32 v18, v2, v4, vcc
	v_cndmask_b32_e64 v18, v18, v6, s[2:3]
	v_cndmask_b32_e64 v18, v18, v8, s[4:5]
	;; [unrolled: 1-line block ×4, first 2 shown]
	s_waitcnt lgkmcnt(0)
	v_mul_f64 v[22:23], v[18:19], v[20:21]
	s_cbranch_execz .LBB69_9
	s_branch .LBB69_10
.LBB69_7:
                                        ; implicit-def: $vgpr18_vgpr19_vgpr20_vgpr21_vgpr22_vgpr23_vgpr24_vgpr25_vgpr26_vgpr27_vgpr28_vgpr29_vgpr30_vgpr31_vgpr32_vgpr33
	s_cbranch_execnz .LBB69_66
	s_branch .LBB69_107
.LBB69_8:
                                        ; implicit-def: $vgpr22_vgpr23
.LBB69_9:
	ds_read_b64 v[22:23], v49
.LBB69_10:
	v_mov_b32_e32 v18, 0
	ds_read_b64 v[24:25], v18 offset:32
	v_mov_b32_e32 v18, v2
	v_mov_b32_e32 v19, v3
	;; [unrolled: 1-line block ×4, first 2 shown]
	s_waitcnt lgkmcnt(0)
	v_mul_f64 v[26:27], v[22:23], v[24:25]
	v_mov_b32_e32 v22, v6
	v_mov_b32_e32 v23, v7
	;; [unrolled: 1-line block ×6, first 2 shown]
.LBB69_11:
	s_or_b64 exec, exec, s[10:11]
	v_cmp_lt_u32_e64 s[2:3], 3, v0
	ds_write_b64 v49, v[24:25]
	s_waitcnt lgkmcnt(0)
	; wave barrier
	s_and_saveexec_b64 s[12:13], s[2:3]
	s_cbranch_execz .LBB69_17
; %bb.12:
	s_andn2_b64 vcc, exec, s[14:15]
	s_cbranch_vccnz .LBB69_14
; %bb.13:
	v_cmp_eq_u32_e32 vcc, 1, v0
	v_cmp_eq_u32_e64 s[4:5], 2, v0
	v_cmp_eq_u32_e64 s[6:7], 3, v0
	v_cndmask_b32_e32 v30, v19, v21, vcc
	v_cndmask_b32_e64 v30, v30, v23, s[4:5]
	v_cndmask_b32_e64 v25, v30, v25, s[6:7]
	v_cndmask_b32_e32 v32, v18, v20, vcc
	ds_read_b64 v[30:31], v49
	v_cndmask_b32_e64 v32, v32, v22, s[4:5]
	v_cmp_eq_u32_e64 s[8:9], 4, v0
	v_cndmask_b32_e64 v24, v32, v24, s[6:7]
	v_cmp_eq_u32_e64 s[10:11], 5, v0
	v_cndmask_b32_e64 v25, v25, v27, s[8:9]
	v_cndmask_b32_e64 v24, v24, v26, s[8:9]
	;; [unrolled: 1-line block ×4, first 2 shown]
	s_waitcnt lgkmcnt(0)
	v_mul_f64 v[24:25], v[24:25], v[30:31]
	s_cbranch_execz .LBB69_15
	s_branch .LBB69_16
.LBB69_14:
                                        ; implicit-def: $vgpr24_vgpr25
.LBB69_15:
	ds_read_b64 v[24:25], v49
.LBB69_16:
	v_mov_b32_e32 v30, 0
	ds_read2_b64 v[30:33], v30 offset0:3 offset1:10
	s_waitcnt lgkmcnt(0)
	v_fma_f64 v[32:33], v[26:27], v[32:33], v[24:25]
	v_cndmask_b32_e64 v25, v25, v33, s[0:1]
	v_cndmask_b32_e64 v24, v24, v32, s[0:1]
	v_mul_f64 v[24:25], v[24:25], v[30:31]
.LBB69_17:
	s_or_b64 exec, exec, s[12:13]
	v_cmp_lt_u32_e64 s[0:1], 2, v0
	ds_write_b64 v49, v[22:23]
	s_waitcnt lgkmcnt(0)
	; wave barrier
	s_and_saveexec_b64 s[12:13], s[0:1]
	s_cbranch_execz .LBB69_33
; %bb.18:
	s_andn2_b64 vcc, exec, s[14:15]
	s_cbranch_vccnz .LBB69_20
; %bb.19:
	v_cmp_eq_u32_e32 vcc, 1, v0
	v_cmp_eq_u32_e64 s[4:5], 2, v0
	v_cmp_eq_u32_e64 s[6:7], 3, v0
	v_cndmask_b32_e32 v46, v19, v21, vcc
	v_cndmask_b32_e64 v46, v46, v23, s[4:5]
	v_cndmask_b32_e64 v46, v46, v25, s[6:7]
	v_cmp_eq_u32_e64 s[8:9], 4, v0
	v_cmp_eq_u32_e64 s[10:11], 5, v0
	ds_read_b64 v[50:51], v49
	v_cndmask_b32_e64 v46, v46, v27, s[8:9]
	v_cndmask_b32_e64 v47, v46, v29, s[10:11]
	v_cndmask_b32_e32 v46, v18, v20, vcc
	v_cndmask_b32_e64 v46, v46, v22, s[4:5]
	v_cndmask_b32_e64 v46, v46, v24, s[6:7]
	;; [unrolled: 1-line block ×4, first 2 shown]
	s_waitcnt lgkmcnt(0)
	v_mul_f64 v[46:47], v[46:47], v[50:51]
	s_cbranch_execz .LBB69_21
	s_branch .LBB69_22
.LBB69_20:
                                        ; implicit-def: $vgpr46_vgpr47
.LBB69_21:
	ds_read_b64 v[46:47], v49
.LBB69_22:
	s_and_saveexec_b64 s[6:7], s[2:3]
	s_cbranch_execz .LBB69_32
; %bb.23:
	v_add_u32_e32 v48, -4, v0
	v_add_u32_e32 v51, -3, v0
	v_cmp_lt_u32_e32 vcc, 6, v48
	v_mov_b32_e32 v50, 3
	s_and_saveexec_b64 s[2:3], vcc
	s_cbranch_execz .LBB69_27
; %bb.24:
	v_and_b32_e32 v48, -8, v51
	v_sub_u32_e32 v48, 0, v48
	s_mov_b64 s[4:5], 10
	s_movk_i32 s10, 0x48
	s_mov_b64 s[8:9], 0
.LBB69_25:                              ; =>This Inner Loop Header: Depth=1
	s_lshl_b32 s11, s4, 1
	s_add_i32 s16, s11, -13
	v_mov_b32_e32 v66, s10
	s_add_i32 s17, s11, -14
	s_set_gpr_idx_on s16, gpr_idx(SRC0)
	v_mov_b32_e32 v61, v18
	s_set_gpr_idx_off
	s_add_i32 s18, s11, -11
	s_set_gpr_idx_on s17, gpr_idx(SRC0)
	v_mov_b32_e32 v60, v18
	s_set_gpr_idx_off
	ds_read2_b64 v[52:55], v66 offset1:1
	s_add_i32 s19, s11, -12
	s_set_gpr_idx_on s18, gpr_idx(SRC0)
	v_mov_b32_e32 v63, v18
	s_set_gpr_idx_off
	s_add_i32 s20, s11, -9
	s_set_gpr_idx_on s19, gpr_idx(SRC0)
	v_mov_b32_e32 v62, v18
	s_set_gpr_idx_off
	;; [unrolled: 4-line block ×4, first 2 shown]
	ds_read2_b64 v[56:59], v66 offset0:2 offset1:3
	s_add_i32 s23, s11, -8
	s_waitcnt lgkmcnt(1)
	v_fmac_f64_e32 v[46:47], v[60:61], v[52:53]
	s_set_gpr_idx_on s22, gpr_idx(SRC0)
	v_mov_b32_e32 v61, v18
	s_set_gpr_idx_off
	s_add_i32 s24, s11, -5
	v_fmac_f64_e32 v[46:47], v[62:63], v[54:55]
	s_set_gpr_idx_on s23, gpr_idx(SRC0)
	v_mov_b32_e32 v60, v18
	s_set_gpr_idx_off
	s_add_i32 s25, s11, -6
	s_set_gpr_idx_on s24, gpr_idx(SRC0)
	v_mov_b32_e32 v63, v18
	s_set_gpr_idx_off
	s_add_i32 s26, s11, -3
	;; [unrolled: 4-line block ×3, first 2 shown]
	ds_read2_b64 v[52:55], v66 offset0:4 offset1:5
	s_waitcnt lgkmcnt(1)
	v_fmac_f64_e32 v[46:47], v[64:65], v[56:57]
	s_set_gpr_idx_on s26, gpr_idx(SRC0)
	v_mov_b32_e32 v65, v18
	s_set_gpr_idx_off
	s_add_i32 s28, s11, -1
	v_fmac_f64_e32 v[46:47], v[60:61], v[58:59]
	s_set_gpr_idx_on s27, gpr_idx(SRC0)
	v_mov_b32_e32 v64, v18
	s_set_gpr_idx_off
	s_add_i32 s29, s11, -2
	s_set_gpr_idx_on s28, gpr_idx(SRC0)
	v_mov_b32_e32 v61, v18
	s_set_gpr_idx_off
	s_set_gpr_idx_on s29, gpr_idx(SRC0)
	v_mov_b32_e32 v60, v18
	s_set_gpr_idx_off
	ds_read2_b64 v[56:59], v66 offset0:6 offset1:7
	s_add_u32 s4, s4, 8
	s_waitcnt lgkmcnt(1)
	v_fmac_f64_e32 v[46:47], v[62:63], v[52:53]
	s_set_gpr_idx_on s11, gpr_idx(SRC0)
	v_mov_b32_e32 v53, v19
	s_set_gpr_idx_off
	v_add_u32_e32 v50, s4, v48
	v_fmac_f64_e32 v[46:47], v[64:65], v[54:55]
	s_set_gpr_idx_on s11, gpr_idx(SRC0)
	v_mov_b32_e32 v52, v18
	s_set_gpr_idx_off
	s_addc_u32 s5, s5, 0
	s_add_i32 s10, s10, 64
	s_add_i32 s16, s4, -7
	v_cmp_eq_u32_e32 vcc, 10, v50
	s_waitcnt lgkmcnt(0)
	v_fmac_f64_e32 v[46:47], v[60:61], v[56:57]
	v_mov_b32_e32 v50, s16
	s_or_b64 s[8:9], vcc, s[8:9]
	v_fmac_f64_e32 v[46:47], v[52:53], v[58:59]
	s_andn2_b64 exec, exec, s[8:9]
	s_cbranch_execnz .LBB69_25
; %bb.26:
	s_or_b64 exec, exec, s[8:9]
.LBB69_27:
	s_or_b64 exec, exec, s[2:3]
	v_and_b32_e32 v30, 7, v51
	v_cmp_ne_u32_e32 vcc, 0, v30
	s_and_saveexec_b64 s[8:9], vcc
	s_cbranch_execz .LBB69_31
; %bb.28:
	v_lshl_add_u32 v31, v50, 3, 48
	v_mov_b32_e32 v51, 0
	s_mov_b64 s[10:11], 0
.LBB69_29:                              ; =>This Inner Loop Header: Depth=1
	v_cmp_eq_u32_e32 vcc, 1, v50
	v_add_u32_e32 v30, -1, v30
	v_cmp_eq_u32_e64 s[2:3], 2, v50
	v_cndmask_b32_e32 v48, v19, v21, vcc
	ds_read_b64 v[32:33], v31
	v_cndmask_b32_e64 v48, v48, v23, s[2:3]
	v_cndmask_b32_e32 v52, v18, v20, vcc
	v_cmp_eq_u32_e32 vcc, 0, v30
	v_cmp_eq_u32_e64 s[4:5], 3, v50
	v_cndmask_b32_e64 v52, v52, v22, s[2:3]
	s_or_b64 s[10:11], vcc, s[10:11]
	v_cndmask_b32_e64 v48, v48, v25, s[4:5]
	v_cmp_eq_u32_e32 vcc, 4, v50
	v_cmp_eq_u32_e64 s[2:3], 5, v50
	v_cndmask_b32_e64 v52, v52, v24, s[4:5]
	v_cndmask_b32_e32 v48, v48, v27, vcc
	v_cndmask_b32_e64 v53, v48, v29, s[2:3]
	v_cndmask_b32_e32 v48, v52, v26, vcc
	v_cndmask_b32_e64 v52, v48, v28, s[2:3]
	v_add_u32_e32 v31, 8, v31
	v_lshl_add_u64 v[50:51], v[50:51], 0, 1
	s_waitcnt lgkmcnt(0)
	v_fmac_f64_e32 v[46:47], v[52:53], v[32:33]
	s_andn2_b64 exec, exec, s[10:11]
	s_cbranch_execnz .LBB69_29
; %bb.30:
	s_or_b64 exec, exec, s[10:11]
.LBB69_31:
	s_or_b64 exec, exec, s[8:9]
.LBB69_32:
	s_or_b64 exec, exec, s[6:7]
	v_mov_b32_e32 v22, 0
	ds_read_b64 v[22:23], v22 offset:16
	s_waitcnt lgkmcnt(0)
	v_mul_f64 v[22:23], v[46:47], v[22:23]
.LBB69_33:
	s_or_b64 exec, exec, s[12:13]
	v_cmp_lt_u32_e64 s[2:3], 1, v0
	ds_write_b64 v49, v[20:21]
	s_waitcnt lgkmcnt(0)
	; wave barrier
	s_and_saveexec_b64 s[12:13], s[2:3]
	s_cbranch_execz .LBB69_49
; %bb.34:
	s_andn2_b64 vcc, exec, s[14:15]
	s_cbranch_vccnz .LBB69_36
; %bb.35:
	v_cmp_eq_u32_e32 vcc, 1, v0
	v_cmp_eq_u32_e64 s[4:5], 2, v0
	v_cmp_eq_u32_e64 s[6:7], 3, v0
	v_cndmask_b32_e32 v46, v19, v21, vcc
	v_cndmask_b32_e64 v46, v46, v23, s[4:5]
	v_cndmask_b32_e64 v46, v46, v25, s[6:7]
	v_cmp_eq_u32_e64 s[8:9], 4, v0
	v_cmp_eq_u32_e64 s[10:11], 5, v0
	ds_read_b64 v[50:51], v49
	v_cndmask_b32_e64 v46, v46, v27, s[8:9]
	v_cndmask_b32_e64 v47, v46, v29, s[10:11]
	v_cndmask_b32_e32 v46, v18, v20, vcc
	v_cndmask_b32_e64 v46, v46, v22, s[4:5]
	v_cndmask_b32_e64 v46, v46, v24, s[6:7]
	;; [unrolled: 1-line block ×4, first 2 shown]
	s_waitcnt lgkmcnt(0)
	v_mul_f64 v[46:47], v[46:47], v[50:51]
	s_cbranch_execz .LBB69_37
	s_branch .LBB69_38
.LBB69_36:
                                        ; implicit-def: $vgpr46_vgpr47
.LBB69_37:
	ds_read_b64 v[46:47], v49
.LBB69_38:
	s_and_saveexec_b64 s[6:7], s[0:1]
	s_cbranch_execz .LBB69_48
; %bb.39:
	v_add_u32_e32 v48, -3, v0
	v_add_u32_e32 v51, -2, v0
	v_cmp_lt_u32_e32 vcc, 6, v48
	v_mov_b32_e32 v50, 2
	s_and_saveexec_b64 s[0:1], vcc
	s_cbranch_execz .LBB69_43
; %bb.40:
	v_and_b32_e32 v48, -8, v51
	v_sub_u32_e32 v48, 0, v48
	s_mov_b64 s[4:5], 9
	s_mov_b32 s10, 64
	s_mov_b64 s[8:9], 0
.LBB69_41:                              ; =>This Inner Loop Header: Depth=1
	s_lshl_b32 s11, s4, 1
	s_add_i32 s16, s11, -13
	s_add_i32 s17, s11, -14
	s_set_gpr_idx_on s16, gpr_idx(SRC0)
	v_mov_b32_e32 v69, v18
	s_set_gpr_idx_off
	v_mov_b32_e32 v50, s10
	s_add_i32 s18, s11, -11
	s_set_gpr_idx_on s17, gpr_idx(SRC0)
	v_mov_b32_e32 v68, v18
	s_set_gpr_idx_off
	s_add_i32 s19, s11, -12
	ds_read_b128 v[52:55], v50
	ds_read_b128 v[56:59], v50 offset:16
	ds_read_b128 v[60:63], v50 offset:32
	;; [unrolled: 1-line block ×3, first 2 shown]
	s_set_gpr_idx_on s18, gpr_idx(SRC0)
	v_mov_b32_e32 v71, v18
	s_set_gpr_idx_off
	s_add_i32 s20, s11, -9
	s_set_gpr_idx_on s19, gpr_idx(SRC0)
	v_mov_b32_e32 v70, v18
	s_set_gpr_idx_off
	s_add_i32 s21, s11, -10
	;; [unrolled: 4-line block ×4, first 2 shown]
	s_waitcnt lgkmcnt(3)
	v_fmac_f64_e32 v[46:47], v[68:69], v[52:53]
	s_set_gpr_idx_on s22, gpr_idx(SRC0)
	v_mov_b32_e32 v53, v18
	s_set_gpr_idx_off
	s_add_i32 s24, s11, -5
	v_fmac_f64_e32 v[46:47], v[70:71], v[54:55]
	s_set_gpr_idx_on s23, gpr_idx(SRC0)
	v_mov_b32_e32 v52, v18
	s_set_gpr_idx_off
	s_add_i32 s25, s11, -6
	s_waitcnt lgkmcnt(2)
	v_fmac_f64_e32 v[46:47], v[72:73], v[56:57]
	s_set_gpr_idx_on s24, gpr_idx(SRC0)
	v_mov_b32_e32 v55, v18
	s_set_gpr_idx_off
	s_add_i32 s26, s11, -3
	v_fmac_f64_e32 v[46:47], v[52:53], v[58:59]
	s_set_gpr_idx_on s25, gpr_idx(SRC0)
	v_mov_b32_e32 v54, v18
	s_set_gpr_idx_off
	s_add_i32 s27, s11, -4
	s_waitcnt lgkmcnt(1)
	v_fmac_f64_e32 v[46:47], v[54:55], v[60:61]
	s_set_gpr_idx_on s26, gpr_idx(SRC0)
	v_mov_b32_e32 v53, v18
	s_set_gpr_idx_off
	s_add_i32 s28, s11, -1
	s_set_gpr_idx_on s27, gpr_idx(SRC0)
	v_mov_b32_e32 v52, v18
	s_set_gpr_idx_off
	s_add_i32 s29, s11, -2
	v_fmac_f64_e32 v[46:47], v[52:53], v[62:63]
	s_set_gpr_idx_on s28, gpr_idx(SRC0)
	v_mov_b32_e32 v53, v18
	s_set_gpr_idx_off
	s_add_u32 s4, s4, 8
	s_set_gpr_idx_on s29, gpr_idx(SRC0)
	v_mov_b32_e32 v52, v18
	s_set_gpr_idx_off
	v_add_u32_e32 v50, s4, v48
	s_waitcnt lgkmcnt(0)
	v_fmac_f64_e32 v[46:47], v[52:53], v[64:65]
	s_set_gpr_idx_on s11, gpr_idx(SRC0)
	v_mov_b32_e32 v53, v19
	s_set_gpr_idx_off
	s_addc_u32 s5, s5, 0
	s_add_i32 s10, s10, 64
	s_add_i32 s16, s4, -7
	v_cmp_eq_u32_e32 vcc, 9, v50
	s_set_gpr_idx_on s11, gpr_idx(SRC0)
	v_mov_b32_e32 v52, v18
	s_set_gpr_idx_off
	v_mov_b32_e32 v50, s16
	s_or_b64 s[8:9], vcc, s[8:9]
	v_fmac_f64_e32 v[46:47], v[52:53], v[66:67]
	s_andn2_b64 exec, exec, s[8:9]
	s_cbranch_execnz .LBB69_41
; %bb.42:
	s_or_b64 exec, exec, s[8:9]
.LBB69_43:
	s_or_b64 exec, exec, s[0:1]
	v_and_b32_e32 v30, 7, v51
	v_cmp_ne_u32_e32 vcc, 0, v30
	s_and_saveexec_b64 s[8:9], vcc
	s_cbranch_execz .LBB69_47
; %bb.44:
	v_lshl_add_u32 v31, v50, 3, 48
	v_mov_b32_e32 v51, 0
	s_mov_b64 s[10:11], 0
.LBB69_45:                              ; =>This Inner Loop Header: Depth=1
	v_cmp_eq_u32_e32 vcc, 1, v50
	v_add_u32_e32 v30, -1, v30
	v_cmp_eq_u32_e64 s[0:1], 2, v50
	v_cndmask_b32_e32 v48, v19, v21, vcc
	ds_read_b64 v[32:33], v31
	v_cndmask_b32_e64 v48, v48, v23, s[0:1]
	v_cndmask_b32_e32 v52, v18, v20, vcc
	v_cmp_eq_u32_e32 vcc, 0, v30
	v_cmp_eq_u32_e64 s[4:5], 3, v50
	v_cndmask_b32_e64 v52, v52, v22, s[0:1]
	s_or_b64 s[10:11], vcc, s[10:11]
	v_cndmask_b32_e64 v48, v48, v25, s[4:5]
	v_cmp_eq_u32_e32 vcc, 4, v50
	v_cmp_eq_u32_e64 s[0:1], 5, v50
	v_cndmask_b32_e64 v52, v52, v24, s[4:5]
	v_cndmask_b32_e32 v48, v48, v27, vcc
	v_cndmask_b32_e64 v53, v48, v29, s[0:1]
	v_cndmask_b32_e32 v48, v52, v26, vcc
	v_cndmask_b32_e64 v52, v48, v28, s[0:1]
	v_add_u32_e32 v31, 8, v31
	v_lshl_add_u64 v[50:51], v[50:51], 0, 1
	s_waitcnt lgkmcnt(0)
	v_fmac_f64_e32 v[46:47], v[52:53], v[32:33]
	s_andn2_b64 exec, exec, s[10:11]
	s_cbranch_execnz .LBB69_45
; %bb.46:
	s_or_b64 exec, exec, s[10:11]
.LBB69_47:
	s_or_b64 exec, exec, s[8:9]
.LBB69_48:
	s_or_b64 exec, exec, s[6:7]
	v_mov_b32_e32 v20, 0
	ds_read_b64 v[20:21], v20 offset:8
	s_waitcnt lgkmcnt(0)
	v_mul_f64 v[20:21], v[46:47], v[20:21]
.LBB69_49:
	s_or_b64 exec, exec, s[12:13]
	v_cmp_ne_u32_e32 vcc, 0, v0
	ds_write_b64 v49, v[18:19]
	s_waitcnt lgkmcnt(0)
	; wave barrier
	s_and_saveexec_b64 s[10:11], vcc
	s_cbranch_execz .LBB69_65
; %bb.50:
	s_andn2_b64 vcc, exec, s[14:15]
	s_cbranch_vccnz .LBB69_52
; %bb.51:
	v_cmp_eq_u32_e32 vcc, 1, v0
	v_cmp_eq_u32_e64 s[0:1], 2, v0
	v_cmp_eq_u32_e64 s[4:5], 3, v0
	v_cndmask_b32_e32 v46, v19, v21, vcc
	v_cndmask_b32_e64 v46, v46, v23, s[0:1]
	v_cndmask_b32_e64 v46, v46, v25, s[4:5]
	v_cmp_eq_u32_e64 s[6:7], 4, v0
	v_cmp_eq_u32_e64 s[8:9], 5, v0
	ds_read_b64 v[50:51], v49
	v_cndmask_b32_e64 v46, v46, v27, s[6:7]
	v_cndmask_b32_e64 v47, v46, v29, s[8:9]
	v_cndmask_b32_e32 v46, v18, v20, vcc
	v_cndmask_b32_e64 v46, v46, v22, s[0:1]
	v_cndmask_b32_e64 v46, v46, v24, s[4:5]
	;; [unrolled: 1-line block ×4, first 2 shown]
	s_waitcnt lgkmcnt(0)
	v_mul_f64 v[46:47], v[46:47], v[50:51]
	s_cbranch_execz .LBB69_53
	s_branch .LBB69_54
.LBB69_52:
                                        ; implicit-def: $vgpr46_vgpr47
.LBB69_53:
	ds_read_b64 v[46:47], v49
.LBB69_54:
	s_and_saveexec_b64 s[4:5], s[2:3]
	s_cbranch_execz .LBB69_64
; %bb.55:
	v_add_u32_e32 v48, -2, v0
	v_add_u32_e32 v51, -1, v0
	v_cmp_lt_u32_e32 vcc, 6, v48
	v_mov_b32_e32 v50, 1
	s_and_saveexec_b64 s[0:1], vcc
	s_cbranch_execz .LBB69_59
; %bb.56:
	v_and_b32_e32 v48, -8, v51
	v_sub_u32_e32 v48, 0, v48
	s_mov_b64 s[2:3], 8
	s_mov_b32 s8, 56
	s_mov_b64 s[6:7], 0
.LBB69_57:                              ; =>This Inner Loop Header: Depth=1
	s_lshl_b32 s9, s2, 1
	s_add_i32 s12, s9, -13
	v_mov_b32_e32 v66, s8
	s_add_i32 s13, s9, -14
	s_set_gpr_idx_on s12, gpr_idx(SRC0)
	v_mov_b32_e32 v61, v18
	s_set_gpr_idx_off
	s_add_i32 s16, s9, -11
	s_set_gpr_idx_on s13, gpr_idx(SRC0)
	v_mov_b32_e32 v60, v18
	s_set_gpr_idx_off
	ds_read2_b64 v[52:55], v66 offset1:1
	s_add_i32 s17, s9, -12
	s_set_gpr_idx_on s16, gpr_idx(SRC0)
	v_mov_b32_e32 v63, v18
	s_set_gpr_idx_off
	s_add_i32 s18, s9, -9
	s_set_gpr_idx_on s17, gpr_idx(SRC0)
	v_mov_b32_e32 v62, v18
	s_set_gpr_idx_off
	;; [unrolled: 4-line block ×4, first 2 shown]
	ds_read2_b64 v[56:59], v66 offset0:2 offset1:3
	s_add_i32 s21, s9, -8
	s_waitcnt lgkmcnt(1)
	v_fmac_f64_e32 v[46:47], v[60:61], v[52:53]
	s_set_gpr_idx_on s20, gpr_idx(SRC0)
	v_mov_b32_e32 v61, v18
	s_set_gpr_idx_off
	s_add_i32 s22, s9, -5
	v_fmac_f64_e32 v[46:47], v[62:63], v[54:55]
	s_set_gpr_idx_on s21, gpr_idx(SRC0)
	v_mov_b32_e32 v60, v18
	s_set_gpr_idx_off
	s_add_i32 s23, s9, -6
	s_set_gpr_idx_on s22, gpr_idx(SRC0)
	v_mov_b32_e32 v63, v18
	s_set_gpr_idx_off
	s_add_i32 s24, s9, -3
	;; [unrolled: 4-line block ×3, first 2 shown]
	ds_read2_b64 v[52:55], v66 offset0:4 offset1:5
	s_waitcnt lgkmcnt(1)
	v_fmac_f64_e32 v[46:47], v[64:65], v[56:57]
	s_set_gpr_idx_on s24, gpr_idx(SRC0)
	v_mov_b32_e32 v65, v18
	s_set_gpr_idx_off
	s_add_i32 s26, s9, -1
	v_fmac_f64_e32 v[46:47], v[60:61], v[58:59]
	s_set_gpr_idx_on s25, gpr_idx(SRC0)
	v_mov_b32_e32 v64, v18
	s_set_gpr_idx_off
	s_add_i32 s27, s9, -2
	s_set_gpr_idx_on s26, gpr_idx(SRC0)
	v_mov_b32_e32 v61, v18
	s_set_gpr_idx_off
	s_set_gpr_idx_on s27, gpr_idx(SRC0)
	v_mov_b32_e32 v60, v18
	s_set_gpr_idx_off
	ds_read2_b64 v[56:59], v66 offset0:6 offset1:7
	s_add_u32 s2, s2, 8
	s_waitcnt lgkmcnt(1)
	v_fmac_f64_e32 v[46:47], v[62:63], v[52:53]
	s_set_gpr_idx_on s9, gpr_idx(SRC0)
	v_mov_b32_e32 v53, v19
	s_set_gpr_idx_off
	v_add_u32_e32 v50, s2, v48
	v_fmac_f64_e32 v[46:47], v[64:65], v[54:55]
	s_set_gpr_idx_on s9, gpr_idx(SRC0)
	v_mov_b32_e32 v52, v18
	s_set_gpr_idx_off
	s_addc_u32 s3, s3, 0
	s_add_i32 s8, s8, 64
	s_add_i32 s12, s2, -7
	v_cmp_eq_u32_e32 vcc, 8, v50
	s_waitcnt lgkmcnt(0)
	v_fmac_f64_e32 v[46:47], v[60:61], v[56:57]
	v_mov_b32_e32 v50, s12
	s_or_b64 s[6:7], vcc, s[6:7]
	v_fmac_f64_e32 v[46:47], v[52:53], v[58:59]
	s_andn2_b64 exec, exec, s[6:7]
	s_cbranch_execnz .LBB69_57
; %bb.58:
	s_or_b64 exec, exec, s[6:7]
.LBB69_59:
	s_or_b64 exec, exec, s[0:1]
	v_and_b32_e32 v30, 7, v51
	v_cmp_ne_u32_e32 vcc, 0, v30
	s_and_saveexec_b64 s[6:7], vcc
	s_cbranch_execz .LBB69_63
; %bb.60:
	v_lshl_add_u32 v31, v50, 3, 48
	v_mov_b32_e32 v51, 0
	s_mov_b64 s[8:9], 0
.LBB69_61:                              ; =>This Inner Loop Header: Depth=1
	v_cmp_eq_u32_e32 vcc, 1, v50
	v_add_u32_e32 v30, -1, v30
	v_cmp_eq_u32_e64 s[0:1], 2, v50
	v_cndmask_b32_e32 v48, v19, v21, vcc
	ds_read_b64 v[32:33], v31
	v_cndmask_b32_e64 v48, v48, v23, s[0:1]
	v_cndmask_b32_e32 v52, v18, v20, vcc
	v_cmp_eq_u32_e32 vcc, 0, v30
	v_cmp_eq_u32_e64 s[2:3], 3, v50
	v_cndmask_b32_e64 v52, v52, v22, s[0:1]
	s_or_b64 s[8:9], vcc, s[8:9]
	v_cndmask_b32_e64 v48, v48, v25, s[2:3]
	v_cmp_eq_u32_e32 vcc, 4, v50
	v_cmp_eq_u32_e64 s[0:1], 5, v50
	v_cndmask_b32_e64 v52, v52, v24, s[2:3]
	v_cndmask_b32_e32 v48, v48, v27, vcc
	v_cndmask_b32_e64 v53, v48, v29, s[0:1]
	v_cndmask_b32_e32 v48, v52, v26, vcc
	v_cndmask_b32_e64 v52, v48, v28, s[0:1]
	v_add_u32_e32 v31, 8, v31
	v_lshl_add_u64 v[50:51], v[50:51], 0, 1
	s_waitcnt lgkmcnt(0)
	v_fmac_f64_e32 v[46:47], v[52:53], v[32:33]
	s_andn2_b64 exec, exec, s[8:9]
	s_cbranch_execnz .LBB69_61
; %bb.62:
	s_or_b64 exec, exec, s[8:9]
.LBB69_63:
	s_or_b64 exec, exec, s[6:7]
.LBB69_64:
	s_or_b64 exec, exec, s[4:5]
	v_mov_b32_e32 v18, 0
	ds_read_b64 v[18:19], v18
	s_waitcnt lgkmcnt(0)
	v_mul_f64 v[18:19], v[46:47], v[18:19]
.LBB69_65:
	s_or_b64 exec, exec, s[10:11]
	s_branch .LBB69_107
.LBB69_66:
	v_cmp_eq_u32_e64 s[2:3], 0, v0
	s_waitcnt vmcnt(0) lgkmcnt(0)
	ds_write_b64 v49, v[4:5]
	s_waitcnt lgkmcnt(0)
	; wave barrier
	s_and_saveexec_b64 s[10:11], s[2:3]
	s_cbranch_execz .LBB69_72
; %bb.67:
	s_and_b64 vcc, exec, s[14:15]
	s_cbranch_vccz .LBB69_69
; %bb.68:
	v_cmp_eq_u32_e32 vcc, 1, v0
	v_cmp_eq_u32_e64 s[0:1], 2, v0
	ds_read_b64 v[14:15], v49
	v_cndmask_b32_e32 v5, v3, v5, vcc
	v_cndmask_b32_e32 v4, v2, v4, vcc
	v_cndmask_b32_e64 v5, v5, v7, s[0:1]
	v_cmp_eq_u32_e64 s[4:5], 3, v0
	v_cndmask_b32_e64 v4, v4, v6, s[0:1]
	v_cmp_eq_u32_e64 s[6:7], 4, v0
	v_cndmask_b32_e64 v5, v5, v9, s[4:5]
	v_cndmask_b32_e64 v4, v4, v8, s[4:5]
	;; [unrolled: 1-line block ×3, first 2 shown]
	v_cmp_eq_u32_e64 s[8:9], 5, v0
	v_cndmask_b32_e64 v4, v4, v10, s[6:7]
	s_nop 0
	v_cndmask_b32_e64 v5, v5, v13, s[8:9]
	v_cndmask_b32_e64 v4, v4, v12, s[8:9]
	s_waitcnt lgkmcnt(0)
	v_mul_f64 v[4:5], v[4:5], v[14:15]
	s_cbranch_execz .LBB69_70
	s_branch .LBB69_71
.LBB69_69:
                                        ; implicit-def: $vgpr4_vgpr5
.LBB69_70:
	ds_read_b64 v[4:5], v49
.LBB69_71:
	v_mov_b32_e32 v14, 0
	ds_read_b64 v[14:15], v14 offset:8
	s_waitcnt lgkmcnt(0)
	v_mul_f64 v[4:5], v[4:5], v[14:15]
.LBB69_72:
	s_or_b64 exec, exec, s[10:11]
	v_cndmask_b32_e64 v18, 0, 1, s[14:15]
	v_cmp_gt_u32_e32 vcc, 2, v0
	v_cmp_ne_u32_e64 s[0:1], 1, v18
	ds_write_b64 v49, v[6:7]
	s_waitcnt lgkmcnt(0)
	; wave barrier
	s_and_saveexec_b64 s[12:13], vcc
	s_cbranch_execz .LBB69_78
; %bb.73:
	s_and_b64 vcc, exec, s[0:1]
	s_cbranch_vccnz .LBB69_75
; %bb.74:
	v_cmp_eq_u32_e32 vcc, 1, v0
	v_cmp_eq_u32_e64 s[4:5], 2, v0
	v_cmp_eq_u32_e64 s[6:7], 3, v0
	v_cndmask_b32_e32 v14, v3, v5, vcc
	v_cndmask_b32_e64 v7, v14, v7, s[4:5]
	v_cndmask_b32_e32 v16, v2, v4, vcc
	ds_read_b64 v[14:15], v49
	v_cndmask_b32_e64 v6, v16, v6, s[4:5]
	v_cndmask_b32_e64 v7, v7, v9, s[6:7]
	v_cmp_eq_u32_e64 s[8:9], 4, v0
	v_cndmask_b32_e64 v6, v6, v8, s[6:7]
	v_cmp_eq_u32_e64 s[10:11], 5, v0
	v_cndmask_b32_e64 v7, v7, v11, s[8:9]
	v_cndmask_b32_e64 v6, v6, v10, s[8:9]
	;; [unrolled: 1-line block ×4, first 2 shown]
	s_waitcnt lgkmcnt(0)
	v_mul_f64 v[6:7], v[6:7], v[14:15]
	s_cbranch_execz .LBB69_76
	s_branch .LBB69_77
.LBB69_75:
                                        ; implicit-def: $vgpr6_vgpr7
.LBB69_76:
	ds_read_b64 v[6:7], v49
.LBB69_77:
	v_mov_b32_e32 v14, 0
	ds_read2_b64 v[14:17], v14 offset0:2 offset1:7
	s_waitcnt lgkmcnt(0)
	v_fma_f64 v[16:17], v[4:5], v[16:17], v[6:7]
	v_cndmask_b32_e64 v7, v7, v17, s[2:3]
	v_cndmask_b32_e64 v6, v6, v16, s[2:3]
	v_mul_f64 v[6:7], v[6:7], v[14:15]
.LBB69_78:
	s_or_b64 exec, exec, s[12:13]
	v_cmp_gt_u32_e32 vcc, 3, v0
	ds_write_b64 v49, v[8:9]
	s_waitcnt lgkmcnt(0)
	; wave barrier
	s_and_saveexec_b64 s[12:13], vcc
	s_cbranch_execz .LBB69_86
; %bb.79:
	s_and_b64 vcc, exec, s[0:1]
	s_cbranch_vccnz .LBB69_81
; %bb.80:
	v_cmp_eq_u32_e32 vcc, 1, v0
	v_cmp_eq_u32_e64 s[4:5], 2, v0
	v_cmp_eq_u32_e64 s[6:7], 3, v0
	v_cndmask_b32_e32 v14, v3, v5, vcc
	v_cndmask_b32_e64 v14, v14, v7, s[4:5]
	v_cndmask_b32_e64 v14, v14, v9, s[6:7]
	v_cmp_eq_u32_e64 s[8:9], 4, v0
	v_cmp_eq_u32_e64 s[10:11], 5, v0
	ds_read_b64 v[16:17], v49
	v_cndmask_b32_e64 v14, v14, v11, s[8:9]
	v_cndmask_b32_e64 v15, v14, v13, s[10:11]
	v_cndmask_b32_e32 v14, v2, v4, vcc
	v_cndmask_b32_e64 v14, v14, v6, s[4:5]
	v_cndmask_b32_e64 v14, v14, v8, s[6:7]
	;; [unrolled: 1-line block ×4, first 2 shown]
	s_waitcnt lgkmcnt(0)
	v_mul_f64 v[14:15], v[14:15], v[16:17]
	s_cbranch_execz .LBB69_82
	s_branch .LBB69_83
.LBB69_81:
                                        ; implicit-def: $vgpr14_vgpr15
.LBB69_82:
	ds_read_b64 v[14:15], v49
.LBB69_83:
	v_cmp_ne_u32_e32 vcc, 2, v0
	s_and_saveexec_b64 s[14:15], vcc
	s_cbranch_execz .LBB69_85
; %bb.84:
	v_add_u32_e32 v16, 1, v0
	v_cmp_eq_u32_e32 vcc, 1, v16
	v_cmp_eq_u32_e64 s[4:5], 2, v16
	v_cmp_eq_u32_e64 s[6:7], 3, v16
	v_cndmask_b32_e32 v17, v3, v5, vcc
	v_cndmask_b32_e64 v17, v17, v7, s[4:5]
	v_cmp_eq_u32_e64 s[8:9], 4, v16
	v_cmp_eq_u32_e64 s[10:11], 5, v16
	v_cndmask_b32_e32 v16, v2, v4, vcc
	v_mov_b32_e32 v18, 0
	v_cndmask_b32_e64 v9, v17, v9, s[6:7]
	v_cndmask_b32_e64 v20, v16, v6, s[4:5]
	ds_read_b64 v[16:17], v49 offset:8
	ds_read_b64 v[18:19], v18 offset:64
	v_cndmask_b32_e64 v8, v20, v8, s[6:7]
	v_cndmask_b32_e64 v9, v9, v11, s[8:9]
	;; [unrolled: 1-line block ×5, first 2 shown]
	s_waitcnt lgkmcnt(1)
	v_fmac_f64_e32 v[14:15], v[8:9], v[16:17]
	s_waitcnt lgkmcnt(0)
	v_fma_f64 v[8:9], v[6:7], v[18:19], v[14:15]
	v_cndmask_b32_e64 v15, v15, v9, s[2:3]
	v_cndmask_b32_e64 v14, v14, v8, s[2:3]
.LBB69_85:
	s_or_b64 exec, exec, s[14:15]
	v_mov_b32_e32 v8, 0
	ds_read_b64 v[8:9], v8 offset:24
	s_waitcnt lgkmcnt(0)
	v_mul_f64 v[8:9], v[14:15], v[8:9]
.LBB69_86:
	s_or_b64 exec, exec, s[12:13]
	v_cmp_gt_u32_e64 s[2:3], 4, v0
	ds_write_b64 v49, v[10:11]
	s_waitcnt lgkmcnt(0)
	; wave barrier
	s_and_saveexec_b64 s[12:13], s[2:3]
	s_cbranch_execz .LBB69_96
; %bb.87:
	s_and_b64 vcc, exec, s[0:1]
	s_cbranch_vccnz .LBB69_89
; %bb.88:
	v_cmp_eq_u32_e32 vcc, 1, v0
	v_cmp_eq_u32_e64 s[4:5], 2, v0
	v_cmp_eq_u32_e64 s[6:7], 3, v0
	v_cndmask_b32_e32 v14, v3, v5, vcc
	v_cndmask_b32_e64 v14, v14, v7, s[4:5]
	v_cndmask_b32_e64 v14, v14, v9, s[6:7]
	v_cmp_eq_u32_e64 s[8:9], 4, v0
	v_cmp_eq_u32_e64 s[10:11], 5, v0
	ds_read_b64 v[16:17], v49
	v_cndmask_b32_e64 v14, v14, v11, s[8:9]
	v_cndmask_b32_e64 v15, v14, v13, s[10:11]
	v_cndmask_b32_e32 v14, v2, v4, vcc
	v_cndmask_b32_e64 v14, v14, v6, s[4:5]
	v_cndmask_b32_e64 v14, v14, v8, s[6:7]
	;; [unrolled: 1-line block ×4, first 2 shown]
	s_waitcnt lgkmcnt(0)
	v_mul_f64 v[14:15], v[14:15], v[16:17]
	s_cbranch_execz .LBB69_90
	s_branch .LBB69_91
.LBB69_89:
                                        ; implicit-def: $vgpr14_vgpr15
.LBB69_90:
	ds_read_b64 v[14:15], v49
.LBB69_91:
	v_cmp_ne_u32_e32 vcc, 3, v0
	s_and_saveexec_b64 s[8:9], vcc
	s_cbranch_execz .LBB69_95
; %bb.92:
	v_lshl_add_u32 v18, v0, 3, 56
	s_mov_b64 s[10:11], 0
	v_mov_b64_e32 v[16:17], v[0:1]
.LBB69_93:                              ; =>This Inner Loop Header: Depth=1
	v_lshl_add_u64 v[16:17], v[16:17], 0, 1
	v_cmp_eq_u32_e32 vcc, 1, v16
	v_cmp_eq_u32_e64 s[6:7], 2, v16
	ds_read_b64 v[20:21], v18
	v_cndmask_b32_e32 v19, v3, v5, vcc
	v_cmp_lt_u32_e64 s[4:5], 2, v16
	v_cndmask_b32_e64 v19, v19, v7, s[6:7]
	v_cndmask_b32_e32 v22, v2, v4, vcc
	v_cmp_eq_u32_e32 vcc, 3, v16
	s_or_b64 s[10:11], s[4:5], s[10:11]
	v_cndmask_b32_e64 v22, v22, v6, s[6:7]
	v_cndmask_b32_e32 v19, v19, v9, vcc
	v_cmp_eq_u32_e64 s[4:5], 4, v16
	v_cndmask_b32_e32 v22, v22, v8, vcc
	v_cmp_eq_u32_e32 vcc, 5, v16
	v_cndmask_b32_e64 v19, v19, v11, s[4:5]
	v_add_u32_e32 v18, 8, v18
	v_cndmask_b32_e32 v23, v19, v13, vcc
	v_cndmask_b32_e64 v19, v22, v10, s[4:5]
	v_cndmask_b32_e32 v22, v19, v12, vcc
	s_waitcnt lgkmcnt(0)
	v_fmac_f64_e32 v[14:15], v[22:23], v[20:21]
	s_andn2_b64 exec, exec, s[10:11]
	s_cbranch_execnz .LBB69_93
; %bb.94:
	s_or_b64 exec, exec, s[10:11]
.LBB69_95:
	s_or_b64 exec, exec, s[8:9]
	v_mov_b32_e32 v10, 0
	ds_read_b64 v[10:11], v10 offset:32
	s_waitcnt lgkmcnt(0)
	v_mul_f64 v[10:11], v[14:15], v[10:11]
.LBB69_96:
	s_or_b64 exec, exec, s[12:13]
	v_cmp_ne_u32_e32 vcc, 5, v0
	ds_write_b64 v49, v[12:13]
	s_waitcnt lgkmcnt(0)
	; wave barrier
	s_and_saveexec_b64 s[10:11], vcc
	s_cbranch_execz .LBB69_106
; %bb.97:
	s_and_b64 vcc, exec, s[0:1]
	s_cbranch_vccnz .LBB69_99
; %bb.98:
	v_cmp_eq_u32_e32 vcc, 1, v0
	v_cmp_eq_u32_e64 s[0:1], 2, v0
	v_cmp_eq_u32_e64 s[4:5], 3, v0
	v_cndmask_b32_e32 v14, v3, v5, vcc
	v_cndmask_b32_e64 v14, v14, v7, s[0:1]
	v_cndmask_b32_e64 v14, v14, v9, s[4:5]
	v_cmp_eq_u32_e64 s[6:7], 4, v0
	v_cmp_eq_u32_e64 s[8:9], 5, v0
	ds_read_b64 v[16:17], v49
	v_cndmask_b32_e64 v14, v14, v11, s[6:7]
	v_cndmask_b32_e64 v15, v14, v13, s[8:9]
	v_cndmask_b32_e32 v14, v2, v4, vcc
	v_cndmask_b32_e64 v14, v14, v6, s[0:1]
	v_cndmask_b32_e64 v14, v14, v8, s[4:5]
	;; [unrolled: 1-line block ×4, first 2 shown]
	s_waitcnt lgkmcnt(0)
	v_mul_f64 v[14:15], v[14:15], v[16:17]
	s_cbranch_execz .LBB69_100
	s_branch .LBB69_101
.LBB69_99:
                                        ; implicit-def: $vgpr14_vgpr15
.LBB69_100:
	ds_read_b64 v[14:15], v49
.LBB69_101:
	s_and_saveexec_b64 s[4:5], s[2:3]
	s_cbranch_execz .LBB69_105
; %bb.102:
	v_lshl_add_u32 v16, v0, 3, 56
	s_mov_b64 s[6:7], 0
.LBB69_103:                             ; =>This Inner Loop Header: Depth=1
	v_lshl_add_u64 v[0:1], v[0:1], 0, 1
	v_cmp_eq_u32_e32 vcc, 1, v0
	v_cmp_eq_u32_e64 s[2:3], 2, v0
	ds_read_b64 v[18:19], v16
	v_cndmask_b32_e32 v17, v3, v5, vcc
	v_cmp_lt_u32_e64 s[0:1], 3, v0
	v_cndmask_b32_e64 v17, v17, v7, s[2:3]
	v_cndmask_b32_e32 v20, v2, v4, vcc
	v_cmp_eq_u32_e32 vcc, 3, v0
	s_or_b64 s[6:7], s[0:1], s[6:7]
	v_cndmask_b32_e64 v20, v20, v6, s[2:3]
	v_cndmask_b32_e32 v17, v17, v9, vcc
	v_cmp_eq_u32_e64 s[0:1], 4, v0
	v_cndmask_b32_e32 v20, v20, v8, vcc
	v_cmp_eq_u32_e32 vcc, 5, v0
	v_cndmask_b32_e64 v17, v17, v11, s[0:1]
	v_add_u32_e32 v16, 8, v16
	v_cndmask_b32_e32 v21, v17, v13, vcc
	v_cndmask_b32_e64 v17, v20, v10, s[0:1]
	v_cndmask_b32_e32 v20, v17, v12, vcc
	s_waitcnt lgkmcnt(0)
	v_fmac_f64_e32 v[14:15], v[20:21], v[18:19]
	s_andn2_b64 exec, exec, s[6:7]
	s_cbranch_execnz .LBB69_103
; %bb.104:
	s_or_b64 exec, exec, s[6:7]
.LBB69_105:
	s_or_b64 exec, exec, s[4:5]
	v_mov_b32_e32 v0, 0
	ds_read_b64 v[0:1], v0 offset:40
	s_waitcnt lgkmcnt(0)
	v_mul_f64 v[12:13], v[14:15], v[0:1]
.LBB69_106:
	s_or_b64 exec, exec, s[10:11]
	v_mov_b64_e32 v[32:33], v[16:17]
	v_mov_b64_e32 v[30:31], v[14:15]
	;; [unrolled: 1-line block ×8, first 2 shown]
.LBB69_107:
	flat_store_dwordx2 v[34:35], v[18:19]
	flat_store_dwordx2 v[36:37], v[20:21]
	;; [unrolled: 1-line block ×6, first 2 shown]
.LBB69_108:
	s_endpgm
	.section	.rodata,"a",@progbits
	.p2align	6, 0x0
	.amdhsa_kernel _ZN9rocsolver6v33100L18trti2_kernel_smallILi6EdPKPdEEv13rocblas_fill_17rocblas_diagonal_T1_iil
		.amdhsa_group_segment_fixed_size 96
		.amdhsa_private_segment_fixed_size 0
		.amdhsa_kernarg_size 32
		.amdhsa_user_sgpr_count 2
		.amdhsa_user_sgpr_dispatch_ptr 0
		.amdhsa_user_sgpr_queue_ptr 0
		.amdhsa_user_sgpr_kernarg_segment_ptr 1
		.amdhsa_user_sgpr_dispatch_id 0
		.amdhsa_user_sgpr_kernarg_preload_length 0
		.amdhsa_user_sgpr_kernarg_preload_offset 0
		.amdhsa_user_sgpr_private_segment_size 0
		.amdhsa_uses_dynamic_stack 0
		.amdhsa_enable_private_segment 0
		.amdhsa_system_sgpr_workgroup_id_x 1
		.amdhsa_system_sgpr_workgroup_id_y 0
		.amdhsa_system_sgpr_workgroup_id_z 0
		.amdhsa_system_sgpr_workgroup_info 0
		.amdhsa_system_vgpr_workitem_id 0
		.amdhsa_next_free_vgpr 74
		.amdhsa_next_free_sgpr 30
		.amdhsa_accum_offset 76
		.amdhsa_reserve_vcc 1
		.amdhsa_float_round_mode_32 0
		.amdhsa_float_round_mode_16_64 0
		.amdhsa_float_denorm_mode_32 3
		.amdhsa_float_denorm_mode_16_64 3
		.amdhsa_dx10_clamp 1
		.amdhsa_ieee_mode 1
		.amdhsa_fp16_overflow 0
		.amdhsa_tg_split 0
		.amdhsa_exception_fp_ieee_invalid_op 0
		.amdhsa_exception_fp_denorm_src 0
		.amdhsa_exception_fp_ieee_div_zero 0
		.amdhsa_exception_fp_ieee_overflow 0
		.amdhsa_exception_fp_ieee_underflow 0
		.amdhsa_exception_fp_ieee_inexact 0
		.amdhsa_exception_int_div_zero 0
	.end_amdhsa_kernel
	.section	.text._ZN9rocsolver6v33100L18trti2_kernel_smallILi6EdPKPdEEv13rocblas_fill_17rocblas_diagonal_T1_iil,"axG",@progbits,_ZN9rocsolver6v33100L18trti2_kernel_smallILi6EdPKPdEEv13rocblas_fill_17rocblas_diagonal_T1_iil,comdat
.Lfunc_end69:
	.size	_ZN9rocsolver6v33100L18trti2_kernel_smallILi6EdPKPdEEv13rocblas_fill_17rocblas_diagonal_T1_iil, .Lfunc_end69-_ZN9rocsolver6v33100L18trti2_kernel_smallILi6EdPKPdEEv13rocblas_fill_17rocblas_diagonal_T1_iil
                                        ; -- End function
	.set _ZN9rocsolver6v33100L18trti2_kernel_smallILi6EdPKPdEEv13rocblas_fill_17rocblas_diagonal_T1_iil.num_vgpr, 74
	.set _ZN9rocsolver6v33100L18trti2_kernel_smallILi6EdPKPdEEv13rocblas_fill_17rocblas_diagonal_T1_iil.num_agpr, 0
	.set _ZN9rocsolver6v33100L18trti2_kernel_smallILi6EdPKPdEEv13rocblas_fill_17rocblas_diagonal_T1_iil.numbered_sgpr, 30
	.set _ZN9rocsolver6v33100L18trti2_kernel_smallILi6EdPKPdEEv13rocblas_fill_17rocblas_diagonal_T1_iil.num_named_barrier, 0
	.set _ZN9rocsolver6v33100L18trti2_kernel_smallILi6EdPKPdEEv13rocblas_fill_17rocblas_diagonal_T1_iil.private_seg_size, 0
	.set _ZN9rocsolver6v33100L18trti2_kernel_smallILi6EdPKPdEEv13rocblas_fill_17rocblas_diagonal_T1_iil.uses_vcc, 1
	.set _ZN9rocsolver6v33100L18trti2_kernel_smallILi6EdPKPdEEv13rocblas_fill_17rocblas_diagonal_T1_iil.uses_flat_scratch, 0
	.set _ZN9rocsolver6v33100L18trti2_kernel_smallILi6EdPKPdEEv13rocblas_fill_17rocblas_diagonal_T1_iil.has_dyn_sized_stack, 0
	.set _ZN9rocsolver6v33100L18trti2_kernel_smallILi6EdPKPdEEv13rocblas_fill_17rocblas_diagonal_T1_iil.has_recursion, 0
	.set _ZN9rocsolver6v33100L18trti2_kernel_smallILi6EdPKPdEEv13rocblas_fill_17rocblas_diagonal_T1_iil.has_indirect_call, 0
	.section	.AMDGPU.csdata,"",@progbits
; Kernel info:
; codeLenInByte = 5276
; TotalNumSgprs: 36
; NumVgprs: 74
; NumAgprs: 0
; TotalNumVgprs: 74
; ScratchSize: 0
; MemoryBound: 0
; FloatMode: 240
; IeeeMode: 1
; LDSByteSize: 96 bytes/workgroup (compile time only)
; SGPRBlocks: 4
; VGPRBlocks: 9
; NumSGPRsForWavesPerEU: 36
; NumVGPRsForWavesPerEU: 74
; AccumOffset: 76
; Occupancy: 6
; WaveLimiterHint : 1
; COMPUTE_PGM_RSRC2:SCRATCH_EN: 0
; COMPUTE_PGM_RSRC2:USER_SGPR: 2
; COMPUTE_PGM_RSRC2:TRAP_HANDLER: 0
; COMPUTE_PGM_RSRC2:TGID_X_EN: 1
; COMPUTE_PGM_RSRC2:TGID_Y_EN: 0
; COMPUTE_PGM_RSRC2:TGID_Z_EN: 0
; COMPUTE_PGM_RSRC2:TIDIG_COMP_CNT: 0
; COMPUTE_PGM_RSRC3_GFX90A:ACCUM_OFFSET: 18
; COMPUTE_PGM_RSRC3_GFX90A:TG_SPLIT: 0
	.section	.text._ZN9rocsolver6v33100L18trti2_kernel_smallILi7EdPKPdEEv13rocblas_fill_17rocblas_diagonal_T1_iil,"axG",@progbits,_ZN9rocsolver6v33100L18trti2_kernel_smallILi7EdPKPdEEv13rocblas_fill_17rocblas_diagonal_T1_iil,comdat
	.globl	_ZN9rocsolver6v33100L18trti2_kernel_smallILi7EdPKPdEEv13rocblas_fill_17rocblas_diagonal_T1_iil ; -- Begin function _ZN9rocsolver6v33100L18trti2_kernel_smallILi7EdPKPdEEv13rocblas_fill_17rocblas_diagonal_T1_iil
	.p2align	8
	.type	_ZN9rocsolver6v33100L18trti2_kernel_smallILi7EdPKPdEEv13rocblas_fill_17rocblas_diagonal_T1_iil,@function
_ZN9rocsolver6v33100L18trti2_kernel_smallILi7EdPKPdEEv13rocblas_fill_17rocblas_diagonal_T1_iil: ; @_ZN9rocsolver6v33100L18trti2_kernel_smallILi7EdPKPdEEv13rocblas_fill_17rocblas_diagonal_T1_iil
; %bb.0:
	v_cmp_gt_u32_e32 vcc, 7, v0
	s_and_saveexec_b64 s[4:5], vcc
	s_cbranch_execz .LBB70_134
; %bb.1:
	s_load_dwordx2 s[4:5], s[0:1], 0x10
	s_load_dwordx4 s[12:15], s[0:1], 0x0
	s_ashr_i32 s3, s2, 31
	s_lshl_b64 s[0:1], s[2:3], 3
	v_mov_b32_e32 v1, 0
	s_waitcnt lgkmcnt(0)
	s_ashr_i32 s3, s4, 31
	s_add_u32 s0, s14, s0
	s_addc_u32 s1, s15, s1
	s_load_dwordx2 s[0:1], s[0:1], 0x0
	s_mov_b32 s2, s4
	s_lshl_b64 s[2:3], s[2:3], 3
	v_lshlrev_b32_e32 v18, 3, v0
	v_mov_b32_e32 v19, v1
	s_waitcnt lgkmcnt(0)
	s_add_u32 s0, s0, s2
	s_addc_u32 s1, s1, s3
	v_lshl_add_u64 v[34:35], s[0:1], 0, v[18:19]
	s_ashr_i32 s3, s5, 31
	s_mov_b32 s2, s5
	v_lshl_add_u64 v[36:37], s[2:3], 3, v[34:35]
	s_add_i32 s2, s5, s5
	v_add_u32_e32 v2, s2, v0
	v_add_u32_e32 v10, s5, v2
	v_ashrrev_i32_e32 v11, 31, v10
	v_lshl_add_u64 v[40:41], v[10:11], 3, s[0:1]
	v_add_u32_e32 v10, s5, v10
	v_ashrrev_i32_e32 v11, 31, v10
	v_lshl_add_u64 v[42:43], v[10:11], 3, s[0:1]
	v_add_u32_e32 v10, s5, v10
	v_ashrrev_i32_e32 v11, 31, v10
	v_ashrrev_i32_e32 v3, 31, v2
	v_lshl_add_u64 v[44:45], v[10:11], 3, s[0:1]
	v_add_u32_e32 v10, s5, v10
	v_lshl_add_u64 v[38:39], v[2:3], 3, s[0:1]
	flat_load_dwordx2 v[2:3], v[34:35]
	flat_load_dwordx2 v[4:5], v[36:37]
	;; [unrolled: 1-line block ×4, first 2 shown]
	v_ashrrev_i32_e32 v11, 31, v10
	v_lshl_add_u64 v[46:47], v[10:11], 3, s[0:1]
	flat_load_dwordx2 v[10:11], v[42:43]
	flat_load_dwordx2 v[12:13], v[44:45]
	flat_load_dwordx2 v[14:15], v[46:47]
	s_cmpk_lg_i32 s13, 0x84
	s_cselect_b64 s[14:15], -1, 0
	s_cmpk_eq_i32 s13, 0x84
	v_mov_b64_e32 v[20:21], -1.0
	s_cbranch_scc1 .LBB70_3
; %bb.2:
	v_cmp_eq_u32_e64 s[0:1], 1, v0
	v_cmp_eq_u32_e64 s[2:3], 2, v0
	;; [unrolled: 1-line block ×3, first 2 shown]
	s_waitcnt vmcnt(0) lgkmcnt(0)
	v_cndmask_b32_e64 v16, v3, v5, s[0:1]
	v_cndmask_b32_e64 v16, v16, v7, s[2:3]
	;; [unrolled: 1-line block ×3, first 2 shown]
	v_cmp_eq_u32_e64 s[6:7], 4, v0
	v_cmp_eq_u32_e64 s[8:9], 5, v0
	;; [unrolled: 1-line block ×3, first 2 shown]
	v_cndmask_b32_e64 v16, v16, v11, s[6:7]
	v_cndmask_b32_e64 v16, v16, v13, s[8:9]
	;; [unrolled: 1-line block ×9, first 2 shown]
	v_div_scale_f64 v[20:21], s[16:17], v[16:17], v[16:17], 1.0
	v_rcp_f64_e32 v[22:23], v[20:21]
	s_nop 0
	v_fma_f64 v[24:25], -v[20:21], v[22:23], 1.0
	v_fmac_f64_e32 v[22:23], v[22:23], v[24:25]
	v_fma_f64 v[24:25], -v[20:21], v[22:23], 1.0
	v_fmac_f64_e32 v[22:23], v[22:23], v[24:25]
	v_div_scale_f64 v[24:25], vcc, 1.0, v[16:17], 1.0
	v_mul_f64 v[26:27], v[24:25], v[22:23]
	v_fma_f64 v[20:21], -v[20:21], v[26:27], v[24:25]
	s_nop 1
	v_div_fmas_f64 v[20:21], v[20:21], v[22:23], v[26:27]
	v_div_fixup_f64 v[20:21], v[20:21], v[16:17], 1.0
	v_cmp_eq_u32_e32 vcc, 0, v0
	v_cndmask_b32_e64 v15, v15, v21, s[10:11]
	v_cndmask_b32_e64 v14, v14, v20, s[10:11]
	v_cndmask_b32_e64 v13, v13, v21, s[8:9]
	v_cndmask_b32_e64 v12, v12, v20, s[8:9]
	v_cndmask_b32_e64 v11, v11, v21, s[6:7]
	v_cndmask_b32_e64 v10, v10, v20, s[6:7]
	v_cndmask_b32_e64 v9, v9, v21, s[4:5]
	v_cndmask_b32_e64 v8, v8, v20, s[4:5]
	v_cndmask_b32_e64 v7, v7, v21, s[2:3]
	v_cndmask_b32_e64 v6, v6, v20, s[2:3]
	v_cndmask_b32_e64 v5, v5, v21, s[0:1]
	v_cndmask_b32_e64 v4, v4, v20, s[0:1]
	v_cndmask_b32_e32 v3, v3, v21, vcc
	v_cndmask_b32_e32 v2, v2, v20, vcc
	v_xor_b32_e32 v21, 0x80000000, v21
.LBB70_3:
	s_cmpk_eq_i32 s12, 0x79
	v_add_u32_e32 v51, 64, v18
	ds_write_b64 v18, v[20:21]
	s_cbranch_scc1 .LBB70_7
; %bb.4:
	s_waitcnt vmcnt(0) lgkmcnt(0)
	v_mov_b64_e32 v[32:33], v[16:17]
	v_cmp_eq_u32_e64 s[0:1], 6, v0
	v_mov_b64_e32 v[30:31], v[14:15]
	v_mov_b64_e32 v[28:29], v[12:13]
	;; [unrolled: 1-line block ×7, first 2 shown]
	ds_write_b64 v51, v[12:13]
	s_waitcnt lgkmcnt(0)
	; wave barrier
	s_and_saveexec_b64 s[12:13], s[0:1]
	s_cbranch_execz .LBB70_11
; %bb.5:
	s_and_b64 vcc, exec, s[14:15]
	s_cbranch_vccz .LBB70_8
; %bb.6:
	v_cmp_eq_u32_e32 vcc, 1, v0
	v_cmp_eq_u32_e64 s[2:3], 2, v0
	v_cmp_eq_u32_e64 s[4:5], 3, v0
	v_cndmask_b32_e32 v18, v3, v5, vcc
	v_cndmask_b32_e64 v18, v18, v7, s[2:3]
	v_cndmask_b32_e64 v18, v18, v9, s[4:5]
	v_cmp_eq_u32_e64 s[6:7], 4, v0
	v_cmp_eq_u32_e64 s[8:9], 5, v0
	;; [unrolled: 1-line block ×3, first 2 shown]
	v_cndmask_b32_e64 v18, v18, v11, s[6:7]
	v_cndmask_b32_e64 v18, v18, v13, s[8:9]
	;; [unrolled: 1-line block ×3, first 2 shown]
	v_cndmask_b32_e32 v18, v2, v4, vcc
	v_cndmask_b32_e64 v18, v18, v6, s[2:3]
	ds_read_b64 v[20:21], v51
	v_cndmask_b32_e64 v18, v18, v8, s[4:5]
	v_cndmask_b32_e64 v18, v18, v10, s[6:7]
	;; [unrolled: 1-line block ×4, first 2 shown]
	s_waitcnt lgkmcnt(0)
	v_mul_f64 v[22:23], v[18:19], v[20:21]
	s_cbranch_execz .LBB70_9
	s_branch .LBB70_10
.LBB70_7:
                                        ; implicit-def: $vgpr18_vgpr19_vgpr20_vgpr21_vgpr22_vgpr23_vgpr24_vgpr25_vgpr26_vgpr27_vgpr28_vgpr29_vgpr30_vgpr31_vgpr32_vgpr33
	s_cbranch_execnz .LBB70_82
	s_branch .LBB70_133
.LBB70_8:
                                        ; implicit-def: $vgpr22_vgpr23
.LBB70_9:
	ds_read_b64 v[22:23], v51
.LBB70_10:
	v_mov_b32_e32 v18, 0
	ds_read_b64 v[24:25], v18 offset:40
	v_mov_b32_e32 v18, v2
	v_mov_b32_e32 v19, v3
	;; [unrolled: 1-line block ×4, first 2 shown]
	s_waitcnt lgkmcnt(0)
	v_mul_f64 v[28:29], v[22:23], v[24:25]
	v_mov_b32_e32 v22, v6
	v_mov_b32_e32 v23, v7
	;; [unrolled: 1-line block ×8, first 2 shown]
.LBB70_11:
	s_or_b64 exec, exec, s[12:13]
	v_cmp_lt_u32_e64 s[2:3], 4, v0
	ds_write_b64 v51, v[26:27]
	s_waitcnt lgkmcnt(0)
	; wave barrier
	s_and_saveexec_b64 s[16:17], s[2:3]
	s_cbranch_execz .LBB70_17
; %bb.12:
	s_andn2_b64 vcc, exec, s[14:15]
	s_cbranch_vccnz .LBB70_14
; %bb.13:
	v_cmp_eq_u32_e32 vcc, 1, v0
	v_cmp_eq_u32_e64 s[4:5], 2, v0
	v_cmp_eq_u32_e64 s[6:7], 3, v0
	v_cndmask_b32_e32 v32, v19, v21, vcc
	v_cndmask_b32_e64 v32, v32, v23, s[4:5]
	v_cndmask_b32_e64 v32, v32, v25, s[6:7]
	v_cmp_eq_u32_e64 s[8:9], 4, v0
	v_cmp_eq_u32_e64 s[10:11], 5, v0
	;; [unrolled: 1-line block ×3, first 2 shown]
	v_cndmask_b32_e64 v27, v32, v27, s[8:9]
	v_cndmask_b32_e32 v32, v18, v20, vcc
	v_cndmask_b32_e64 v48, v32, v22, s[4:5]
	ds_read_b64 v[32:33], v51
	v_cndmask_b32_e64 v48, v48, v24, s[6:7]
	v_cndmask_b32_e64 v26, v48, v26, s[8:9]
	;; [unrolled: 1-line block ×6, first 2 shown]
	s_waitcnt lgkmcnt(0)
	v_mul_f64 v[26:27], v[26:27], v[32:33]
	s_cbranch_execz .LBB70_15
	s_branch .LBB70_16
.LBB70_14:
                                        ; implicit-def: $vgpr26_vgpr27
.LBB70_15:
	ds_read_b64 v[26:27], v51
.LBB70_16:
	v_mov_b32_e32 v32, 0
	ds_read2_b64 v[52:55], v32 offset0:4 offset1:13
	s_waitcnt lgkmcnt(0)
	v_fma_f64 v[32:33], v[28:29], v[54:55], v[26:27]
	v_cndmask_b32_e64 v27, v27, v33, s[0:1]
	v_cndmask_b32_e64 v26, v26, v32, s[0:1]
	v_mul_f64 v[26:27], v[26:27], v[52:53]
.LBB70_17:
	s_or_b64 exec, exec, s[16:17]
	v_cmp_lt_u32_e64 s[0:1], 3, v0
	ds_write_b64 v51, v[24:25]
	s_waitcnt lgkmcnt(0)
	; wave barrier
	s_and_saveexec_b64 s[16:17], s[0:1]
	s_cbranch_execz .LBB70_33
; %bb.18:
	s_andn2_b64 vcc, exec, s[14:15]
	s_cbranch_vccnz .LBB70_20
; %bb.19:
	v_cmp_eq_u32_e32 vcc, 1, v0
	v_cmp_eq_u32_e64 s[4:5], 2, v0
	v_cmp_eq_u32_e64 s[6:7], 3, v0
	v_cndmask_b32_e32 v48, v19, v21, vcc
	v_cndmask_b32_e64 v48, v48, v23, s[4:5]
	v_cndmask_b32_e64 v48, v48, v25, s[6:7]
	v_cmp_eq_u32_e64 s[8:9], 4, v0
	v_cmp_eq_u32_e64 s[10:11], 5, v0
	;; [unrolled: 1-line block ×3, first 2 shown]
	v_cndmask_b32_e64 v48, v48, v27, s[8:9]
	v_cndmask_b32_e64 v48, v48, v29, s[10:11]
	;; [unrolled: 1-line block ×3, first 2 shown]
	v_cndmask_b32_e32 v48, v18, v20, vcc
	v_cndmask_b32_e64 v48, v48, v22, s[4:5]
	ds_read_b64 v[52:53], v51
	v_cndmask_b32_e64 v48, v48, v24, s[6:7]
	v_cndmask_b32_e64 v48, v48, v26, s[8:9]
	;; [unrolled: 1-line block ×4, first 2 shown]
	s_waitcnt lgkmcnt(0)
	v_mul_f64 v[48:49], v[48:49], v[52:53]
	s_cbranch_execz .LBB70_21
	s_branch .LBB70_22
.LBB70_20:
                                        ; implicit-def: $vgpr48_vgpr49
.LBB70_21:
	ds_read_b64 v[48:49], v51
.LBB70_22:
	s_and_saveexec_b64 s[6:7], s[2:3]
	s_cbranch_execz .LBB70_32
; %bb.23:
	v_add_u32_e32 v50, -5, v0
	v_add_u32_e32 v53, -4, v0
	v_cmp_lt_u32_e32 vcc, 6, v50
	v_mov_b32_e32 v52, 4
	s_and_saveexec_b64 s[2:3], vcc
	s_cbranch_execz .LBB70_27
; %bb.24:
	v_and_b32_e32 v50, -8, v53
	v_sub_u32_e32 v50, 0, v50
	s_mov_b64 s[4:5], 5
	s_movk_i32 s10, 0x60
	s_mov_b64 s[8:9], 0
.LBB70_25:                              ; =>This Inner Loop Header: Depth=1
	s_lshl_b32 s11, s4, 1
	s_add_i32 s12, s11, -1
	s_add_i32 s13, s11, -2
	s_set_gpr_idx_on s12, gpr_idx(SRC0)
	v_mov_b32_e32 v71, v18
	s_set_gpr_idx_off
	v_mov_b32_e32 v52, s10
	s_set_gpr_idx_on s13, gpr_idx(SRC0)
	v_mov_b32_e32 v70, v18
	s_set_gpr_idx_off
	ds_read_b128 v[54:57], v52
	ds_read_b128 v[58:61], v52 offset:16
	ds_read_b128 v[62:65], v52 offset:32
	;; [unrolled: 1-line block ×3, first 2 shown]
	s_set_gpr_idx_on s11, gpr_idx(SRC0)
	v_mov_b32_e32 v73, v19
	s_add_i32 s18, s11, 3
	v_mov_b32_e32 v72, v18
	s_set_gpr_idx_off
	s_add_i32 s19, s11, 2
	s_set_gpr_idx_on s18, gpr_idx(SRC0)
	v_mov_b32_e32 v75, v18
	s_set_gpr_idx_off
	s_add_i32 s20, s11, 5
	s_set_gpr_idx_on s19, gpr_idx(SRC0)
	v_mov_b32_e32 v74, v18
	s_set_gpr_idx_off
	s_add_i32 s21, s11, 4
	s_waitcnt lgkmcnt(3)
	v_fmac_f64_e32 v[48:49], v[70:71], v[54:55]
	s_set_gpr_idx_on s20, gpr_idx(SRC0)
	v_mov_b32_e32 v55, v18
	s_set_gpr_idx_off
	s_add_i32 s22, s11, 7
	v_fmac_f64_e32 v[48:49], v[72:73], v[56:57]
	s_set_gpr_idx_on s21, gpr_idx(SRC0)
	v_mov_b32_e32 v54, v18
	s_set_gpr_idx_off
	s_add_i32 s23, s11, 6
	s_waitcnt lgkmcnt(2)
	v_fmac_f64_e32 v[48:49], v[74:75], v[58:59]
	s_set_gpr_idx_on s22, gpr_idx(SRC0)
	v_mov_b32_e32 v57, v18
	s_set_gpr_idx_off
	s_add_i32 s24, s11, 9
	v_fmac_f64_e32 v[48:49], v[54:55], v[60:61]
	s_set_gpr_idx_on s23, gpr_idx(SRC0)
	v_mov_b32_e32 v56, v18
	s_set_gpr_idx_off
	s_add_i32 s25, s11, 8
	s_waitcnt lgkmcnt(1)
	v_fmac_f64_e32 v[48:49], v[56:57], v[62:63]
	s_set_gpr_idx_on s24, gpr_idx(SRC0)
	v_mov_b32_e32 v55, v18
	s_set_gpr_idx_off
	s_add_i32 s26, s11, 11
	s_set_gpr_idx_on s25, gpr_idx(SRC0)
	v_mov_b32_e32 v54, v18
	s_set_gpr_idx_off
	s_add_i32 s27, s11, 10
	s_add_i32 s28, s11, 13
	;; [unrolled: 1-line block ×3, first 2 shown]
	v_fmac_f64_e32 v[48:49], v[54:55], v[64:65]
	s_set_gpr_idx_on s26, gpr_idx(SRC0)
	v_mov_b32_e32 v55, v18
	s_set_gpr_idx_off
	s_add_u32 s4, s4, 8
	s_set_gpr_idx_on s27, gpr_idx(SRC0)
	v_mov_b32_e32 v54, v18
	s_set_gpr_idx_off
	v_add_u32_e32 v52, s4, v50
	s_waitcnt lgkmcnt(0)
	v_fmac_f64_e32 v[48:49], v[54:55], v[66:67]
	s_set_gpr_idx_on s28, gpr_idx(SRC0)
	v_mov_b32_e32 v55, v18
	s_set_gpr_idx_off
	s_addc_u32 s5, s5, 0
	s_add_i32 s10, s10, 64
	s_add_i32 s12, s4, -1
	v_cmp_eq_u32_e32 vcc, 5, v52
	s_set_gpr_idx_on s29, gpr_idx(SRC0)
	v_mov_b32_e32 v54, v18
	s_set_gpr_idx_off
	v_mov_b32_e32 v52, s12
	s_or_b64 s[8:9], vcc, s[8:9]
	v_fmac_f64_e32 v[48:49], v[54:55], v[68:69]
	s_andn2_b64 exec, exec, s[8:9]
	s_cbranch_execnz .LBB70_25
; %bb.26:
	s_or_b64 exec, exec, s[8:9]
.LBB70_27:
	s_or_b64 exec, exec, s[2:3]
	v_and_b32_e32 v32, 7, v53
	v_cmp_ne_u32_e32 vcc, 0, v32
	s_and_saveexec_b64 s[8:9], vcc
	s_cbranch_execz .LBB70_31
; %bb.28:
	v_lshl_add_u32 v33, v52, 3, 64
	v_mov_b32_e32 v53, 0
	s_mov_b64 s[10:11], 0
.LBB70_29:                              ; =>This Inner Loop Header: Depth=1
	v_cmp_eq_u32_e32 vcc, 1, v52
	v_add_u32_e32 v32, -1, v32
	v_cmp_eq_u32_e64 s[2:3], 2, v52
	v_cndmask_b32_e32 v50, v19, v21, vcc
	v_cndmask_b32_e32 v56, v18, v20, vcc
	v_cndmask_b32_e64 v50, v50, v23, s[2:3]
	v_cmp_eq_u32_e32 vcc, 0, v32
	v_cmp_eq_u32_e64 s[4:5], 3, v52
	ds_read_b64 v[54:55], v33
	v_cndmask_b32_e64 v56, v56, v22, s[2:3]
	v_cndmask_b32_e64 v50, v50, v25, s[4:5]
	s_or_b64 s[10:11], vcc, s[10:11]
	v_cmp_eq_u32_e32 vcc, 4, v52
	v_cndmask_b32_e64 v56, v56, v24, s[4:5]
	v_cmp_eq_u32_e64 s[2:3], 5, v52
	v_cndmask_b32_e32 v50, v50, v27, vcc
	v_cmp_eq_u32_e64 s[4:5], 6, v52
	v_cndmask_b32_e64 v50, v50, v29, s[2:3]
	v_cndmask_b32_e32 v56, v56, v26, vcc
	v_cndmask_b32_e64 v57, v50, v31, s[4:5]
	v_cndmask_b32_e64 v50, v56, v28, s[2:3]
	;; [unrolled: 1-line block ×3, first 2 shown]
	v_add_u32_e32 v33, 8, v33
	v_lshl_add_u64 v[52:53], v[52:53], 0, 1
	s_waitcnt lgkmcnt(0)
	v_fmac_f64_e32 v[48:49], v[56:57], v[54:55]
	s_andn2_b64 exec, exec, s[10:11]
	s_cbranch_execnz .LBB70_29
; %bb.30:
	s_or_b64 exec, exec, s[10:11]
.LBB70_31:
	s_or_b64 exec, exec, s[8:9]
.LBB70_32:
	s_or_b64 exec, exec, s[6:7]
	v_mov_b32_e32 v24, 0
	ds_read_b64 v[24:25], v24 offset:24
	s_waitcnt lgkmcnt(0)
	v_mul_f64 v[24:25], v[48:49], v[24:25]
.LBB70_33:
	s_or_b64 exec, exec, s[16:17]
	v_cmp_lt_u32_e64 s[2:3], 2, v0
	ds_write_b64 v51, v[22:23]
	s_waitcnt lgkmcnt(0)
	; wave barrier
	s_and_saveexec_b64 s[16:17], s[2:3]
	s_cbranch_execz .LBB70_49
; %bb.34:
	s_andn2_b64 vcc, exec, s[14:15]
	s_cbranch_vccnz .LBB70_36
; %bb.35:
	v_cmp_eq_u32_e32 vcc, 1, v0
	v_cmp_eq_u32_e64 s[4:5], 2, v0
	v_cmp_eq_u32_e64 s[6:7], 3, v0
	v_cndmask_b32_e32 v48, v19, v21, vcc
	v_cndmask_b32_e64 v48, v48, v23, s[4:5]
	v_cndmask_b32_e64 v48, v48, v25, s[6:7]
	v_cmp_eq_u32_e64 s[8:9], 4, v0
	v_cmp_eq_u32_e64 s[10:11], 5, v0
	v_cmp_eq_u32_e64 s[12:13], 6, v0
	v_cndmask_b32_e64 v48, v48, v27, s[8:9]
	v_cndmask_b32_e64 v48, v48, v29, s[10:11]
	;; [unrolled: 1-line block ×3, first 2 shown]
	v_cndmask_b32_e32 v48, v18, v20, vcc
	v_cndmask_b32_e64 v48, v48, v22, s[4:5]
	ds_read_b64 v[52:53], v51
	v_cndmask_b32_e64 v48, v48, v24, s[6:7]
	v_cndmask_b32_e64 v48, v48, v26, s[8:9]
	;; [unrolled: 1-line block ×4, first 2 shown]
	s_waitcnt lgkmcnt(0)
	v_mul_f64 v[48:49], v[48:49], v[52:53]
	s_cbranch_execz .LBB70_37
	s_branch .LBB70_38
.LBB70_36:
                                        ; implicit-def: $vgpr48_vgpr49
.LBB70_37:
	ds_read_b64 v[48:49], v51
.LBB70_38:
	s_and_saveexec_b64 s[6:7], s[0:1]
	s_cbranch_execz .LBB70_48
; %bb.39:
	v_add_u32_e32 v50, -4, v0
	v_add_u32_e32 v53, -3, v0
	v_cmp_lt_u32_e32 vcc, 6, v50
	v_mov_b32_e32 v52, 3
	s_and_saveexec_b64 s[0:1], vcc
	s_cbranch_execz .LBB70_43
; %bb.40:
	v_and_b32_e32 v50, -8, v53
	v_sub_u32_e32 v50, 0, v50
	s_mov_b64 s[4:5], 10
	s_movk_i32 s10, 0x58
	s_mov_b64 s[8:9], 0
.LBB70_41:                              ; =>This Inner Loop Header: Depth=1
	s_lshl_b32 s11, s4, 1
	s_add_i32 s12, s11, -13
	v_mov_b32_e32 v68, s10
	s_add_i32 s13, s11, -14
	s_set_gpr_idx_on s12, gpr_idx(SRC0)
	v_mov_b32_e32 v63, v18
	s_set_gpr_idx_off
	s_add_i32 s18, s11, -11
	s_set_gpr_idx_on s13, gpr_idx(SRC0)
	v_mov_b32_e32 v62, v18
	s_set_gpr_idx_off
	ds_read2_b64 v[54:57], v68 offset1:1
	s_add_i32 s19, s11, -12
	s_set_gpr_idx_on s18, gpr_idx(SRC0)
	v_mov_b32_e32 v65, v18
	s_set_gpr_idx_off
	s_add_i32 s20, s11, -9
	s_set_gpr_idx_on s19, gpr_idx(SRC0)
	v_mov_b32_e32 v64, v18
	s_set_gpr_idx_off
	;; [unrolled: 4-line block ×4, first 2 shown]
	ds_read2_b64 v[58:61], v68 offset0:2 offset1:3
	s_add_i32 s23, s11, -8
	s_waitcnt lgkmcnt(1)
	v_fmac_f64_e32 v[48:49], v[62:63], v[54:55]
	s_set_gpr_idx_on s22, gpr_idx(SRC0)
	v_mov_b32_e32 v63, v18
	s_set_gpr_idx_off
	s_add_i32 s24, s11, -5
	v_fmac_f64_e32 v[48:49], v[64:65], v[56:57]
	s_set_gpr_idx_on s23, gpr_idx(SRC0)
	v_mov_b32_e32 v62, v18
	s_set_gpr_idx_off
	s_add_i32 s25, s11, -6
	s_set_gpr_idx_on s24, gpr_idx(SRC0)
	v_mov_b32_e32 v65, v18
	s_set_gpr_idx_off
	s_add_i32 s26, s11, -3
	;; [unrolled: 4-line block ×3, first 2 shown]
	ds_read2_b64 v[54:57], v68 offset0:4 offset1:5
	s_waitcnt lgkmcnt(1)
	v_fmac_f64_e32 v[48:49], v[66:67], v[58:59]
	s_set_gpr_idx_on s26, gpr_idx(SRC0)
	v_mov_b32_e32 v67, v18
	s_set_gpr_idx_off
	s_add_i32 s28, s11, -1
	v_fmac_f64_e32 v[48:49], v[62:63], v[60:61]
	s_set_gpr_idx_on s27, gpr_idx(SRC0)
	v_mov_b32_e32 v66, v18
	s_set_gpr_idx_off
	s_add_i32 s29, s11, -2
	s_set_gpr_idx_on s28, gpr_idx(SRC0)
	v_mov_b32_e32 v63, v18
	s_set_gpr_idx_off
	s_set_gpr_idx_on s29, gpr_idx(SRC0)
	v_mov_b32_e32 v62, v18
	s_set_gpr_idx_off
	ds_read2_b64 v[58:61], v68 offset0:6 offset1:7
	s_add_u32 s4, s4, 8
	s_waitcnt lgkmcnt(1)
	v_fmac_f64_e32 v[48:49], v[64:65], v[54:55]
	s_set_gpr_idx_on s11, gpr_idx(SRC0)
	v_mov_b32_e32 v55, v19
	s_set_gpr_idx_off
	v_add_u32_e32 v52, s4, v50
	v_fmac_f64_e32 v[48:49], v[66:67], v[56:57]
	s_set_gpr_idx_on s11, gpr_idx(SRC0)
	v_mov_b32_e32 v54, v18
	s_set_gpr_idx_off
	s_addc_u32 s5, s5, 0
	s_add_i32 s10, s10, 64
	s_add_i32 s12, s4, -7
	v_cmp_eq_u32_e32 vcc, 10, v52
	s_waitcnt lgkmcnt(0)
	v_fmac_f64_e32 v[48:49], v[62:63], v[58:59]
	v_mov_b32_e32 v52, s12
	s_or_b64 s[8:9], vcc, s[8:9]
	v_fmac_f64_e32 v[48:49], v[54:55], v[60:61]
	s_andn2_b64 exec, exec, s[8:9]
	s_cbranch_execnz .LBB70_41
; %bb.42:
	s_or_b64 exec, exec, s[8:9]
.LBB70_43:
	s_or_b64 exec, exec, s[0:1]
	v_and_b32_e32 v32, 7, v53
	v_cmp_ne_u32_e32 vcc, 0, v32
	s_and_saveexec_b64 s[8:9], vcc
	s_cbranch_execz .LBB70_47
; %bb.44:
	v_lshl_add_u32 v33, v52, 3, 64
	v_mov_b32_e32 v53, 0
	s_mov_b64 s[10:11], 0
.LBB70_45:                              ; =>This Inner Loop Header: Depth=1
	v_cmp_eq_u32_e32 vcc, 1, v52
	v_add_u32_e32 v32, -1, v32
	v_cmp_eq_u32_e64 s[0:1], 2, v52
	v_cndmask_b32_e32 v50, v19, v21, vcc
	v_cndmask_b32_e32 v56, v18, v20, vcc
	v_cndmask_b32_e64 v50, v50, v23, s[0:1]
	v_cmp_eq_u32_e32 vcc, 0, v32
	v_cmp_eq_u32_e64 s[4:5], 3, v52
	ds_read_b64 v[54:55], v33
	v_cndmask_b32_e64 v56, v56, v22, s[0:1]
	v_cndmask_b32_e64 v50, v50, v25, s[4:5]
	s_or_b64 s[10:11], vcc, s[10:11]
	v_cmp_eq_u32_e32 vcc, 4, v52
	v_cndmask_b32_e64 v56, v56, v24, s[4:5]
	v_cmp_eq_u32_e64 s[0:1], 5, v52
	v_cndmask_b32_e32 v50, v50, v27, vcc
	v_cmp_eq_u32_e64 s[4:5], 6, v52
	v_cndmask_b32_e64 v50, v50, v29, s[0:1]
	v_cndmask_b32_e32 v56, v56, v26, vcc
	v_cndmask_b32_e64 v57, v50, v31, s[4:5]
	v_cndmask_b32_e64 v50, v56, v28, s[0:1]
	;; [unrolled: 1-line block ×3, first 2 shown]
	v_add_u32_e32 v33, 8, v33
	v_lshl_add_u64 v[52:53], v[52:53], 0, 1
	s_waitcnt lgkmcnt(0)
	v_fmac_f64_e32 v[48:49], v[56:57], v[54:55]
	s_andn2_b64 exec, exec, s[10:11]
	s_cbranch_execnz .LBB70_45
; %bb.46:
	s_or_b64 exec, exec, s[10:11]
.LBB70_47:
	s_or_b64 exec, exec, s[8:9]
.LBB70_48:
	s_or_b64 exec, exec, s[6:7]
	v_mov_b32_e32 v22, 0
	ds_read_b64 v[22:23], v22 offset:16
	s_waitcnt lgkmcnt(0)
	v_mul_f64 v[22:23], v[48:49], v[22:23]
.LBB70_49:
	s_or_b64 exec, exec, s[16:17]
	v_cmp_lt_u32_e64 s[0:1], 1, v0
	ds_write_b64 v51, v[20:21]
	s_waitcnt lgkmcnt(0)
	; wave barrier
	s_and_saveexec_b64 s[16:17], s[0:1]
	s_cbranch_execz .LBB70_65
; %bb.50:
	s_andn2_b64 vcc, exec, s[14:15]
	s_cbranch_vccnz .LBB70_52
; %bb.51:
	v_cmp_eq_u32_e32 vcc, 1, v0
	v_cmp_eq_u32_e64 s[4:5], 2, v0
	v_cmp_eq_u32_e64 s[6:7], 3, v0
	v_cndmask_b32_e32 v48, v19, v21, vcc
	v_cndmask_b32_e64 v48, v48, v23, s[4:5]
	v_cndmask_b32_e64 v48, v48, v25, s[6:7]
	v_cmp_eq_u32_e64 s[8:9], 4, v0
	v_cmp_eq_u32_e64 s[10:11], 5, v0
	v_cmp_eq_u32_e64 s[12:13], 6, v0
	v_cndmask_b32_e64 v48, v48, v27, s[8:9]
	v_cndmask_b32_e64 v48, v48, v29, s[10:11]
	v_cndmask_b32_e64 v49, v48, v31, s[12:13]
	v_cndmask_b32_e32 v48, v18, v20, vcc
	v_cndmask_b32_e64 v48, v48, v22, s[4:5]
	ds_read_b64 v[52:53], v51
	v_cndmask_b32_e64 v48, v48, v24, s[6:7]
	v_cndmask_b32_e64 v48, v48, v26, s[8:9]
	;; [unrolled: 1-line block ×4, first 2 shown]
	s_waitcnt lgkmcnt(0)
	v_mul_f64 v[48:49], v[48:49], v[52:53]
	s_cbranch_execz .LBB70_53
	s_branch .LBB70_54
.LBB70_52:
                                        ; implicit-def: $vgpr48_vgpr49
.LBB70_53:
	ds_read_b64 v[48:49], v51
.LBB70_54:
	s_and_saveexec_b64 s[6:7], s[2:3]
	s_cbranch_execz .LBB70_64
; %bb.55:
	v_add_u32_e32 v50, -3, v0
	v_add_u32_e32 v53, -2, v0
	v_cmp_lt_u32_e32 vcc, 6, v50
	v_mov_b32_e32 v52, 2
	s_and_saveexec_b64 s[2:3], vcc
	s_cbranch_execz .LBB70_59
; %bb.56:
	v_and_b32_e32 v50, -8, v53
	v_sub_u32_e32 v50, 0, v50
	s_mov_b64 s[4:5], 9
	s_movk_i32 s10, 0x50
	s_mov_b64 s[8:9], 0
.LBB70_57:                              ; =>This Inner Loop Header: Depth=1
	s_lshl_b32 s11, s4, 1
	s_add_i32 s12, s11, -13
	s_add_i32 s13, s11, -14
	s_set_gpr_idx_on s12, gpr_idx(SRC0)
	v_mov_b32_e32 v71, v18
	s_set_gpr_idx_off
	v_mov_b32_e32 v52, s10
	s_add_i32 s18, s11, -11
	s_set_gpr_idx_on s13, gpr_idx(SRC0)
	v_mov_b32_e32 v70, v18
	s_set_gpr_idx_off
	s_add_i32 s19, s11, -12
	ds_read_b128 v[54:57], v52
	ds_read_b128 v[58:61], v52 offset:16
	ds_read_b128 v[62:65], v52 offset:32
	;; [unrolled: 1-line block ×3, first 2 shown]
	s_set_gpr_idx_on s18, gpr_idx(SRC0)
	v_mov_b32_e32 v73, v18
	s_set_gpr_idx_off
	s_add_i32 s20, s11, -9
	s_set_gpr_idx_on s19, gpr_idx(SRC0)
	v_mov_b32_e32 v72, v18
	s_set_gpr_idx_off
	s_add_i32 s21, s11, -10
	;; [unrolled: 4-line block ×4, first 2 shown]
	s_waitcnt lgkmcnt(3)
	v_fmac_f64_e32 v[48:49], v[70:71], v[54:55]
	s_set_gpr_idx_on s22, gpr_idx(SRC0)
	v_mov_b32_e32 v55, v18
	s_set_gpr_idx_off
	s_add_i32 s24, s11, -5
	v_fmac_f64_e32 v[48:49], v[72:73], v[56:57]
	s_set_gpr_idx_on s23, gpr_idx(SRC0)
	v_mov_b32_e32 v54, v18
	s_set_gpr_idx_off
	s_add_i32 s25, s11, -6
	s_waitcnt lgkmcnt(2)
	v_fmac_f64_e32 v[48:49], v[74:75], v[58:59]
	s_set_gpr_idx_on s24, gpr_idx(SRC0)
	v_mov_b32_e32 v57, v18
	s_set_gpr_idx_off
	s_add_i32 s26, s11, -3
	v_fmac_f64_e32 v[48:49], v[54:55], v[60:61]
	s_set_gpr_idx_on s25, gpr_idx(SRC0)
	v_mov_b32_e32 v56, v18
	s_set_gpr_idx_off
	s_add_i32 s27, s11, -4
	s_waitcnt lgkmcnt(1)
	v_fmac_f64_e32 v[48:49], v[56:57], v[62:63]
	s_set_gpr_idx_on s26, gpr_idx(SRC0)
	v_mov_b32_e32 v55, v18
	s_set_gpr_idx_off
	s_add_i32 s28, s11, -1
	s_set_gpr_idx_on s27, gpr_idx(SRC0)
	v_mov_b32_e32 v54, v18
	s_set_gpr_idx_off
	s_add_i32 s29, s11, -2
	v_fmac_f64_e32 v[48:49], v[54:55], v[64:65]
	s_set_gpr_idx_on s28, gpr_idx(SRC0)
	v_mov_b32_e32 v55, v18
	s_set_gpr_idx_off
	s_add_u32 s4, s4, 8
	s_set_gpr_idx_on s29, gpr_idx(SRC0)
	v_mov_b32_e32 v54, v18
	s_set_gpr_idx_off
	v_add_u32_e32 v52, s4, v50
	s_waitcnt lgkmcnt(0)
	v_fmac_f64_e32 v[48:49], v[54:55], v[66:67]
	s_set_gpr_idx_on s11, gpr_idx(SRC0)
	v_mov_b32_e32 v55, v19
	s_set_gpr_idx_off
	s_addc_u32 s5, s5, 0
	s_add_i32 s10, s10, 64
	s_add_i32 s12, s4, -7
	v_cmp_eq_u32_e32 vcc, 9, v52
	s_set_gpr_idx_on s11, gpr_idx(SRC0)
	v_mov_b32_e32 v54, v18
	s_set_gpr_idx_off
	v_mov_b32_e32 v52, s12
	s_or_b64 s[8:9], vcc, s[8:9]
	v_fmac_f64_e32 v[48:49], v[54:55], v[68:69]
	s_andn2_b64 exec, exec, s[8:9]
	s_cbranch_execnz .LBB70_57
; %bb.58:
	s_or_b64 exec, exec, s[8:9]
.LBB70_59:
	s_or_b64 exec, exec, s[2:3]
	v_and_b32_e32 v32, 7, v53
	v_cmp_ne_u32_e32 vcc, 0, v32
	s_and_saveexec_b64 s[8:9], vcc
	s_cbranch_execz .LBB70_63
; %bb.60:
	v_lshl_add_u32 v33, v52, 3, 64
	v_mov_b32_e32 v53, 0
	s_mov_b64 s[10:11], 0
.LBB70_61:                              ; =>This Inner Loop Header: Depth=1
	v_cmp_eq_u32_e32 vcc, 1, v52
	v_add_u32_e32 v32, -1, v32
	v_cmp_eq_u32_e64 s[2:3], 2, v52
	v_cndmask_b32_e32 v50, v19, v21, vcc
	v_cndmask_b32_e32 v56, v18, v20, vcc
	v_cndmask_b32_e64 v50, v50, v23, s[2:3]
	v_cmp_eq_u32_e32 vcc, 0, v32
	v_cmp_eq_u32_e64 s[4:5], 3, v52
	ds_read_b64 v[54:55], v33
	v_cndmask_b32_e64 v56, v56, v22, s[2:3]
	v_cndmask_b32_e64 v50, v50, v25, s[4:5]
	s_or_b64 s[10:11], vcc, s[10:11]
	v_cmp_eq_u32_e32 vcc, 4, v52
	v_cndmask_b32_e64 v56, v56, v24, s[4:5]
	v_cmp_eq_u32_e64 s[2:3], 5, v52
	v_cndmask_b32_e32 v50, v50, v27, vcc
	v_cmp_eq_u32_e64 s[4:5], 6, v52
	v_cndmask_b32_e64 v50, v50, v29, s[2:3]
	v_cndmask_b32_e32 v56, v56, v26, vcc
	v_cndmask_b32_e64 v57, v50, v31, s[4:5]
	v_cndmask_b32_e64 v50, v56, v28, s[2:3]
	;; [unrolled: 1-line block ×3, first 2 shown]
	v_add_u32_e32 v33, 8, v33
	v_lshl_add_u64 v[52:53], v[52:53], 0, 1
	s_waitcnt lgkmcnt(0)
	v_fmac_f64_e32 v[48:49], v[56:57], v[54:55]
	s_andn2_b64 exec, exec, s[10:11]
	s_cbranch_execnz .LBB70_61
; %bb.62:
	s_or_b64 exec, exec, s[10:11]
.LBB70_63:
	s_or_b64 exec, exec, s[8:9]
.LBB70_64:
	s_or_b64 exec, exec, s[6:7]
	v_mov_b32_e32 v20, 0
	ds_read_b64 v[20:21], v20 offset:8
	s_waitcnt lgkmcnt(0)
	v_mul_f64 v[20:21], v[48:49], v[20:21]
.LBB70_65:
	s_or_b64 exec, exec, s[16:17]
	v_cmp_ne_u32_e32 vcc, 0, v0
	ds_write_b64 v51, v[18:19]
	s_waitcnt lgkmcnt(0)
	; wave barrier
	s_and_saveexec_b64 s[12:13], vcc
	s_cbranch_execz .LBB70_81
; %bb.66:
	s_andn2_b64 vcc, exec, s[14:15]
	s_cbranch_vccnz .LBB70_68
; %bb.67:
	v_cmp_eq_u32_e32 vcc, 1, v0
	v_cmp_eq_u32_e64 s[2:3], 2, v0
	v_cmp_eq_u32_e64 s[4:5], 3, v0
	v_cndmask_b32_e32 v48, v19, v21, vcc
	v_cndmask_b32_e64 v48, v48, v23, s[2:3]
	v_cndmask_b32_e64 v48, v48, v25, s[4:5]
	v_cmp_eq_u32_e64 s[6:7], 4, v0
	v_cmp_eq_u32_e64 s[8:9], 5, v0
	;; [unrolled: 1-line block ×3, first 2 shown]
	v_cndmask_b32_e64 v48, v48, v27, s[6:7]
	v_cndmask_b32_e64 v48, v48, v29, s[8:9]
	;; [unrolled: 1-line block ×3, first 2 shown]
	v_cndmask_b32_e32 v48, v18, v20, vcc
	v_cndmask_b32_e64 v48, v48, v22, s[2:3]
	ds_read_b64 v[52:53], v51
	v_cndmask_b32_e64 v48, v48, v24, s[4:5]
	v_cndmask_b32_e64 v48, v48, v26, s[6:7]
	;; [unrolled: 1-line block ×4, first 2 shown]
	s_waitcnt lgkmcnt(0)
	v_mul_f64 v[48:49], v[48:49], v[52:53]
	s_cbranch_execz .LBB70_69
	s_branch .LBB70_70
.LBB70_68:
                                        ; implicit-def: $vgpr48_vgpr49
.LBB70_69:
	ds_read_b64 v[48:49], v51
.LBB70_70:
	s_and_saveexec_b64 s[4:5], s[0:1]
	s_cbranch_execz .LBB70_80
; %bb.71:
	v_add_u32_e32 v50, -2, v0
	v_add_u32_e32 v53, -1, v0
	v_cmp_lt_u32_e32 vcc, 6, v50
	v_mov_b32_e32 v52, 1
	s_and_saveexec_b64 s[0:1], vcc
	s_cbranch_execz .LBB70_75
; %bb.72:
	v_and_b32_e32 v50, -8, v53
	v_sub_u32_e32 v50, 0, v50
	s_mov_b64 s[2:3], 8
	s_movk_i32 s8, 0x48
	s_mov_b64 s[6:7], 0
.LBB70_73:                              ; =>This Inner Loop Header: Depth=1
	s_lshl_b32 s9, s2, 1
	s_add_i32 s10, s9, -13
	v_mov_b32_e32 v68, s8
	s_add_i32 s11, s9, -14
	s_set_gpr_idx_on s10, gpr_idx(SRC0)
	v_mov_b32_e32 v63, v18
	s_set_gpr_idx_off
	s_add_i32 s16, s9, -11
	s_set_gpr_idx_on s11, gpr_idx(SRC0)
	v_mov_b32_e32 v62, v18
	s_set_gpr_idx_off
	ds_read2_b64 v[54:57], v68 offset1:1
	s_add_i32 s17, s9, -12
	s_set_gpr_idx_on s16, gpr_idx(SRC0)
	v_mov_b32_e32 v65, v18
	s_set_gpr_idx_off
	s_add_i32 s18, s9, -9
	s_set_gpr_idx_on s17, gpr_idx(SRC0)
	v_mov_b32_e32 v64, v18
	s_set_gpr_idx_off
	;; [unrolled: 4-line block ×4, first 2 shown]
	ds_read2_b64 v[58:61], v68 offset0:2 offset1:3
	s_add_i32 s21, s9, -8
	s_waitcnt lgkmcnt(1)
	v_fmac_f64_e32 v[48:49], v[62:63], v[54:55]
	s_set_gpr_idx_on s20, gpr_idx(SRC0)
	v_mov_b32_e32 v63, v18
	s_set_gpr_idx_off
	s_add_i32 s22, s9, -5
	v_fmac_f64_e32 v[48:49], v[64:65], v[56:57]
	s_set_gpr_idx_on s21, gpr_idx(SRC0)
	v_mov_b32_e32 v62, v18
	s_set_gpr_idx_off
	s_add_i32 s23, s9, -6
	s_set_gpr_idx_on s22, gpr_idx(SRC0)
	v_mov_b32_e32 v65, v18
	s_set_gpr_idx_off
	s_add_i32 s24, s9, -3
	;; [unrolled: 4-line block ×3, first 2 shown]
	ds_read2_b64 v[54:57], v68 offset0:4 offset1:5
	s_waitcnt lgkmcnt(1)
	v_fmac_f64_e32 v[48:49], v[66:67], v[58:59]
	s_set_gpr_idx_on s24, gpr_idx(SRC0)
	v_mov_b32_e32 v67, v18
	s_set_gpr_idx_off
	s_add_i32 s26, s9, -1
	v_fmac_f64_e32 v[48:49], v[62:63], v[60:61]
	s_set_gpr_idx_on s25, gpr_idx(SRC0)
	v_mov_b32_e32 v66, v18
	s_set_gpr_idx_off
	s_add_i32 s27, s9, -2
	s_set_gpr_idx_on s26, gpr_idx(SRC0)
	v_mov_b32_e32 v63, v18
	s_set_gpr_idx_off
	s_set_gpr_idx_on s27, gpr_idx(SRC0)
	v_mov_b32_e32 v62, v18
	s_set_gpr_idx_off
	ds_read2_b64 v[58:61], v68 offset0:6 offset1:7
	s_add_u32 s2, s2, 8
	s_waitcnt lgkmcnt(1)
	v_fmac_f64_e32 v[48:49], v[64:65], v[54:55]
	s_set_gpr_idx_on s9, gpr_idx(SRC0)
	v_mov_b32_e32 v55, v19
	s_set_gpr_idx_off
	v_add_u32_e32 v52, s2, v50
	v_fmac_f64_e32 v[48:49], v[66:67], v[56:57]
	s_set_gpr_idx_on s9, gpr_idx(SRC0)
	v_mov_b32_e32 v54, v18
	s_set_gpr_idx_off
	s_addc_u32 s3, s3, 0
	s_add_i32 s8, s8, 64
	s_add_i32 s10, s2, -7
	v_cmp_eq_u32_e32 vcc, 8, v52
	s_waitcnt lgkmcnt(0)
	v_fmac_f64_e32 v[48:49], v[62:63], v[58:59]
	v_mov_b32_e32 v52, s10
	s_or_b64 s[6:7], vcc, s[6:7]
	v_fmac_f64_e32 v[48:49], v[54:55], v[60:61]
	s_andn2_b64 exec, exec, s[6:7]
	s_cbranch_execnz .LBB70_73
; %bb.74:
	s_or_b64 exec, exec, s[6:7]
.LBB70_75:
	s_or_b64 exec, exec, s[0:1]
	v_and_b32_e32 v32, 7, v53
	v_cmp_ne_u32_e32 vcc, 0, v32
	s_and_saveexec_b64 s[6:7], vcc
	s_cbranch_execz .LBB70_79
; %bb.76:
	v_lshl_add_u32 v33, v52, 3, 64
	v_mov_b32_e32 v53, 0
	s_mov_b64 s[8:9], 0
.LBB70_77:                              ; =>This Inner Loop Header: Depth=1
	v_cmp_eq_u32_e32 vcc, 1, v52
	v_add_u32_e32 v32, -1, v32
	v_cmp_eq_u32_e64 s[0:1], 2, v52
	v_cndmask_b32_e32 v50, v19, v21, vcc
	v_cndmask_b32_e32 v56, v18, v20, vcc
	v_cndmask_b32_e64 v50, v50, v23, s[0:1]
	v_cmp_eq_u32_e32 vcc, 0, v32
	v_cmp_eq_u32_e64 s[2:3], 3, v52
	ds_read_b64 v[54:55], v33
	v_cndmask_b32_e64 v56, v56, v22, s[0:1]
	v_cndmask_b32_e64 v50, v50, v25, s[2:3]
	s_or_b64 s[8:9], vcc, s[8:9]
	v_cmp_eq_u32_e32 vcc, 4, v52
	v_cndmask_b32_e64 v56, v56, v24, s[2:3]
	v_cmp_eq_u32_e64 s[0:1], 5, v52
	v_cndmask_b32_e32 v50, v50, v27, vcc
	v_cmp_eq_u32_e64 s[2:3], 6, v52
	v_cndmask_b32_e64 v50, v50, v29, s[0:1]
	v_cndmask_b32_e32 v56, v56, v26, vcc
	v_cndmask_b32_e64 v57, v50, v31, s[2:3]
	v_cndmask_b32_e64 v50, v56, v28, s[0:1]
	;; [unrolled: 1-line block ×3, first 2 shown]
	v_add_u32_e32 v33, 8, v33
	v_lshl_add_u64 v[52:53], v[52:53], 0, 1
	s_waitcnt lgkmcnt(0)
	v_fmac_f64_e32 v[48:49], v[56:57], v[54:55]
	s_andn2_b64 exec, exec, s[8:9]
	s_cbranch_execnz .LBB70_77
; %bb.78:
	s_or_b64 exec, exec, s[8:9]
.LBB70_79:
	s_or_b64 exec, exec, s[6:7]
.LBB70_80:
	s_or_b64 exec, exec, s[4:5]
	v_mov_b32_e32 v18, 0
	ds_read_b64 v[18:19], v18
	s_waitcnt lgkmcnt(0)
	v_mul_f64 v[18:19], v[48:49], v[18:19]
.LBB70_81:
	s_or_b64 exec, exec, s[12:13]
	s_branch .LBB70_133
.LBB70_82:
	v_cmp_eq_u32_e64 s[2:3], 0, v0
	s_waitcnt vmcnt(0) lgkmcnt(0)
	ds_write_b64 v51, v[4:5]
	s_waitcnt lgkmcnt(0)
	; wave barrier
	s_and_saveexec_b64 s[12:13], s[2:3]
	s_cbranch_execz .LBB70_88
; %bb.83:
	s_and_b64 vcc, exec, s[14:15]
	s_cbranch_vccz .LBB70_85
; %bb.84:
	v_cmp_eq_u32_e32 vcc, 1, v0
	v_cmp_eq_u32_e64 s[0:1], 2, v0
	v_cmp_eq_u32_e64 s[4:5], 3, v0
	v_cndmask_b32_e32 v5, v3, v5, vcc
	v_cndmask_b32_e32 v4, v2, v4, vcc
	v_cndmask_b32_e64 v5, v5, v7, s[0:1]
	v_cndmask_b32_e64 v4, v4, v6, s[0:1]
	ds_read_b64 v[16:17], v51
	v_cndmask_b32_e64 v5, v5, v9, s[4:5]
	v_cmp_eq_u32_e64 s[6:7], 4, v0
	v_cndmask_b32_e64 v4, v4, v8, s[4:5]
	v_cmp_eq_u32_e64 s[8:9], 5, v0
	v_cndmask_b32_e64 v5, v5, v11, s[6:7]
	v_cndmask_b32_e64 v4, v4, v10, s[6:7]
	;; [unrolled: 1-line block ×3, first 2 shown]
	v_cmp_eq_u32_e64 s[10:11], 6, v0
	v_cndmask_b32_e64 v4, v4, v12, s[8:9]
	s_nop 0
	v_cndmask_b32_e64 v5, v5, v15, s[10:11]
	v_cndmask_b32_e64 v4, v4, v14, s[10:11]
	s_waitcnt lgkmcnt(0)
	v_mul_f64 v[4:5], v[4:5], v[16:17]
	s_cbranch_execz .LBB70_86
	s_branch .LBB70_87
.LBB70_85:
                                        ; implicit-def: $vgpr4_vgpr5
.LBB70_86:
	ds_read_b64 v[4:5], v51
.LBB70_87:
	v_mov_b32_e32 v16, 0
	ds_read_b64 v[16:17], v16 offset:8
	s_waitcnt lgkmcnt(0)
	v_mul_f64 v[4:5], v[4:5], v[16:17]
.LBB70_88:
	s_or_b64 exec, exec, s[12:13]
	v_cndmask_b32_e64 v18, 0, 1, s[14:15]
	v_cmp_gt_u32_e32 vcc, 2, v0
	v_cmp_ne_u32_e64 s[0:1], 1, v18
	ds_write_b64 v51, v[6:7]
	s_waitcnt lgkmcnt(0)
	; wave barrier
	s_and_saveexec_b64 s[14:15], vcc
	s_cbranch_execz .LBB70_94
; %bb.89:
	s_and_b64 vcc, exec, s[0:1]
	s_cbranch_vccnz .LBB70_91
; %bb.90:
	v_cmp_eq_u32_e32 vcc, 1, v0
	v_cmp_eq_u32_e64 s[4:5], 2, v0
	v_cmp_eq_u32_e64 s[6:7], 3, v0
	v_cndmask_b32_e32 v16, v3, v5, vcc
	v_cndmask_b32_e64 v7, v16, v7, s[4:5]
	v_cndmask_b32_e32 v16, v2, v4, vcc
	v_cndmask_b32_e64 v6, v16, v6, s[4:5]
	ds_read_b64 v[16:17], v51
	v_cndmask_b32_e64 v7, v7, v9, s[6:7]
	v_cmp_eq_u32_e64 s[8:9], 4, v0
	v_cndmask_b32_e64 v6, v6, v8, s[6:7]
	v_cmp_eq_u32_e64 s[10:11], 5, v0
	v_cndmask_b32_e64 v7, v7, v11, s[8:9]
	v_cndmask_b32_e64 v6, v6, v10, s[8:9]
	;; [unrolled: 1-line block ×3, first 2 shown]
	v_cmp_eq_u32_e64 s[12:13], 6, v0
	v_cndmask_b32_e64 v6, v6, v12, s[10:11]
	s_nop 0
	v_cndmask_b32_e64 v7, v7, v15, s[12:13]
	v_cndmask_b32_e64 v6, v6, v14, s[12:13]
	s_waitcnt lgkmcnt(0)
	v_mul_f64 v[6:7], v[6:7], v[16:17]
	s_cbranch_execz .LBB70_92
	s_branch .LBB70_93
.LBB70_91:
                                        ; implicit-def: $vgpr6_vgpr7
.LBB70_92:
	ds_read_b64 v[6:7], v51
.LBB70_93:
	v_mov_b32_e32 v16, 0
	ds_read2_b64 v[16:19], v16 offset0:2 offset1:9
	s_waitcnt lgkmcnt(0)
	v_fma_f64 v[18:19], v[4:5], v[18:19], v[6:7]
	v_cndmask_b32_e64 v7, v7, v19, s[2:3]
	v_cndmask_b32_e64 v6, v6, v18, s[2:3]
	v_mul_f64 v[6:7], v[6:7], v[16:17]
.LBB70_94:
	s_or_b64 exec, exec, s[14:15]
	v_cmp_gt_u32_e32 vcc, 3, v0
	ds_write_b64 v51, v[8:9]
	s_waitcnt lgkmcnt(0)
	; wave barrier
	s_and_saveexec_b64 s[14:15], vcc
	s_cbranch_execz .LBB70_102
; %bb.95:
	s_and_b64 vcc, exec, s[0:1]
	s_cbranch_vccnz .LBB70_97
; %bb.96:
	v_cmp_eq_u32_e32 vcc, 1, v0
	v_cmp_eq_u32_e64 s[4:5], 2, v0
	v_cmp_eq_u32_e64 s[6:7], 3, v0
	v_cndmask_b32_e32 v16, v3, v5, vcc
	v_cndmask_b32_e64 v16, v16, v7, s[4:5]
	v_cndmask_b32_e64 v16, v16, v9, s[6:7]
	v_cmp_eq_u32_e64 s[8:9], 4, v0
	v_cmp_eq_u32_e64 s[10:11], 5, v0
	;; [unrolled: 1-line block ×3, first 2 shown]
	v_cndmask_b32_e64 v16, v16, v11, s[8:9]
	v_cndmask_b32_e64 v16, v16, v13, s[10:11]
	;; [unrolled: 1-line block ×3, first 2 shown]
	v_cndmask_b32_e32 v16, v2, v4, vcc
	v_cndmask_b32_e64 v16, v16, v6, s[4:5]
	ds_read_b64 v[18:19], v51
	v_cndmask_b32_e64 v16, v16, v8, s[6:7]
	v_cndmask_b32_e64 v16, v16, v10, s[8:9]
	;; [unrolled: 1-line block ×4, first 2 shown]
	s_waitcnt lgkmcnt(0)
	v_mul_f64 v[16:17], v[16:17], v[18:19]
	s_cbranch_execz .LBB70_98
	s_branch .LBB70_99
.LBB70_97:
                                        ; implicit-def: $vgpr16_vgpr17
.LBB70_98:
	ds_read_b64 v[16:17], v51
.LBB70_99:
	v_cmp_ne_u32_e32 vcc, 2, v0
	s_and_saveexec_b64 s[16:17], vcc
	s_cbranch_execz .LBB70_101
; %bb.100:
	v_add_u32_e32 v18, 1, v0
	v_cmp_eq_u32_e32 vcc, 1, v18
	v_cmp_eq_u32_e64 s[4:5], 2, v18
	v_cmp_eq_u32_e64 s[6:7], 3, v18
	v_cndmask_b32_e32 v19, v3, v5, vcc
	v_cmp_eq_u32_e64 s[8:9], 4, v18
	v_cmp_eq_u32_e64 s[10:11], 5, v18
	v_cmp_eq_u32_e64 s[12:13], 6, v18
	v_cndmask_b32_e32 v18, v2, v4, vcc
	v_cndmask_b32_e64 v19, v19, v7, s[4:5]
	v_cndmask_b32_e64 v18, v18, v6, s[4:5]
	v_mov_b32_e32 v20, 0
	v_cndmask_b32_e64 v9, v19, v9, s[6:7]
	v_cndmask_b32_e64 v8, v18, v8, s[6:7]
	ds_read_b64 v[18:19], v51 offset:8
	ds_read_b64 v[20:21], v20 offset:80
	v_cndmask_b32_e64 v9, v9, v11, s[8:9]
	v_cndmask_b32_e64 v8, v8, v10, s[8:9]
	;; [unrolled: 1-line block ×6, first 2 shown]
	s_waitcnt lgkmcnt(1)
	v_fmac_f64_e32 v[16:17], v[8:9], v[18:19]
	s_waitcnt lgkmcnt(0)
	v_fma_f64 v[8:9], v[6:7], v[20:21], v[16:17]
	v_cndmask_b32_e64 v17, v17, v9, s[2:3]
	v_cndmask_b32_e64 v16, v16, v8, s[2:3]
.LBB70_101:
	s_or_b64 exec, exec, s[16:17]
	v_mov_b32_e32 v8, 0
	ds_read_b64 v[8:9], v8 offset:24
	s_waitcnt lgkmcnt(0)
	v_mul_f64 v[8:9], v[16:17], v[8:9]
.LBB70_102:
	s_or_b64 exec, exec, s[14:15]
	v_cmp_gt_u32_e32 vcc, 4, v0
	ds_write_b64 v51, v[10:11]
	s_waitcnt lgkmcnt(0)
	; wave barrier
	s_and_saveexec_b64 s[12:13], vcc
	s_cbranch_execz .LBB70_112
; %bb.103:
	s_and_b64 vcc, exec, s[0:1]
	s_cbranch_vccnz .LBB70_105
; %bb.104:
	v_cmp_eq_u32_e32 vcc, 1, v0
	v_cmp_eq_u32_e64 s[2:3], 2, v0
	v_cmp_eq_u32_e64 s[4:5], 3, v0
	v_cndmask_b32_e32 v16, v3, v5, vcc
	v_cndmask_b32_e64 v16, v16, v7, s[2:3]
	v_cndmask_b32_e64 v16, v16, v9, s[4:5]
	v_cmp_eq_u32_e64 s[6:7], 4, v0
	v_cmp_eq_u32_e64 s[8:9], 5, v0
	;; [unrolled: 1-line block ×3, first 2 shown]
	v_cndmask_b32_e64 v16, v16, v11, s[6:7]
	v_cndmask_b32_e64 v16, v16, v13, s[8:9]
	;; [unrolled: 1-line block ×3, first 2 shown]
	v_cndmask_b32_e32 v16, v2, v4, vcc
	v_cndmask_b32_e64 v16, v16, v6, s[2:3]
	ds_read_b64 v[18:19], v51
	v_cndmask_b32_e64 v16, v16, v8, s[4:5]
	v_cndmask_b32_e64 v16, v16, v10, s[6:7]
	;; [unrolled: 1-line block ×4, first 2 shown]
	s_waitcnt lgkmcnt(0)
	v_mul_f64 v[16:17], v[16:17], v[18:19]
	s_cbranch_execz .LBB70_106
	s_branch .LBB70_107
.LBB70_105:
                                        ; implicit-def: $vgpr16_vgpr17
.LBB70_106:
	ds_read_b64 v[16:17], v51
.LBB70_107:
	v_cmp_ne_u32_e32 vcc, 3, v0
	s_and_saveexec_b64 s[6:7], vcc
	s_cbranch_execz .LBB70_111
; %bb.108:
	v_mov_b32_e32 v18, 0x48
	v_lshl_add_u32 v20, v0, 3, v18
	s_mov_b64 s[8:9], 0
	v_mov_b64_e32 v[18:19], v[0:1]
.LBB70_109:                             ; =>This Inner Loop Header: Depth=1
	v_lshl_add_u64 v[18:19], v[18:19], 0, 1
	v_cmp_eq_u32_e32 vcc, 1, v18
	v_cmp_eq_u32_e64 s[4:5], 2, v18
	v_cmp_lt_u32_e64 s[2:3], 2, v18
	v_cndmask_b32_e32 v21, v3, v5, vcc
	v_cndmask_b32_e64 v21, v21, v7, s[4:5]
	v_cndmask_b32_e32 v24, v2, v4, vcc
	v_cmp_eq_u32_e32 vcc, 3, v18
	ds_read_b64 v[22:23], v20
	s_or_b64 s[8:9], s[2:3], s[8:9]
	v_cndmask_b32_e32 v21, v21, v9, vcc
	v_cndmask_b32_e64 v24, v24, v6, s[4:5]
	v_cmp_eq_u32_e64 s[2:3], 4, v18
	v_cndmask_b32_e32 v24, v24, v8, vcc
	v_cmp_eq_u32_e32 vcc, 5, v18
	v_cndmask_b32_e64 v21, v21, v11, s[2:3]
	v_cndmask_b32_e64 v24, v24, v10, s[2:3]
	v_cndmask_b32_e32 v21, v21, v13, vcc
	v_cmp_eq_u32_e64 s[2:3], 6, v18
	v_add_u32_e32 v20, 8, v20
	s_nop 0
	v_cndmask_b32_e64 v25, v21, v15, s[2:3]
	v_cndmask_b32_e32 v21, v24, v12, vcc
	v_cndmask_b32_e64 v24, v21, v14, s[2:3]
	s_waitcnt lgkmcnt(0)
	v_fmac_f64_e32 v[16:17], v[24:25], v[22:23]
	s_andn2_b64 exec, exec, s[8:9]
	s_cbranch_execnz .LBB70_109
; %bb.110:
	s_or_b64 exec, exec, s[8:9]
.LBB70_111:
	s_or_b64 exec, exec, s[6:7]
	v_mov_b32_e32 v10, 0
	ds_read_b64 v[10:11], v10 offset:32
	s_waitcnt lgkmcnt(0)
	v_mul_f64 v[10:11], v[16:17], v[10:11]
.LBB70_112:
	s_or_b64 exec, exec, s[12:13]
	v_cmp_gt_u32_e64 s[2:3], 5, v0
	ds_write_b64 v51, v[12:13]
	s_waitcnt lgkmcnt(0)
	; wave barrier
	s_and_saveexec_b64 s[14:15], s[2:3]
	s_cbranch_execz .LBB70_122
; %bb.113:
	s_and_b64 vcc, exec, s[0:1]
	s_cbranch_vccnz .LBB70_115
; %bb.114:
	v_cmp_eq_u32_e32 vcc, 1, v0
	v_cmp_eq_u32_e64 s[4:5], 2, v0
	v_cmp_eq_u32_e64 s[6:7], 3, v0
	v_cndmask_b32_e32 v16, v3, v5, vcc
	v_cndmask_b32_e64 v16, v16, v7, s[4:5]
	v_cndmask_b32_e64 v16, v16, v9, s[6:7]
	v_cmp_eq_u32_e64 s[8:9], 4, v0
	v_cmp_eq_u32_e64 s[10:11], 5, v0
	;; [unrolled: 1-line block ×3, first 2 shown]
	v_cndmask_b32_e64 v16, v16, v11, s[8:9]
	v_cndmask_b32_e64 v16, v16, v13, s[10:11]
	v_cndmask_b32_e64 v17, v16, v15, s[12:13]
	v_cndmask_b32_e32 v16, v2, v4, vcc
	v_cndmask_b32_e64 v16, v16, v6, s[4:5]
	ds_read_b64 v[18:19], v51
	v_cndmask_b32_e64 v16, v16, v8, s[6:7]
	v_cndmask_b32_e64 v16, v16, v10, s[8:9]
	v_cndmask_b32_e64 v16, v16, v12, s[10:11]
	v_cndmask_b32_e64 v16, v16, v14, s[12:13]
	s_waitcnt lgkmcnt(0)
	v_mul_f64 v[16:17], v[16:17], v[18:19]
	s_cbranch_execz .LBB70_116
	s_branch .LBB70_117
.LBB70_115:
                                        ; implicit-def: $vgpr16_vgpr17
.LBB70_116:
	ds_read_b64 v[16:17], v51
.LBB70_117:
	v_cmp_ne_u32_e32 vcc, 4, v0
	s_and_saveexec_b64 s[8:9], vcc
	s_cbranch_execz .LBB70_121
; %bb.118:
	v_mov_b32_e32 v18, 0x48
	v_lshl_add_u32 v20, v0, 3, v18
	s_mov_b64 s[10:11], 0
	v_mov_b64_e32 v[18:19], v[0:1]
.LBB70_119:                             ; =>This Inner Loop Header: Depth=1
	v_lshl_add_u64 v[18:19], v[18:19], 0, 1
	v_cmp_eq_u32_e32 vcc, 1, v18
	v_cmp_eq_u32_e64 s[6:7], 2, v18
	v_cmp_lt_u32_e64 s[4:5], 3, v18
	v_cndmask_b32_e32 v21, v3, v5, vcc
	v_cndmask_b32_e64 v21, v21, v7, s[6:7]
	v_cndmask_b32_e32 v24, v2, v4, vcc
	v_cmp_eq_u32_e32 vcc, 3, v18
	ds_read_b64 v[22:23], v20
	s_or_b64 s[10:11], s[4:5], s[10:11]
	v_cndmask_b32_e32 v21, v21, v9, vcc
	v_cndmask_b32_e64 v24, v24, v6, s[6:7]
	v_cmp_eq_u32_e64 s[4:5], 4, v18
	v_cndmask_b32_e32 v24, v24, v8, vcc
	v_cmp_eq_u32_e32 vcc, 5, v18
	v_cndmask_b32_e64 v21, v21, v11, s[4:5]
	v_cndmask_b32_e64 v24, v24, v10, s[4:5]
	v_cndmask_b32_e32 v21, v21, v13, vcc
	v_cmp_eq_u32_e64 s[4:5], 6, v18
	v_add_u32_e32 v20, 8, v20
	s_nop 0
	v_cndmask_b32_e64 v25, v21, v15, s[4:5]
	v_cndmask_b32_e32 v21, v24, v12, vcc
	v_cndmask_b32_e64 v24, v21, v14, s[4:5]
	s_waitcnt lgkmcnt(0)
	v_fmac_f64_e32 v[16:17], v[24:25], v[22:23]
	s_andn2_b64 exec, exec, s[10:11]
	s_cbranch_execnz .LBB70_119
; %bb.120:
	s_or_b64 exec, exec, s[10:11]
.LBB70_121:
	s_or_b64 exec, exec, s[8:9]
	v_mov_b32_e32 v12, 0
	ds_read_b64 v[12:13], v12 offset:40
	s_waitcnt lgkmcnt(0)
	v_mul_f64 v[12:13], v[16:17], v[12:13]
.LBB70_122:
	s_or_b64 exec, exec, s[14:15]
	v_cmp_ne_u32_e32 vcc, 6, v0
	ds_write_b64 v51, v[14:15]
	s_waitcnt lgkmcnt(0)
	; wave barrier
	s_and_saveexec_b64 s[12:13], vcc
	s_cbranch_execz .LBB70_132
; %bb.123:
	s_and_b64 vcc, exec, s[0:1]
	s_cbranch_vccnz .LBB70_125
; %bb.124:
	v_cmp_eq_u32_e32 vcc, 1, v0
	v_cmp_eq_u32_e64 s[0:1], 2, v0
	v_cmp_eq_u32_e64 s[4:5], 3, v0
	v_cndmask_b32_e32 v16, v3, v5, vcc
	v_cndmask_b32_e64 v16, v16, v7, s[0:1]
	v_cndmask_b32_e64 v16, v16, v9, s[4:5]
	v_cmp_eq_u32_e64 s[6:7], 4, v0
	v_cmp_eq_u32_e64 s[8:9], 5, v0
	;; [unrolled: 1-line block ×3, first 2 shown]
	v_cndmask_b32_e64 v16, v16, v11, s[6:7]
	v_cndmask_b32_e64 v16, v16, v13, s[8:9]
	;; [unrolled: 1-line block ×3, first 2 shown]
	v_cndmask_b32_e32 v16, v2, v4, vcc
	v_cndmask_b32_e64 v16, v16, v6, s[0:1]
	ds_read_b64 v[18:19], v51
	v_cndmask_b32_e64 v16, v16, v8, s[4:5]
	v_cndmask_b32_e64 v16, v16, v10, s[6:7]
	;; [unrolled: 1-line block ×4, first 2 shown]
	s_waitcnt lgkmcnt(0)
	v_mul_f64 v[16:17], v[16:17], v[18:19]
	s_cbranch_execz .LBB70_126
	s_branch .LBB70_127
.LBB70_125:
                                        ; implicit-def: $vgpr16_vgpr17
.LBB70_126:
	ds_read_b64 v[16:17], v51
.LBB70_127:
	s_and_saveexec_b64 s[4:5], s[2:3]
	s_cbranch_execz .LBB70_131
; %bb.128:
	v_mov_b32_e32 v18, 0x48
	v_lshl_add_u32 v18, v0, 3, v18
	s_mov_b64 s[6:7], 0
.LBB70_129:                             ; =>This Inner Loop Header: Depth=1
	v_lshl_add_u64 v[0:1], v[0:1], 0, 1
	v_cmp_eq_u32_e32 vcc, 1, v0
	v_cmp_eq_u32_e64 s[2:3], 2, v0
	v_cmp_lt_u32_e64 s[0:1], 4, v0
	v_cndmask_b32_e32 v19, v3, v5, vcc
	v_cndmask_b32_e64 v19, v19, v7, s[2:3]
	v_cndmask_b32_e32 v22, v2, v4, vcc
	v_cmp_eq_u32_e32 vcc, 3, v0
	ds_read_b64 v[20:21], v18
	s_or_b64 s[6:7], s[0:1], s[6:7]
	v_cndmask_b32_e32 v19, v19, v9, vcc
	v_cndmask_b32_e64 v22, v22, v6, s[2:3]
	v_cmp_eq_u32_e64 s[0:1], 4, v0
	v_cndmask_b32_e32 v22, v22, v8, vcc
	v_cmp_eq_u32_e32 vcc, 5, v0
	v_cndmask_b32_e64 v19, v19, v11, s[0:1]
	v_cndmask_b32_e64 v22, v22, v10, s[0:1]
	v_cndmask_b32_e32 v19, v19, v13, vcc
	v_cmp_eq_u32_e64 s[0:1], 6, v0
	v_add_u32_e32 v18, 8, v18
	s_nop 0
	v_cndmask_b32_e64 v23, v19, v15, s[0:1]
	v_cndmask_b32_e32 v19, v22, v12, vcc
	v_cndmask_b32_e64 v22, v19, v14, s[0:1]
	s_waitcnt lgkmcnt(0)
	v_fmac_f64_e32 v[16:17], v[22:23], v[20:21]
	s_andn2_b64 exec, exec, s[6:7]
	s_cbranch_execnz .LBB70_129
; %bb.130:
	s_or_b64 exec, exec, s[6:7]
.LBB70_131:
	s_or_b64 exec, exec, s[4:5]
	v_mov_b32_e32 v0, 0
	ds_read_b64 v[0:1], v0 offset:48
	s_waitcnt lgkmcnt(0)
	v_mul_f64 v[14:15], v[16:17], v[0:1]
.LBB70_132:
	s_or_b64 exec, exec, s[12:13]
	v_mov_b64_e32 v[32:33], v[16:17]
	v_mov_b64_e32 v[30:31], v[14:15]
	;; [unrolled: 1-line block ×8, first 2 shown]
.LBB70_133:
	flat_store_dwordx2 v[34:35], v[18:19]
	flat_store_dwordx2 v[36:37], v[20:21]
	;; [unrolled: 1-line block ×7, first 2 shown]
.LBB70_134:
	s_endpgm
	.section	.rodata,"a",@progbits
	.p2align	6, 0x0
	.amdhsa_kernel _ZN9rocsolver6v33100L18trti2_kernel_smallILi7EdPKPdEEv13rocblas_fill_17rocblas_diagonal_T1_iil
		.amdhsa_group_segment_fixed_size 120
		.amdhsa_private_segment_fixed_size 0
		.amdhsa_kernarg_size 32
		.amdhsa_user_sgpr_count 2
		.amdhsa_user_sgpr_dispatch_ptr 0
		.amdhsa_user_sgpr_queue_ptr 0
		.amdhsa_user_sgpr_kernarg_segment_ptr 1
		.amdhsa_user_sgpr_dispatch_id 0
		.amdhsa_user_sgpr_kernarg_preload_length 0
		.amdhsa_user_sgpr_kernarg_preload_offset 0
		.amdhsa_user_sgpr_private_segment_size 0
		.amdhsa_uses_dynamic_stack 0
		.amdhsa_enable_private_segment 0
		.amdhsa_system_sgpr_workgroup_id_x 1
		.amdhsa_system_sgpr_workgroup_id_y 0
		.amdhsa_system_sgpr_workgroup_id_z 0
		.amdhsa_system_sgpr_workgroup_info 0
		.amdhsa_system_vgpr_workitem_id 0
		.amdhsa_next_free_vgpr 76
		.amdhsa_next_free_sgpr 30
		.amdhsa_accum_offset 76
		.amdhsa_reserve_vcc 1
		.amdhsa_float_round_mode_32 0
		.amdhsa_float_round_mode_16_64 0
		.amdhsa_float_denorm_mode_32 3
		.amdhsa_float_denorm_mode_16_64 3
		.amdhsa_dx10_clamp 1
		.amdhsa_ieee_mode 1
		.amdhsa_fp16_overflow 0
		.amdhsa_tg_split 0
		.amdhsa_exception_fp_ieee_invalid_op 0
		.amdhsa_exception_fp_denorm_src 0
		.amdhsa_exception_fp_ieee_div_zero 0
		.amdhsa_exception_fp_ieee_overflow 0
		.amdhsa_exception_fp_ieee_underflow 0
		.amdhsa_exception_fp_ieee_inexact 0
		.amdhsa_exception_int_div_zero 0
	.end_amdhsa_kernel
	.section	.text._ZN9rocsolver6v33100L18trti2_kernel_smallILi7EdPKPdEEv13rocblas_fill_17rocblas_diagonal_T1_iil,"axG",@progbits,_ZN9rocsolver6v33100L18trti2_kernel_smallILi7EdPKPdEEv13rocblas_fill_17rocblas_diagonal_T1_iil,comdat
.Lfunc_end70:
	.size	_ZN9rocsolver6v33100L18trti2_kernel_smallILi7EdPKPdEEv13rocblas_fill_17rocblas_diagonal_T1_iil, .Lfunc_end70-_ZN9rocsolver6v33100L18trti2_kernel_smallILi7EdPKPdEEv13rocblas_fill_17rocblas_diagonal_T1_iil
                                        ; -- End function
	.set _ZN9rocsolver6v33100L18trti2_kernel_smallILi7EdPKPdEEv13rocblas_fill_17rocblas_diagonal_T1_iil.num_vgpr, 76
	.set _ZN9rocsolver6v33100L18trti2_kernel_smallILi7EdPKPdEEv13rocblas_fill_17rocblas_diagonal_T1_iil.num_agpr, 0
	.set _ZN9rocsolver6v33100L18trti2_kernel_smallILi7EdPKPdEEv13rocblas_fill_17rocblas_diagonal_T1_iil.numbered_sgpr, 30
	.set _ZN9rocsolver6v33100L18trti2_kernel_smallILi7EdPKPdEEv13rocblas_fill_17rocblas_diagonal_T1_iil.num_named_barrier, 0
	.set _ZN9rocsolver6v33100L18trti2_kernel_smallILi7EdPKPdEEv13rocblas_fill_17rocblas_diagonal_T1_iil.private_seg_size, 0
	.set _ZN9rocsolver6v33100L18trti2_kernel_smallILi7EdPKPdEEv13rocblas_fill_17rocblas_diagonal_T1_iil.uses_vcc, 1
	.set _ZN9rocsolver6v33100L18trti2_kernel_smallILi7EdPKPdEEv13rocblas_fill_17rocblas_diagonal_T1_iil.uses_flat_scratch, 0
	.set _ZN9rocsolver6v33100L18trti2_kernel_smallILi7EdPKPdEEv13rocblas_fill_17rocblas_diagonal_T1_iil.has_dyn_sized_stack, 0
	.set _ZN9rocsolver6v33100L18trti2_kernel_smallILi7EdPKPdEEv13rocblas_fill_17rocblas_diagonal_T1_iil.has_recursion, 0
	.set _ZN9rocsolver6v33100L18trti2_kernel_smallILi7EdPKPdEEv13rocblas_fill_17rocblas_diagonal_T1_iil.has_indirect_call, 0
	.section	.AMDGPU.csdata,"",@progbits
; Kernel info:
; codeLenInByte = 7068
; TotalNumSgprs: 36
; NumVgprs: 76
; NumAgprs: 0
; TotalNumVgprs: 76
; ScratchSize: 0
; MemoryBound: 0
; FloatMode: 240
; IeeeMode: 1
; LDSByteSize: 120 bytes/workgroup (compile time only)
; SGPRBlocks: 4
; VGPRBlocks: 9
; NumSGPRsForWavesPerEU: 36
; NumVGPRsForWavesPerEU: 76
; AccumOffset: 76
; Occupancy: 6
; WaveLimiterHint : 1
; COMPUTE_PGM_RSRC2:SCRATCH_EN: 0
; COMPUTE_PGM_RSRC2:USER_SGPR: 2
; COMPUTE_PGM_RSRC2:TRAP_HANDLER: 0
; COMPUTE_PGM_RSRC2:TGID_X_EN: 1
; COMPUTE_PGM_RSRC2:TGID_Y_EN: 0
; COMPUTE_PGM_RSRC2:TGID_Z_EN: 0
; COMPUTE_PGM_RSRC2:TIDIG_COMP_CNT: 0
; COMPUTE_PGM_RSRC3_GFX90A:ACCUM_OFFSET: 18
; COMPUTE_PGM_RSRC3_GFX90A:TG_SPLIT: 0
	.section	.text._ZN9rocsolver6v33100L18trti2_kernel_smallILi8EdPKPdEEv13rocblas_fill_17rocblas_diagonal_T1_iil,"axG",@progbits,_ZN9rocsolver6v33100L18trti2_kernel_smallILi8EdPKPdEEv13rocblas_fill_17rocblas_diagonal_T1_iil,comdat
	.globl	_ZN9rocsolver6v33100L18trti2_kernel_smallILi8EdPKPdEEv13rocblas_fill_17rocblas_diagonal_T1_iil ; -- Begin function _ZN9rocsolver6v33100L18trti2_kernel_smallILi8EdPKPdEEv13rocblas_fill_17rocblas_diagonal_T1_iil
	.p2align	8
	.type	_ZN9rocsolver6v33100L18trti2_kernel_smallILi8EdPKPdEEv13rocblas_fill_17rocblas_diagonal_T1_iil,@function
_ZN9rocsolver6v33100L18trti2_kernel_smallILi8EdPKPdEEv13rocblas_fill_17rocblas_diagonal_T1_iil: ; @_ZN9rocsolver6v33100L18trti2_kernel_smallILi8EdPKPdEEv13rocblas_fill_17rocblas_diagonal_T1_iil
; %bb.0:
	v_cmp_gt_u32_e32 vcc, 8, v0
	s_and_saveexec_b64 s[4:5], vcc
	s_cbranch_execz .LBB71_160
; %bb.1:
	s_load_dwordx2 s[4:5], s[0:1], 0x10
	s_load_dwordx4 s[16:19], s[0:1], 0x0
	s_ashr_i32 s3, s2, 31
	s_lshl_b64 s[0:1], s[2:3], 3
	v_mov_b32_e32 v1, 0
	s_waitcnt lgkmcnt(0)
	s_ashr_i32 s3, s4, 31
	s_add_u32 s0, s18, s0
	s_addc_u32 s1, s19, s1
	s_load_dwordx2 s[0:1], s[0:1], 0x0
	s_mov_b32 s2, s4
	s_lshl_b64 s[2:3], s[2:3], 3
	v_lshlrev_b32_e32 v18, 3, v0
	v_mov_b32_e32 v19, v1
	s_waitcnt lgkmcnt(0)
	s_add_u32 s0, s0, s2
	s_addc_u32 s1, s1, s3
	v_lshl_add_u64 v[34:35], s[0:1], 0, v[18:19]
	s_ashr_i32 s3, s5, 31
	s_mov_b32 s2, s5
	v_lshl_add_u64 v[36:37], s[2:3], 3, v[34:35]
	s_add_i32 s2, s5, s5
	v_add_u32_e32 v2, s2, v0
	v_add_u32_e32 v10, s5, v2
	v_ashrrev_i32_e32 v11, 31, v10
	v_lshl_add_u64 v[40:41], v[10:11], 3, s[0:1]
	v_add_u32_e32 v10, s5, v10
	v_ashrrev_i32_e32 v11, 31, v10
	v_lshl_add_u64 v[42:43], v[10:11], 3, s[0:1]
	v_add_u32_e32 v10, s5, v10
	v_ashrrev_i32_e32 v11, 31, v10
	v_lshl_add_u64 v[44:45], v[10:11], 3, s[0:1]
	v_add_u32_e32 v10, s5, v10
	v_ashrrev_i32_e32 v11, 31, v10
	v_lshl_add_u64 v[46:47], v[10:11], 3, s[0:1]
	v_add_u32_e32 v10, s5, v10
	v_ashrrev_i32_e32 v3, 31, v2
	v_ashrrev_i32_e32 v11, 31, v10
	v_lshl_add_u64 v[38:39], v[2:3], 3, s[0:1]
	flat_load_dwordx2 v[2:3], v[34:35]
	flat_load_dwordx2 v[4:5], v[36:37]
	;; [unrolled: 1-line block ×4, first 2 shown]
	v_lshl_add_u64 v[48:49], v[10:11], 3, s[0:1]
	flat_load_dwordx2 v[10:11], v[42:43]
	flat_load_dwordx2 v[12:13], v[44:45]
	flat_load_dwordx2 v[14:15], v[46:47]
	flat_load_dwordx2 v[16:17], v[48:49]
	s_cmpk_lg_i32 s17, 0x84
	s_cselect_b64 s[18:19], -1, 0
	s_cmpk_eq_i32 s17, 0x84
	v_mov_b64_e32 v[20:21], -1.0
	s_cbranch_scc1 .LBB71_3
; %bb.2:
	v_cmp_eq_u32_e64 s[0:1], 1, v0
	v_cmp_eq_u32_e64 s[2:3], 2, v0
	;; [unrolled: 1-line block ×3, first 2 shown]
	s_waitcnt vmcnt(0) lgkmcnt(0)
	v_cndmask_b32_e64 v19, v3, v5, s[0:1]
	v_cndmask_b32_e64 v19, v19, v7, s[2:3]
	;; [unrolled: 1-line block ×3, first 2 shown]
	v_cmp_eq_u32_e64 s[6:7], 4, v0
	v_cmp_eq_u32_e64 s[8:9], 5, v0
	;; [unrolled: 1-line block ×3, first 2 shown]
	v_cndmask_b32_e64 v19, v19, v11, s[6:7]
	v_cndmask_b32_e64 v19, v19, v13, s[8:9]
	;; [unrolled: 1-line block ×3, first 2 shown]
	v_cmp_eq_u32_e64 s[12:13], 7, v0
	s_nop 1
	v_cndmask_b32_e64 v21, v19, v17, s[12:13]
	v_cndmask_b32_e64 v19, v2, v4, s[0:1]
	v_cndmask_b32_e64 v19, v19, v6, s[2:3]
	v_cndmask_b32_e64 v19, v19, v8, s[4:5]
	v_cndmask_b32_e64 v19, v19, v10, s[6:7]
	v_cndmask_b32_e64 v19, v19, v12, s[8:9]
	v_cndmask_b32_e64 v19, v19, v14, s[10:11]
	v_cndmask_b32_e64 v20, v19, v16, s[12:13]
	v_div_scale_f64 v[22:23], s[14:15], v[20:21], v[20:21], 1.0
	v_rcp_f64_e32 v[24:25], v[22:23]
	s_nop 0
	v_fma_f64 v[26:27], -v[22:23], v[24:25], 1.0
	v_fmac_f64_e32 v[24:25], v[24:25], v[26:27]
	v_fma_f64 v[26:27], -v[22:23], v[24:25], 1.0
	v_fmac_f64_e32 v[24:25], v[24:25], v[26:27]
	v_div_scale_f64 v[26:27], vcc, 1.0, v[20:21], 1.0
	v_mul_f64 v[28:29], v[26:27], v[24:25]
	v_fma_f64 v[22:23], -v[22:23], v[28:29], v[26:27]
	s_nop 1
	v_div_fmas_f64 v[22:23], v[22:23], v[24:25], v[28:29]
	v_div_fixup_f64 v[20:21], v[22:23], v[20:21], 1.0
	v_cmp_eq_u32_e32 vcc, 0, v0
	v_cndmask_b32_e64 v17, v17, v21, s[12:13]
	v_cndmask_b32_e64 v16, v16, v20, s[12:13]
	;; [unrolled: 1-line block ×14, first 2 shown]
	v_cndmask_b32_e32 v3, v3, v21, vcc
	v_cndmask_b32_e32 v2, v2, v20, vcc
	v_xor_b32_e32 v21, 0x80000000, v21
.LBB71_3:
	s_cmpk_eq_i32 s16, 0x79
	v_add_u32_e32 v53, 64, v18
	ds_write_b64 v18, v[20:21]
	s_cbranch_scc1 .LBB71_7
; %bb.4:
	s_waitcnt vmcnt(0) lgkmcnt(0)
	v_mov_b64_e32 v[32:33], v[16:17]
	v_cmp_eq_u32_e64 s[0:1], 7, v0
	v_mov_b64_e32 v[30:31], v[14:15]
	v_mov_b64_e32 v[28:29], v[12:13]
	;; [unrolled: 1-line block ×7, first 2 shown]
	ds_write_b64 v53, v[14:15]
	s_waitcnt lgkmcnt(0)
	; wave barrier
	s_and_saveexec_b64 s[14:15], s[0:1]
	s_cbranch_execz .LBB71_11
; %bb.5:
	s_and_b64 vcc, exec, s[18:19]
	s_cbranch_vccz .LBB71_8
; %bb.6:
	v_cmp_eq_u32_e32 vcc, 1, v0
	v_cmp_eq_u32_e64 s[2:3], 2, v0
	v_cmp_eq_u32_e64 s[4:5], 3, v0
	v_cndmask_b32_e32 v18, v3, v5, vcc
	v_cndmask_b32_e64 v18, v18, v7, s[2:3]
	v_cndmask_b32_e64 v18, v18, v9, s[4:5]
	v_cmp_eq_u32_e64 s[6:7], 4, v0
	v_cmp_eq_u32_e64 s[8:9], 5, v0
	;; [unrolled: 1-line block ×3, first 2 shown]
	v_cndmask_b32_e64 v18, v18, v11, s[6:7]
	v_cndmask_b32_e64 v18, v18, v13, s[8:9]
	;; [unrolled: 1-line block ×3, first 2 shown]
	v_cmp_eq_u32_e64 s[12:13], 7, v0
	ds_read_b64 v[20:21], v53
	s_nop 0
	v_cndmask_b32_e64 v19, v18, v17, s[12:13]
	v_cndmask_b32_e32 v18, v2, v4, vcc
	v_cndmask_b32_e64 v18, v18, v6, s[2:3]
	v_cndmask_b32_e64 v18, v18, v8, s[4:5]
	;; [unrolled: 1-line block ×6, first 2 shown]
	s_waitcnt lgkmcnt(0)
	v_mul_f64 v[50:51], v[18:19], v[20:21]
	s_cbranch_execz .LBB71_9
	s_branch .LBB71_10
.LBB71_7:
                                        ; implicit-def: $vgpr18_vgpr19_vgpr20_vgpr21_vgpr22_vgpr23_vgpr24_vgpr25_vgpr26_vgpr27_vgpr28_vgpr29_vgpr30_vgpr31_vgpr32_vgpr33
	s_cbranch_execnz .LBB71_98
	s_branch .LBB71_159
.LBB71_8:
                                        ; implicit-def: $vgpr50_vgpr51
.LBB71_9:
	ds_read_b64 v[50:51], v53
.LBB71_10:
	v_mov_b32_e32 v18, 0
	ds_read_b64 v[54:55], v18 offset:48
	v_mov_b64_e32 v[32:33], v[16:17]
	v_mov_b64_e32 v[30:31], v[14:15]
	;; [unrolled: 1-line block ×8, first 2 shown]
	s_waitcnt lgkmcnt(0)
	v_mul_f64 v[30:31], v[50:51], v[54:55]
.LBB71_11:
	s_or_b64 exec, exec, s[14:15]
	v_cmp_lt_u32_e64 s[2:3], 5, v0
	ds_write_b64 v53, v[28:29]
	s_waitcnt lgkmcnt(0)
	; wave barrier
	s_and_saveexec_b64 s[16:17], s[2:3]
	s_cbranch_execz .LBB71_17
; %bb.12:
	s_andn2_b64 vcc, exec, s[18:19]
	s_cbranch_vccnz .LBB71_14
; %bb.13:
	v_cmp_eq_u32_e32 vcc, 1, v0
	v_cmp_eq_u32_e64 s[4:5], 2, v0
	v_cmp_eq_u32_e64 s[6:7], 3, v0
	v_cndmask_b32_e32 v50, v19, v21, vcc
	v_cndmask_b32_e64 v50, v50, v23, s[4:5]
	v_cndmask_b32_e64 v50, v50, v25, s[6:7]
	v_cmp_eq_u32_e64 s[8:9], 4, v0
	v_cmp_eq_u32_e64 s[10:11], 5, v0
	;; [unrolled: 1-line block ×3, first 2 shown]
	v_cndmask_b32_e64 v50, v50, v27, s[8:9]
	v_cndmask_b32_e64 v29, v50, v29, s[10:11]
	v_cndmask_b32_e32 v50, v18, v20, vcc
	v_cndmask_b32_e64 v50, v50, v22, s[4:5]
	v_cndmask_b32_e64 v52, v50, v24, s[6:7]
	ds_read_b64 v[50:51], v53
	v_cndmask_b32_e64 v52, v52, v26, s[8:9]
	v_cndmask_b32_e64 v28, v52, v28, s[10:11]
	;; [unrolled: 1-line block ×3, first 2 shown]
	v_cmp_eq_u32_e64 s[14:15], 7, v0
	v_cndmask_b32_e64 v28, v28, v30, s[12:13]
	s_nop 0
	v_cndmask_b32_e64 v29, v29, v33, s[14:15]
	v_cndmask_b32_e64 v28, v28, v32, s[14:15]
	s_waitcnt lgkmcnt(0)
	v_mul_f64 v[28:29], v[28:29], v[50:51]
	s_cbranch_execz .LBB71_15
	s_branch .LBB71_16
.LBB71_14:
                                        ; implicit-def: $vgpr28_vgpr29
.LBB71_15:
	ds_read_b64 v[28:29], v53
.LBB71_16:
	v_mov_b32_e32 v50, 0
	ds_read2_b64 v[54:57], v50 offset0:5 offset1:14
	s_waitcnt lgkmcnt(0)
	v_fma_f64 v[50:51], v[30:31], v[56:57], v[28:29]
	v_cndmask_b32_e64 v29, v29, v51, s[0:1]
	v_cndmask_b32_e64 v28, v28, v50, s[0:1]
	v_mul_f64 v[28:29], v[28:29], v[54:55]
.LBB71_17:
	s_or_b64 exec, exec, s[16:17]
	v_cmp_lt_u32_e64 s[0:1], 4, v0
	ds_write_b64 v53, v[26:27]
	s_waitcnt lgkmcnt(0)
	; wave barrier
	s_and_saveexec_b64 s[16:17], s[0:1]
	s_cbranch_execz .LBB71_33
; %bb.18:
	s_andn2_b64 vcc, exec, s[18:19]
	s_cbranch_vccnz .LBB71_20
; %bb.19:
	v_cmp_eq_u32_e32 vcc, 1, v0
	v_cmp_eq_u32_e64 s[4:5], 2, v0
	v_cmp_eq_u32_e64 s[6:7], 3, v0
	v_cndmask_b32_e32 v50, v19, v21, vcc
	v_cndmask_b32_e64 v50, v50, v23, s[4:5]
	v_cndmask_b32_e64 v50, v50, v25, s[6:7]
	v_cmp_eq_u32_e64 s[8:9], 4, v0
	v_cmp_eq_u32_e64 s[10:11], 5, v0
	;; [unrolled: 1-line block ×3, first 2 shown]
	v_cndmask_b32_e64 v50, v50, v27, s[8:9]
	v_cndmask_b32_e64 v50, v50, v29, s[10:11]
	;; [unrolled: 1-line block ×3, first 2 shown]
	v_cmp_eq_u32_e64 s[14:15], 7, v0
	ds_read_b64 v[54:55], v53
	s_nop 0
	v_cndmask_b32_e64 v51, v50, v33, s[14:15]
	v_cndmask_b32_e32 v50, v18, v20, vcc
	v_cndmask_b32_e64 v50, v50, v22, s[4:5]
	v_cndmask_b32_e64 v50, v50, v24, s[6:7]
	;; [unrolled: 1-line block ×6, first 2 shown]
	s_waitcnt lgkmcnt(0)
	v_mul_f64 v[50:51], v[50:51], v[54:55]
	s_cbranch_execz .LBB71_21
	s_branch .LBB71_22
.LBB71_20:
                                        ; implicit-def: $vgpr50_vgpr51
.LBB71_21:
	ds_read_b64 v[50:51], v53
.LBB71_22:
	s_and_saveexec_b64 s[6:7], s[2:3]
	s_cbranch_execz .LBB71_32
; %bb.23:
	v_add_u32_e32 v52, -6, v0
	v_add_u32_e32 v55, -5, v0
	v_cmp_lt_u32_e32 vcc, 6, v52
	v_mov_b32_e32 v54, 5
	s_and_saveexec_b64 s[2:3], vcc
	s_cbranch_execz .LBB71_27
; %bb.24:
	v_and_b32_e32 v52, -8, v55
	v_sub_u32_e32 v52, 0, v52
	s_mov_b64 s[4:5], 12
	s_movk_i32 s10, 0x68
	s_mov_b64 s[8:9], 0
.LBB71_25:                              ; =>This Inner Loop Header: Depth=1
	s_lshl_b32 s11, s4, 1
	s_add_i32 s12, s11, -13
	v_mov_b32_e32 v70, s10
	s_add_i32 s13, s11, -14
	s_set_gpr_idx_on s12, gpr_idx(SRC0)
	v_mov_b32_e32 v65, v18
	s_set_gpr_idx_off
	s_add_i32 s14, s11, -11
	s_set_gpr_idx_on s13, gpr_idx(SRC0)
	v_mov_b32_e32 v64, v18
	s_set_gpr_idx_off
	ds_read2_b64 v[56:59], v70 offset1:1
	s_add_i32 s15, s11, -12
	s_set_gpr_idx_on s14, gpr_idx(SRC0)
	v_mov_b32_e32 v67, v18
	s_set_gpr_idx_off
	s_add_i32 s20, s11, -9
	s_set_gpr_idx_on s15, gpr_idx(SRC0)
	v_mov_b32_e32 v66, v18
	s_set_gpr_idx_off
	;; [unrolled: 4-line block ×4, first 2 shown]
	ds_read2_b64 v[60:63], v70 offset0:2 offset1:3
	s_add_i32 s23, s11, -8
	s_waitcnt lgkmcnt(1)
	v_fmac_f64_e32 v[50:51], v[64:65], v[56:57]
	s_set_gpr_idx_on s22, gpr_idx(SRC0)
	v_mov_b32_e32 v65, v18
	s_set_gpr_idx_off
	s_add_i32 s24, s11, -5
	v_fmac_f64_e32 v[50:51], v[66:67], v[58:59]
	s_set_gpr_idx_on s23, gpr_idx(SRC0)
	v_mov_b32_e32 v64, v18
	s_set_gpr_idx_off
	s_add_i32 s25, s11, -6
	s_set_gpr_idx_on s24, gpr_idx(SRC0)
	v_mov_b32_e32 v67, v18
	s_set_gpr_idx_off
	s_add_i32 s26, s11, -3
	;; [unrolled: 4-line block ×3, first 2 shown]
	ds_read2_b64 v[56:59], v70 offset0:4 offset1:5
	s_waitcnt lgkmcnt(1)
	v_fmac_f64_e32 v[50:51], v[68:69], v[60:61]
	s_set_gpr_idx_on s26, gpr_idx(SRC0)
	v_mov_b32_e32 v69, v18
	s_set_gpr_idx_off
	s_add_i32 s28, s11, -1
	v_fmac_f64_e32 v[50:51], v[64:65], v[62:63]
	s_set_gpr_idx_on s27, gpr_idx(SRC0)
	v_mov_b32_e32 v68, v18
	s_set_gpr_idx_off
	s_add_i32 s29, s11, -2
	s_set_gpr_idx_on s28, gpr_idx(SRC0)
	v_mov_b32_e32 v65, v18
	s_set_gpr_idx_off
	s_set_gpr_idx_on s29, gpr_idx(SRC0)
	v_mov_b32_e32 v64, v18
	s_set_gpr_idx_off
	ds_read2_b64 v[60:63], v70 offset0:6 offset1:7
	s_add_u32 s4, s4, 8
	s_waitcnt lgkmcnt(1)
	v_fmac_f64_e32 v[50:51], v[66:67], v[56:57]
	s_set_gpr_idx_on s11, gpr_idx(SRC0)
	v_mov_b32_e32 v57, v19
	s_set_gpr_idx_off
	v_add_u32_e32 v54, s4, v52
	v_fmac_f64_e32 v[50:51], v[68:69], v[58:59]
	s_set_gpr_idx_on s11, gpr_idx(SRC0)
	v_mov_b32_e32 v56, v18
	s_set_gpr_idx_off
	s_addc_u32 s5, s5, 0
	s_add_i32 s10, s10, 64
	s_add_i32 s12, s4, -7
	v_cmp_eq_u32_e32 vcc, 12, v54
	s_waitcnt lgkmcnt(0)
	v_fmac_f64_e32 v[50:51], v[64:65], v[60:61]
	v_mov_b32_e32 v54, s12
	s_or_b64 s[8:9], vcc, s[8:9]
	v_fmac_f64_e32 v[50:51], v[56:57], v[62:63]
	s_andn2_b64 exec, exec, s[8:9]
	s_cbranch_execnz .LBB71_25
; %bb.26:
	s_or_b64 exec, exec, s[8:9]
.LBB71_27:
	s_or_b64 exec, exec, s[2:3]
	v_and_b32_e32 v52, 7, v55
	v_cmp_ne_u32_e32 vcc, 0, v52
	s_and_saveexec_b64 s[8:9], vcc
	s_cbranch_execz .LBB71_31
; %bb.28:
	v_lshl_add_u32 v56, v54, 3, 64
	v_mov_b32_e32 v55, 0
	s_mov_b64 s[10:11], 0
.LBB71_29:                              ; =>This Inner Loop Header: Depth=1
	v_cmp_eq_u32_e32 vcc, 1, v54
	v_add_u32_e32 v52, -1, v52
	v_cmp_eq_u32_e64 s[2:3], 2, v54
	v_cndmask_b32_e32 v57, v19, v21, vcc
	v_cndmask_b32_e32 v60, v18, v20, vcc
	v_cndmask_b32_e64 v57, v57, v23, s[2:3]
	v_cmp_eq_u32_e32 vcc, 0, v52
	v_cmp_eq_u32_e64 s[4:5], 3, v54
	v_cndmask_b32_e64 v60, v60, v22, s[2:3]
	s_or_b64 s[10:11], vcc, s[10:11]
	v_cndmask_b32_e64 v57, v57, v25, s[4:5]
	v_cmp_eq_u32_e32 vcc, 4, v54
	ds_read_b64 v[58:59], v56
	v_cndmask_b32_e64 v60, v60, v24, s[4:5]
	v_cndmask_b32_e32 v57, v57, v27, vcc
	v_cmp_eq_u32_e64 s[2:3], 5, v54
	v_cndmask_b32_e32 v60, v60, v26, vcc
	v_cmp_eq_u32_e32 vcc, 6, v54
	v_cndmask_b32_e64 v57, v57, v29, s[2:3]
	v_cmp_eq_u32_e64 s[4:5], 7, v54
	v_cndmask_b32_e32 v57, v57, v31, vcc
	v_cndmask_b32_e64 v60, v60, v28, s[2:3]
	v_cndmask_b32_e64 v61, v57, v33, s[4:5]
	v_cndmask_b32_e32 v57, v60, v30, vcc
	v_cndmask_b32_e64 v60, v57, v32, s[4:5]
	v_add_u32_e32 v56, 8, v56
	v_lshl_add_u64 v[54:55], v[54:55], 0, 1
	s_waitcnt lgkmcnt(0)
	v_fmac_f64_e32 v[50:51], v[60:61], v[58:59]
	s_andn2_b64 exec, exec, s[10:11]
	s_cbranch_execnz .LBB71_29
; %bb.30:
	s_or_b64 exec, exec, s[10:11]
.LBB71_31:
	s_or_b64 exec, exec, s[8:9]
.LBB71_32:
	s_or_b64 exec, exec, s[6:7]
	v_mov_b32_e32 v26, 0
	ds_read_b64 v[26:27], v26 offset:32
	s_waitcnt lgkmcnt(0)
	v_mul_f64 v[26:27], v[50:51], v[26:27]
.LBB71_33:
	s_or_b64 exec, exec, s[16:17]
	v_cmp_lt_u32_e64 s[2:3], 3, v0
	ds_write_b64 v53, v[24:25]
	s_waitcnt lgkmcnt(0)
	; wave barrier
	s_and_saveexec_b64 s[16:17], s[2:3]
	s_cbranch_execz .LBB71_49
; %bb.34:
	s_andn2_b64 vcc, exec, s[18:19]
	s_cbranch_vccnz .LBB71_36
; %bb.35:
	v_cmp_eq_u32_e32 vcc, 1, v0
	v_cmp_eq_u32_e64 s[4:5], 2, v0
	v_cmp_eq_u32_e64 s[6:7], 3, v0
	v_cndmask_b32_e32 v50, v19, v21, vcc
	v_cndmask_b32_e64 v50, v50, v23, s[4:5]
	v_cndmask_b32_e64 v50, v50, v25, s[6:7]
	v_cmp_eq_u32_e64 s[8:9], 4, v0
	v_cmp_eq_u32_e64 s[10:11], 5, v0
	;; [unrolled: 1-line block ×3, first 2 shown]
	v_cndmask_b32_e64 v50, v50, v27, s[8:9]
	v_cndmask_b32_e64 v50, v50, v29, s[10:11]
	;; [unrolled: 1-line block ×3, first 2 shown]
	v_cmp_eq_u32_e64 s[14:15], 7, v0
	ds_read_b64 v[54:55], v53
	s_nop 0
	v_cndmask_b32_e64 v51, v50, v33, s[14:15]
	v_cndmask_b32_e32 v50, v18, v20, vcc
	v_cndmask_b32_e64 v50, v50, v22, s[4:5]
	v_cndmask_b32_e64 v50, v50, v24, s[6:7]
	;; [unrolled: 1-line block ×6, first 2 shown]
	s_waitcnt lgkmcnt(0)
	v_mul_f64 v[50:51], v[50:51], v[54:55]
	s_cbranch_execz .LBB71_37
	s_branch .LBB71_38
.LBB71_36:
                                        ; implicit-def: $vgpr50_vgpr51
.LBB71_37:
	ds_read_b64 v[50:51], v53
.LBB71_38:
	s_and_saveexec_b64 s[6:7], s[0:1]
	s_cbranch_execz .LBB71_48
; %bb.39:
	v_add_u32_e32 v52, -5, v0
	v_add_u32_e32 v55, -4, v0
	v_cmp_lt_u32_e32 vcc, 6, v52
	v_mov_b32_e32 v54, 4
	s_and_saveexec_b64 s[0:1], vcc
	s_cbranch_execz .LBB71_43
; %bb.40:
	v_and_b32_e32 v52, -8, v55
	v_sub_u32_e32 v52, 0, v52
	s_mov_b64 s[4:5], 5
	s_movk_i32 s10, 0x60
	s_mov_b64 s[8:9], 0
.LBB71_41:                              ; =>This Inner Loop Header: Depth=1
	s_lshl_b32 s11, s4, 1
	s_add_i32 s12, s11, -1
	s_add_i32 s13, s11, -2
	s_set_gpr_idx_on s12, gpr_idx(SRC0)
	v_mov_b32_e32 v73, v18
	s_set_gpr_idx_off
	v_mov_b32_e32 v54, s10
	s_set_gpr_idx_on s13, gpr_idx(SRC0)
	v_mov_b32_e32 v72, v18
	s_set_gpr_idx_off
	ds_read_b128 v[56:59], v54
	ds_read_b128 v[60:63], v54 offset:16
	ds_read_b128 v[64:67], v54 offset:32
	;; [unrolled: 1-line block ×3, first 2 shown]
	s_set_gpr_idx_on s11, gpr_idx(SRC0)
	v_mov_b32_e32 v75, v19
	s_add_i32 s14, s11, 3
	v_mov_b32_e32 v74, v18
	s_set_gpr_idx_off
	s_add_i32 s15, s11, 2
	s_set_gpr_idx_on s14, gpr_idx(SRC0)
	v_mov_b32_e32 v77, v18
	s_set_gpr_idx_off
	s_add_i32 s20, s11, 5
	s_set_gpr_idx_on s15, gpr_idx(SRC0)
	v_mov_b32_e32 v76, v18
	s_set_gpr_idx_off
	s_add_i32 s21, s11, 4
	s_waitcnt lgkmcnt(3)
	v_fmac_f64_e32 v[50:51], v[72:73], v[56:57]
	s_set_gpr_idx_on s20, gpr_idx(SRC0)
	v_mov_b32_e32 v57, v18
	s_set_gpr_idx_off
	s_add_i32 s22, s11, 7
	v_fmac_f64_e32 v[50:51], v[74:75], v[58:59]
	s_set_gpr_idx_on s21, gpr_idx(SRC0)
	v_mov_b32_e32 v56, v18
	s_set_gpr_idx_off
	s_add_i32 s23, s11, 6
	s_waitcnt lgkmcnt(2)
	v_fmac_f64_e32 v[50:51], v[76:77], v[60:61]
	s_set_gpr_idx_on s22, gpr_idx(SRC0)
	v_mov_b32_e32 v59, v18
	s_set_gpr_idx_off
	s_add_i32 s24, s11, 9
	v_fmac_f64_e32 v[50:51], v[56:57], v[62:63]
	s_set_gpr_idx_on s23, gpr_idx(SRC0)
	v_mov_b32_e32 v58, v18
	s_set_gpr_idx_off
	s_add_i32 s25, s11, 8
	s_waitcnt lgkmcnt(1)
	v_fmac_f64_e32 v[50:51], v[58:59], v[64:65]
	s_set_gpr_idx_on s24, gpr_idx(SRC0)
	v_mov_b32_e32 v57, v18
	s_set_gpr_idx_off
	s_add_i32 s26, s11, 11
	s_set_gpr_idx_on s25, gpr_idx(SRC0)
	v_mov_b32_e32 v56, v18
	s_set_gpr_idx_off
	s_add_i32 s27, s11, 10
	s_add_i32 s28, s11, 13
	s_add_i32 s29, s11, 12
	v_fmac_f64_e32 v[50:51], v[56:57], v[66:67]
	s_set_gpr_idx_on s26, gpr_idx(SRC0)
	v_mov_b32_e32 v57, v18
	s_set_gpr_idx_off
	s_add_u32 s4, s4, 8
	s_set_gpr_idx_on s27, gpr_idx(SRC0)
	v_mov_b32_e32 v56, v18
	s_set_gpr_idx_off
	v_add_u32_e32 v54, s4, v52
	s_waitcnt lgkmcnt(0)
	v_fmac_f64_e32 v[50:51], v[56:57], v[68:69]
	s_set_gpr_idx_on s28, gpr_idx(SRC0)
	v_mov_b32_e32 v57, v18
	s_set_gpr_idx_off
	s_addc_u32 s5, s5, 0
	s_add_i32 s10, s10, 64
	s_add_i32 s12, s4, -1
	v_cmp_eq_u32_e32 vcc, 5, v54
	s_set_gpr_idx_on s29, gpr_idx(SRC0)
	v_mov_b32_e32 v56, v18
	s_set_gpr_idx_off
	v_mov_b32_e32 v54, s12
	s_or_b64 s[8:9], vcc, s[8:9]
	v_fmac_f64_e32 v[50:51], v[56:57], v[70:71]
	s_andn2_b64 exec, exec, s[8:9]
	s_cbranch_execnz .LBB71_41
; %bb.42:
	s_or_b64 exec, exec, s[8:9]
.LBB71_43:
	s_or_b64 exec, exec, s[0:1]
	v_and_b32_e32 v52, 7, v55
	v_cmp_ne_u32_e32 vcc, 0, v52
	s_and_saveexec_b64 s[8:9], vcc
	s_cbranch_execz .LBB71_47
; %bb.44:
	v_lshl_add_u32 v56, v54, 3, 64
	v_mov_b32_e32 v55, 0
	s_mov_b64 s[10:11], 0
.LBB71_45:                              ; =>This Inner Loop Header: Depth=1
	v_cmp_eq_u32_e32 vcc, 1, v54
	v_add_u32_e32 v52, -1, v52
	v_cmp_eq_u32_e64 s[0:1], 2, v54
	v_cndmask_b32_e32 v57, v19, v21, vcc
	v_cndmask_b32_e32 v60, v18, v20, vcc
	v_cndmask_b32_e64 v57, v57, v23, s[0:1]
	v_cmp_eq_u32_e32 vcc, 0, v52
	v_cmp_eq_u32_e64 s[4:5], 3, v54
	v_cndmask_b32_e64 v60, v60, v22, s[0:1]
	s_or_b64 s[10:11], vcc, s[10:11]
	v_cndmask_b32_e64 v57, v57, v25, s[4:5]
	v_cmp_eq_u32_e32 vcc, 4, v54
	ds_read_b64 v[58:59], v56
	v_cndmask_b32_e64 v60, v60, v24, s[4:5]
	v_cndmask_b32_e32 v57, v57, v27, vcc
	v_cmp_eq_u32_e64 s[0:1], 5, v54
	v_cndmask_b32_e32 v60, v60, v26, vcc
	v_cmp_eq_u32_e32 vcc, 6, v54
	v_cndmask_b32_e64 v57, v57, v29, s[0:1]
	v_cmp_eq_u32_e64 s[4:5], 7, v54
	v_cndmask_b32_e32 v57, v57, v31, vcc
	v_cndmask_b32_e64 v60, v60, v28, s[0:1]
	v_cndmask_b32_e64 v61, v57, v33, s[4:5]
	v_cndmask_b32_e32 v57, v60, v30, vcc
	v_cndmask_b32_e64 v60, v57, v32, s[4:5]
	v_add_u32_e32 v56, 8, v56
	v_lshl_add_u64 v[54:55], v[54:55], 0, 1
	s_waitcnt lgkmcnt(0)
	v_fmac_f64_e32 v[50:51], v[60:61], v[58:59]
	s_andn2_b64 exec, exec, s[10:11]
	s_cbranch_execnz .LBB71_45
; %bb.46:
	s_or_b64 exec, exec, s[10:11]
.LBB71_47:
	s_or_b64 exec, exec, s[8:9]
.LBB71_48:
	s_or_b64 exec, exec, s[6:7]
	v_mov_b32_e32 v24, 0
	ds_read_b64 v[24:25], v24 offset:24
	s_waitcnt lgkmcnt(0)
	v_mul_f64 v[24:25], v[50:51], v[24:25]
.LBB71_49:
	s_or_b64 exec, exec, s[16:17]
	v_cmp_lt_u32_e64 s[0:1], 2, v0
	ds_write_b64 v53, v[22:23]
	s_waitcnt lgkmcnt(0)
	; wave barrier
	s_and_saveexec_b64 s[16:17], s[0:1]
	s_cbranch_execz .LBB71_65
; %bb.50:
	s_andn2_b64 vcc, exec, s[18:19]
	s_cbranch_vccnz .LBB71_52
; %bb.51:
	v_cmp_eq_u32_e32 vcc, 1, v0
	v_cmp_eq_u32_e64 s[4:5], 2, v0
	v_cmp_eq_u32_e64 s[6:7], 3, v0
	v_cndmask_b32_e32 v50, v19, v21, vcc
	v_cndmask_b32_e64 v50, v50, v23, s[4:5]
	v_cndmask_b32_e64 v50, v50, v25, s[6:7]
	v_cmp_eq_u32_e64 s[8:9], 4, v0
	v_cmp_eq_u32_e64 s[10:11], 5, v0
	;; [unrolled: 1-line block ×3, first 2 shown]
	v_cndmask_b32_e64 v50, v50, v27, s[8:9]
	v_cndmask_b32_e64 v50, v50, v29, s[10:11]
	;; [unrolled: 1-line block ×3, first 2 shown]
	v_cmp_eq_u32_e64 s[14:15], 7, v0
	ds_read_b64 v[54:55], v53
	s_nop 0
	v_cndmask_b32_e64 v51, v50, v33, s[14:15]
	v_cndmask_b32_e32 v50, v18, v20, vcc
	v_cndmask_b32_e64 v50, v50, v22, s[4:5]
	v_cndmask_b32_e64 v50, v50, v24, s[6:7]
	;; [unrolled: 1-line block ×6, first 2 shown]
	s_waitcnt lgkmcnt(0)
	v_mul_f64 v[50:51], v[50:51], v[54:55]
	s_cbranch_execz .LBB71_53
	s_branch .LBB71_54
.LBB71_52:
                                        ; implicit-def: $vgpr50_vgpr51
.LBB71_53:
	ds_read_b64 v[50:51], v53
.LBB71_54:
	s_and_saveexec_b64 s[6:7], s[2:3]
	s_cbranch_execz .LBB71_64
; %bb.55:
	v_add_u32_e32 v52, -4, v0
	v_add_u32_e32 v55, -3, v0
	v_cmp_lt_u32_e32 vcc, 6, v52
	v_mov_b32_e32 v54, 3
	s_and_saveexec_b64 s[2:3], vcc
	s_cbranch_execz .LBB71_59
; %bb.56:
	v_and_b32_e32 v52, -8, v55
	v_sub_u32_e32 v52, 0, v52
	s_mov_b64 s[4:5], 10
	s_movk_i32 s10, 0x58
	s_mov_b64 s[8:9], 0
.LBB71_57:                              ; =>This Inner Loop Header: Depth=1
	s_lshl_b32 s11, s4, 1
	s_add_i32 s12, s11, -13
	v_mov_b32_e32 v70, s10
	s_add_i32 s13, s11, -14
	s_set_gpr_idx_on s12, gpr_idx(SRC0)
	v_mov_b32_e32 v65, v18
	s_set_gpr_idx_off
	s_add_i32 s14, s11, -11
	s_set_gpr_idx_on s13, gpr_idx(SRC0)
	v_mov_b32_e32 v64, v18
	s_set_gpr_idx_off
	ds_read2_b64 v[56:59], v70 offset1:1
	s_add_i32 s15, s11, -12
	s_set_gpr_idx_on s14, gpr_idx(SRC0)
	v_mov_b32_e32 v67, v18
	s_set_gpr_idx_off
	s_add_i32 s20, s11, -9
	s_set_gpr_idx_on s15, gpr_idx(SRC0)
	v_mov_b32_e32 v66, v18
	s_set_gpr_idx_off
	;; [unrolled: 4-line block ×4, first 2 shown]
	ds_read2_b64 v[60:63], v70 offset0:2 offset1:3
	s_add_i32 s23, s11, -8
	s_waitcnt lgkmcnt(1)
	v_fmac_f64_e32 v[50:51], v[64:65], v[56:57]
	s_set_gpr_idx_on s22, gpr_idx(SRC0)
	v_mov_b32_e32 v65, v18
	s_set_gpr_idx_off
	s_add_i32 s24, s11, -5
	v_fmac_f64_e32 v[50:51], v[66:67], v[58:59]
	s_set_gpr_idx_on s23, gpr_idx(SRC0)
	v_mov_b32_e32 v64, v18
	s_set_gpr_idx_off
	s_add_i32 s25, s11, -6
	s_set_gpr_idx_on s24, gpr_idx(SRC0)
	v_mov_b32_e32 v67, v18
	s_set_gpr_idx_off
	s_add_i32 s26, s11, -3
	;; [unrolled: 4-line block ×3, first 2 shown]
	ds_read2_b64 v[56:59], v70 offset0:4 offset1:5
	s_waitcnt lgkmcnt(1)
	v_fmac_f64_e32 v[50:51], v[68:69], v[60:61]
	s_set_gpr_idx_on s26, gpr_idx(SRC0)
	v_mov_b32_e32 v69, v18
	s_set_gpr_idx_off
	s_add_i32 s28, s11, -1
	v_fmac_f64_e32 v[50:51], v[64:65], v[62:63]
	s_set_gpr_idx_on s27, gpr_idx(SRC0)
	v_mov_b32_e32 v68, v18
	s_set_gpr_idx_off
	s_add_i32 s29, s11, -2
	s_set_gpr_idx_on s28, gpr_idx(SRC0)
	v_mov_b32_e32 v65, v18
	s_set_gpr_idx_off
	s_set_gpr_idx_on s29, gpr_idx(SRC0)
	v_mov_b32_e32 v64, v18
	s_set_gpr_idx_off
	ds_read2_b64 v[60:63], v70 offset0:6 offset1:7
	s_add_u32 s4, s4, 8
	s_waitcnt lgkmcnt(1)
	v_fmac_f64_e32 v[50:51], v[66:67], v[56:57]
	s_set_gpr_idx_on s11, gpr_idx(SRC0)
	v_mov_b32_e32 v57, v19
	s_set_gpr_idx_off
	v_add_u32_e32 v54, s4, v52
	v_fmac_f64_e32 v[50:51], v[68:69], v[58:59]
	s_set_gpr_idx_on s11, gpr_idx(SRC0)
	v_mov_b32_e32 v56, v18
	s_set_gpr_idx_off
	s_addc_u32 s5, s5, 0
	s_add_i32 s10, s10, 64
	s_add_i32 s12, s4, -7
	v_cmp_eq_u32_e32 vcc, 10, v54
	s_waitcnt lgkmcnt(0)
	v_fmac_f64_e32 v[50:51], v[64:65], v[60:61]
	v_mov_b32_e32 v54, s12
	s_or_b64 s[8:9], vcc, s[8:9]
	v_fmac_f64_e32 v[50:51], v[56:57], v[62:63]
	s_andn2_b64 exec, exec, s[8:9]
	s_cbranch_execnz .LBB71_57
; %bb.58:
	s_or_b64 exec, exec, s[8:9]
.LBB71_59:
	s_or_b64 exec, exec, s[2:3]
	v_and_b32_e32 v52, 7, v55
	v_cmp_ne_u32_e32 vcc, 0, v52
	s_and_saveexec_b64 s[8:9], vcc
	s_cbranch_execz .LBB71_63
; %bb.60:
	v_lshl_add_u32 v56, v54, 3, 64
	v_mov_b32_e32 v55, 0
	s_mov_b64 s[10:11], 0
.LBB71_61:                              ; =>This Inner Loop Header: Depth=1
	v_cmp_eq_u32_e32 vcc, 1, v54
	v_add_u32_e32 v52, -1, v52
	v_cmp_eq_u32_e64 s[2:3], 2, v54
	v_cndmask_b32_e32 v57, v19, v21, vcc
	v_cndmask_b32_e32 v60, v18, v20, vcc
	v_cndmask_b32_e64 v57, v57, v23, s[2:3]
	v_cmp_eq_u32_e32 vcc, 0, v52
	v_cmp_eq_u32_e64 s[4:5], 3, v54
	v_cndmask_b32_e64 v60, v60, v22, s[2:3]
	s_or_b64 s[10:11], vcc, s[10:11]
	v_cndmask_b32_e64 v57, v57, v25, s[4:5]
	v_cmp_eq_u32_e32 vcc, 4, v54
	ds_read_b64 v[58:59], v56
	v_cndmask_b32_e64 v60, v60, v24, s[4:5]
	v_cndmask_b32_e32 v57, v57, v27, vcc
	v_cmp_eq_u32_e64 s[2:3], 5, v54
	v_cndmask_b32_e32 v60, v60, v26, vcc
	v_cmp_eq_u32_e32 vcc, 6, v54
	v_cndmask_b32_e64 v57, v57, v29, s[2:3]
	v_cmp_eq_u32_e64 s[4:5], 7, v54
	v_cndmask_b32_e32 v57, v57, v31, vcc
	v_cndmask_b32_e64 v60, v60, v28, s[2:3]
	v_cndmask_b32_e64 v61, v57, v33, s[4:5]
	v_cndmask_b32_e32 v57, v60, v30, vcc
	v_cndmask_b32_e64 v60, v57, v32, s[4:5]
	v_add_u32_e32 v56, 8, v56
	v_lshl_add_u64 v[54:55], v[54:55], 0, 1
	s_waitcnt lgkmcnt(0)
	v_fmac_f64_e32 v[50:51], v[60:61], v[58:59]
	s_andn2_b64 exec, exec, s[10:11]
	s_cbranch_execnz .LBB71_61
; %bb.62:
	s_or_b64 exec, exec, s[10:11]
.LBB71_63:
	s_or_b64 exec, exec, s[8:9]
.LBB71_64:
	s_or_b64 exec, exec, s[6:7]
	v_mov_b32_e32 v22, 0
	ds_read_b64 v[22:23], v22 offset:16
	s_waitcnt lgkmcnt(0)
	v_mul_f64 v[22:23], v[50:51], v[22:23]
.LBB71_65:
	s_or_b64 exec, exec, s[16:17]
	v_cmp_lt_u32_e64 s[2:3], 1, v0
	ds_write_b64 v53, v[20:21]
	s_waitcnt lgkmcnt(0)
	; wave barrier
	s_and_saveexec_b64 s[16:17], s[2:3]
	s_cbranch_execz .LBB71_81
; %bb.66:
	s_andn2_b64 vcc, exec, s[18:19]
	s_cbranch_vccnz .LBB71_68
; %bb.67:
	v_cmp_eq_u32_e32 vcc, 1, v0
	v_cmp_eq_u32_e64 s[4:5], 2, v0
	v_cmp_eq_u32_e64 s[6:7], 3, v0
	v_cndmask_b32_e32 v50, v19, v21, vcc
	v_cndmask_b32_e64 v50, v50, v23, s[4:5]
	v_cndmask_b32_e64 v50, v50, v25, s[6:7]
	v_cmp_eq_u32_e64 s[8:9], 4, v0
	v_cmp_eq_u32_e64 s[10:11], 5, v0
	;; [unrolled: 1-line block ×3, first 2 shown]
	v_cndmask_b32_e64 v50, v50, v27, s[8:9]
	v_cndmask_b32_e64 v50, v50, v29, s[10:11]
	;; [unrolled: 1-line block ×3, first 2 shown]
	v_cmp_eq_u32_e64 s[14:15], 7, v0
	ds_read_b64 v[54:55], v53
	s_nop 0
	v_cndmask_b32_e64 v51, v50, v33, s[14:15]
	v_cndmask_b32_e32 v50, v18, v20, vcc
	v_cndmask_b32_e64 v50, v50, v22, s[4:5]
	v_cndmask_b32_e64 v50, v50, v24, s[6:7]
	;; [unrolled: 1-line block ×6, first 2 shown]
	s_waitcnt lgkmcnt(0)
	v_mul_f64 v[50:51], v[50:51], v[54:55]
	s_cbranch_execz .LBB71_69
	s_branch .LBB71_70
.LBB71_68:
                                        ; implicit-def: $vgpr50_vgpr51
.LBB71_69:
	ds_read_b64 v[50:51], v53
.LBB71_70:
	s_and_saveexec_b64 s[6:7], s[0:1]
	s_cbranch_execz .LBB71_80
; %bb.71:
	v_add_u32_e32 v52, -3, v0
	v_add_u32_e32 v55, -2, v0
	v_cmp_lt_u32_e32 vcc, 6, v52
	v_mov_b32_e32 v54, 2
	s_and_saveexec_b64 s[0:1], vcc
	s_cbranch_execz .LBB71_75
; %bb.72:
	v_and_b32_e32 v52, -8, v55
	v_sub_u32_e32 v52, 0, v52
	s_mov_b64 s[4:5], 9
	s_movk_i32 s10, 0x50
	s_mov_b64 s[8:9], 0
.LBB71_73:                              ; =>This Inner Loop Header: Depth=1
	s_lshl_b32 s11, s4, 1
	s_add_i32 s12, s11, -13
	s_add_i32 s13, s11, -14
	s_set_gpr_idx_on s12, gpr_idx(SRC0)
	v_mov_b32_e32 v73, v18
	s_set_gpr_idx_off
	v_mov_b32_e32 v54, s10
	s_add_i32 s14, s11, -11
	s_set_gpr_idx_on s13, gpr_idx(SRC0)
	v_mov_b32_e32 v72, v18
	s_set_gpr_idx_off
	s_add_i32 s15, s11, -12
	ds_read_b128 v[56:59], v54
	ds_read_b128 v[60:63], v54 offset:16
	ds_read_b128 v[64:67], v54 offset:32
	;; [unrolled: 1-line block ×3, first 2 shown]
	s_set_gpr_idx_on s14, gpr_idx(SRC0)
	v_mov_b32_e32 v75, v18
	s_set_gpr_idx_off
	s_add_i32 s20, s11, -9
	s_set_gpr_idx_on s15, gpr_idx(SRC0)
	v_mov_b32_e32 v74, v18
	s_set_gpr_idx_off
	s_add_i32 s21, s11, -10
	;; [unrolled: 4-line block ×4, first 2 shown]
	s_waitcnt lgkmcnt(3)
	v_fmac_f64_e32 v[50:51], v[72:73], v[56:57]
	s_set_gpr_idx_on s22, gpr_idx(SRC0)
	v_mov_b32_e32 v57, v18
	s_set_gpr_idx_off
	s_add_i32 s24, s11, -5
	v_fmac_f64_e32 v[50:51], v[74:75], v[58:59]
	s_set_gpr_idx_on s23, gpr_idx(SRC0)
	v_mov_b32_e32 v56, v18
	s_set_gpr_idx_off
	s_add_i32 s25, s11, -6
	s_waitcnt lgkmcnt(2)
	v_fmac_f64_e32 v[50:51], v[76:77], v[60:61]
	s_set_gpr_idx_on s24, gpr_idx(SRC0)
	v_mov_b32_e32 v59, v18
	s_set_gpr_idx_off
	s_add_i32 s26, s11, -3
	v_fmac_f64_e32 v[50:51], v[56:57], v[62:63]
	s_set_gpr_idx_on s25, gpr_idx(SRC0)
	v_mov_b32_e32 v58, v18
	s_set_gpr_idx_off
	s_add_i32 s27, s11, -4
	s_waitcnt lgkmcnt(1)
	v_fmac_f64_e32 v[50:51], v[58:59], v[64:65]
	s_set_gpr_idx_on s26, gpr_idx(SRC0)
	v_mov_b32_e32 v57, v18
	s_set_gpr_idx_off
	s_add_i32 s28, s11, -1
	s_set_gpr_idx_on s27, gpr_idx(SRC0)
	v_mov_b32_e32 v56, v18
	s_set_gpr_idx_off
	s_add_i32 s29, s11, -2
	v_fmac_f64_e32 v[50:51], v[56:57], v[66:67]
	s_set_gpr_idx_on s28, gpr_idx(SRC0)
	v_mov_b32_e32 v57, v18
	s_set_gpr_idx_off
	s_add_u32 s4, s4, 8
	s_set_gpr_idx_on s29, gpr_idx(SRC0)
	v_mov_b32_e32 v56, v18
	s_set_gpr_idx_off
	v_add_u32_e32 v54, s4, v52
	s_waitcnt lgkmcnt(0)
	v_fmac_f64_e32 v[50:51], v[56:57], v[68:69]
	s_set_gpr_idx_on s11, gpr_idx(SRC0)
	v_mov_b32_e32 v57, v19
	s_set_gpr_idx_off
	s_addc_u32 s5, s5, 0
	s_add_i32 s10, s10, 64
	s_add_i32 s12, s4, -7
	v_cmp_eq_u32_e32 vcc, 9, v54
	s_set_gpr_idx_on s11, gpr_idx(SRC0)
	v_mov_b32_e32 v56, v18
	s_set_gpr_idx_off
	v_mov_b32_e32 v54, s12
	s_or_b64 s[8:9], vcc, s[8:9]
	v_fmac_f64_e32 v[50:51], v[56:57], v[70:71]
	s_andn2_b64 exec, exec, s[8:9]
	s_cbranch_execnz .LBB71_73
; %bb.74:
	s_or_b64 exec, exec, s[8:9]
.LBB71_75:
	s_or_b64 exec, exec, s[0:1]
	v_and_b32_e32 v52, 7, v55
	v_cmp_ne_u32_e32 vcc, 0, v52
	s_and_saveexec_b64 s[8:9], vcc
	s_cbranch_execz .LBB71_79
; %bb.76:
	v_lshl_add_u32 v56, v54, 3, 64
	v_mov_b32_e32 v55, 0
	s_mov_b64 s[10:11], 0
.LBB71_77:                              ; =>This Inner Loop Header: Depth=1
	v_cmp_eq_u32_e32 vcc, 1, v54
	v_add_u32_e32 v52, -1, v52
	v_cmp_eq_u32_e64 s[0:1], 2, v54
	v_cndmask_b32_e32 v57, v19, v21, vcc
	v_cndmask_b32_e32 v60, v18, v20, vcc
	v_cndmask_b32_e64 v57, v57, v23, s[0:1]
	v_cmp_eq_u32_e32 vcc, 0, v52
	v_cmp_eq_u32_e64 s[4:5], 3, v54
	v_cndmask_b32_e64 v60, v60, v22, s[0:1]
	s_or_b64 s[10:11], vcc, s[10:11]
	v_cndmask_b32_e64 v57, v57, v25, s[4:5]
	v_cmp_eq_u32_e32 vcc, 4, v54
	ds_read_b64 v[58:59], v56
	v_cndmask_b32_e64 v60, v60, v24, s[4:5]
	v_cndmask_b32_e32 v57, v57, v27, vcc
	v_cmp_eq_u32_e64 s[0:1], 5, v54
	v_cndmask_b32_e32 v60, v60, v26, vcc
	v_cmp_eq_u32_e32 vcc, 6, v54
	v_cndmask_b32_e64 v57, v57, v29, s[0:1]
	v_cmp_eq_u32_e64 s[4:5], 7, v54
	v_cndmask_b32_e32 v57, v57, v31, vcc
	v_cndmask_b32_e64 v60, v60, v28, s[0:1]
	v_cndmask_b32_e64 v61, v57, v33, s[4:5]
	v_cndmask_b32_e32 v57, v60, v30, vcc
	v_cndmask_b32_e64 v60, v57, v32, s[4:5]
	v_add_u32_e32 v56, 8, v56
	v_lshl_add_u64 v[54:55], v[54:55], 0, 1
	s_waitcnt lgkmcnt(0)
	v_fmac_f64_e32 v[50:51], v[60:61], v[58:59]
	s_andn2_b64 exec, exec, s[10:11]
	s_cbranch_execnz .LBB71_77
; %bb.78:
	s_or_b64 exec, exec, s[10:11]
.LBB71_79:
	s_or_b64 exec, exec, s[8:9]
.LBB71_80:
	s_or_b64 exec, exec, s[6:7]
	v_mov_b32_e32 v20, 0
	ds_read_b64 v[20:21], v20 offset:8
	s_waitcnt lgkmcnt(0)
	v_mul_f64 v[20:21], v[50:51], v[20:21]
.LBB71_81:
	s_or_b64 exec, exec, s[16:17]
	v_cmp_ne_u32_e32 vcc, 0, v0
	ds_write_b64 v53, v[18:19]
	s_waitcnt lgkmcnt(0)
	; wave barrier
	s_and_saveexec_b64 s[14:15], vcc
	s_cbranch_execz .LBB71_97
; %bb.82:
	s_andn2_b64 vcc, exec, s[18:19]
	s_cbranch_vccnz .LBB71_84
; %bb.83:
	v_cmp_eq_u32_e32 vcc, 1, v0
	v_cmp_eq_u32_e64 s[0:1], 2, v0
	v_cmp_eq_u32_e64 s[4:5], 3, v0
	v_cndmask_b32_e32 v50, v19, v21, vcc
	v_cndmask_b32_e64 v50, v50, v23, s[0:1]
	v_cndmask_b32_e64 v50, v50, v25, s[4:5]
	v_cmp_eq_u32_e64 s[6:7], 4, v0
	v_cmp_eq_u32_e64 s[8:9], 5, v0
	;; [unrolled: 1-line block ×3, first 2 shown]
	v_cndmask_b32_e64 v50, v50, v27, s[6:7]
	v_cndmask_b32_e64 v50, v50, v29, s[8:9]
	;; [unrolled: 1-line block ×3, first 2 shown]
	v_cmp_eq_u32_e64 s[12:13], 7, v0
	ds_read_b64 v[54:55], v53
	s_nop 0
	v_cndmask_b32_e64 v51, v50, v33, s[12:13]
	v_cndmask_b32_e32 v50, v18, v20, vcc
	v_cndmask_b32_e64 v50, v50, v22, s[0:1]
	v_cndmask_b32_e64 v50, v50, v24, s[4:5]
	v_cndmask_b32_e64 v50, v50, v26, s[6:7]
	v_cndmask_b32_e64 v50, v50, v28, s[8:9]
	v_cndmask_b32_e64 v50, v50, v30, s[10:11]
	v_cndmask_b32_e64 v50, v50, v32, s[12:13]
	s_waitcnt lgkmcnt(0)
	v_mul_f64 v[50:51], v[50:51], v[54:55]
	s_cbranch_execz .LBB71_85
	s_branch .LBB71_86
.LBB71_84:
                                        ; implicit-def: $vgpr50_vgpr51
.LBB71_85:
	ds_read_b64 v[50:51], v53
.LBB71_86:
	s_and_saveexec_b64 s[4:5], s[2:3]
	s_cbranch_execz .LBB71_96
; %bb.87:
	v_add_u32_e32 v52, -2, v0
	v_add_u32_e32 v55, -1, v0
	v_cmp_lt_u32_e32 vcc, 6, v52
	v_mov_b32_e32 v54, 1
	s_and_saveexec_b64 s[0:1], vcc
	s_cbranch_execz .LBB71_91
; %bb.88:
	v_and_b32_e32 v52, -8, v55
	v_sub_u32_e32 v52, 0, v52
	s_mov_b64 s[2:3], 8
	s_movk_i32 s8, 0x48
	s_mov_b64 s[6:7], 0
.LBB71_89:                              ; =>This Inner Loop Header: Depth=1
	s_lshl_b32 s9, s2, 1
	s_add_i32 s10, s9, -13
	v_mov_b32_e32 v70, s8
	s_add_i32 s11, s9, -14
	s_set_gpr_idx_on s10, gpr_idx(SRC0)
	v_mov_b32_e32 v65, v18
	s_set_gpr_idx_off
	s_add_i32 s12, s9, -11
	s_set_gpr_idx_on s11, gpr_idx(SRC0)
	v_mov_b32_e32 v64, v18
	s_set_gpr_idx_off
	ds_read2_b64 v[56:59], v70 offset1:1
	s_add_i32 s13, s9, -12
	s_set_gpr_idx_on s12, gpr_idx(SRC0)
	v_mov_b32_e32 v67, v18
	s_set_gpr_idx_off
	s_add_i32 s16, s9, -9
	s_set_gpr_idx_on s13, gpr_idx(SRC0)
	v_mov_b32_e32 v66, v18
	s_set_gpr_idx_off
	s_add_i32 s17, s9, -10
	s_set_gpr_idx_on s16, gpr_idx(SRC0)
	v_mov_b32_e32 v69, v18
	s_set_gpr_idx_off
	s_add_i32 s20, s9, -7
	s_set_gpr_idx_on s17, gpr_idx(SRC0)
	v_mov_b32_e32 v68, v18
	s_set_gpr_idx_off
	ds_read2_b64 v[60:63], v70 offset0:2 offset1:3
	s_add_i32 s21, s9, -8
	s_waitcnt lgkmcnt(1)
	v_fmac_f64_e32 v[50:51], v[64:65], v[56:57]
	s_set_gpr_idx_on s20, gpr_idx(SRC0)
	v_mov_b32_e32 v65, v18
	s_set_gpr_idx_off
	s_add_i32 s22, s9, -5
	v_fmac_f64_e32 v[50:51], v[66:67], v[58:59]
	s_set_gpr_idx_on s21, gpr_idx(SRC0)
	v_mov_b32_e32 v64, v18
	s_set_gpr_idx_off
	s_add_i32 s23, s9, -6
	s_set_gpr_idx_on s22, gpr_idx(SRC0)
	v_mov_b32_e32 v67, v18
	s_set_gpr_idx_off
	s_add_i32 s24, s9, -3
	;; [unrolled: 4-line block ×3, first 2 shown]
	ds_read2_b64 v[56:59], v70 offset0:4 offset1:5
	s_waitcnt lgkmcnt(1)
	v_fmac_f64_e32 v[50:51], v[68:69], v[60:61]
	s_set_gpr_idx_on s24, gpr_idx(SRC0)
	v_mov_b32_e32 v69, v18
	s_set_gpr_idx_off
	s_add_i32 s26, s9, -1
	v_fmac_f64_e32 v[50:51], v[64:65], v[62:63]
	s_set_gpr_idx_on s25, gpr_idx(SRC0)
	v_mov_b32_e32 v68, v18
	s_set_gpr_idx_off
	s_add_i32 s27, s9, -2
	s_set_gpr_idx_on s26, gpr_idx(SRC0)
	v_mov_b32_e32 v65, v18
	s_set_gpr_idx_off
	s_set_gpr_idx_on s27, gpr_idx(SRC0)
	v_mov_b32_e32 v64, v18
	s_set_gpr_idx_off
	ds_read2_b64 v[60:63], v70 offset0:6 offset1:7
	s_add_u32 s2, s2, 8
	s_waitcnt lgkmcnt(1)
	v_fmac_f64_e32 v[50:51], v[66:67], v[56:57]
	s_set_gpr_idx_on s9, gpr_idx(SRC0)
	v_mov_b32_e32 v57, v19
	s_set_gpr_idx_off
	v_add_u32_e32 v54, s2, v52
	v_fmac_f64_e32 v[50:51], v[68:69], v[58:59]
	s_set_gpr_idx_on s9, gpr_idx(SRC0)
	v_mov_b32_e32 v56, v18
	s_set_gpr_idx_off
	s_addc_u32 s3, s3, 0
	s_add_i32 s8, s8, 64
	s_add_i32 s10, s2, -7
	v_cmp_eq_u32_e32 vcc, 8, v54
	s_waitcnt lgkmcnt(0)
	v_fmac_f64_e32 v[50:51], v[64:65], v[60:61]
	v_mov_b32_e32 v54, s10
	s_or_b64 s[6:7], vcc, s[6:7]
	v_fmac_f64_e32 v[50:51], v[56:57], v[62:63]
	s_andn2_b64 exec, exec, s[6:7]
	s_cbranch_execnz .LBB71_89
; %bb.90:
	s_or_b64 exec, exec, s[6:7]
.LBB71_91:
	s_or_b64 exec, exec, s[0:1]
	v_and_b32_e32 v52, 7, v55
	v_cmp_ne_u32_e32 vcc, 0, v52
	s_and_saveexec_b64 s[6:7], vcc
	s_cbranch_execz .LBB71_95
; %bb.92:
	v_lshl_add_u32 v56, v54, 3, 64
	v_mov_b32_e32 v55, 0
	s_mov_b64 s[8:9], 0
.LBB71_93:                              ; =>This Inner Loop Header: Depth=1
	v_cmp_eq_u32_e32 vcc, 1, v54
	v_add_u32_e32 v52, -1, v52
	v_cmp_eq_u32_e64 s[0:1], 2, v54
	v_cndmask_b32_e32 v57, v19, v21, vcc
	v_cndmask_b32_e32 v60, v18, v20, vcc
	v_cndmask_b32_e64 v57, v57, v23, s[0:1]
	v_cmp_eq_u32_e32 vcc, 0, v52
	v_cmp_eq_u32_e64 s[2:3], 3, v54
	v_cndmask_b32_e64 v60, v60, v22, s[0:1]
	s_or_b64 s[8:9], vcc, s[8:9]
	v_cndmask_b32_e64 v57, v57, v25, s[2:3]
	v_cmp_eq_u32_e32 vcc, 4, v54
	ds_read_b64 v[58:59], v56
	v_cndmask_b32_e64 v60, v60, v24, s[2:3]
	v_cndmask_b32_e32 v57, v57, v27, vcc
	v_cmp_eq_u32_e64 s[0:1], 5, v54
	v_cndmask_b32_e32 v60, v60, v26, vcc
	v_cmp_eq_u32_e32 vcc, 6, v54
	v_cndmask_b32_e64 v57, v57, v29, s[0:1]
	v_cmp_eq_u32_e64 s[2:3], 7, v54
	v_cndmask_b32_e32 v57, v57, v31, vcc
	v_cndmask_b32_e64 v60, v60, v28, s[0:1]
	v_cndmask_b32_e64 v61, v57, v33, s[2:3]
	v_cndmask_b32_e32 v57, v60, v30, vcc
	v_cndmask_b32_e64 v60, v57, v32, s[2:3]
	v_add_u32_e32 v56, 8, v56
	v_lshl_add_u64 v[54:55], v[54:55], 0, 1
	s_waitcnt lgkmcnt(0)
	v_fmac_f64_e32 v[50:51], v[60:61], v[58:59]
	s_andn2_b64 exec, exec, s[8:9]
	s_cbranch_execnz .LBB71_93
; %bb.94:
	s_or_b64 exec, exec, s[8:9]
.LBB71_95:
	s_or_b64 exec, exec, s[6:7]
.LBB71_96:
	s_or_b64 exec, exec, s[4:5]
	v_mov_b32_e32 v18, 0
	ds_read_b64 v[18:19], v18
	s_waitcnt lgkmcnt(0)
	v_mul_f64 v[18:19], v[50:51], v[18:19]
.LBB71_97:
	s_or_b64 exec, exec, s[14:15]
	s_branch .LBB71_159
.LBB71_98:
	v_cmp_eq_u32_e64 s[2:3], 0, v0
	s_waitcnt vmcnt(0) lgkmcnt(0)
	ds_write_b64 v53, v[4:5]
	s_waitcnt lgkmcnt(0)
	; wave barrier
	s_and_saveexec_b64 s[14:15], s[2:3]
	s_cbranch_execz .LBB71_104
; %bb.99:
	s_and_b64 vcc, exec, s[18:19]
	s_cbranch_vccz .LBB71_101
; %bb.100:
	v_cmp_eq_u32_e32 vcc, 1, v0
	v_cmp_eq_u32_e64 s[0:1], 2, v0
	v_cmp_eq_u32_e64 s[4:5], 3, v0
	v_cndmask_b32_e32 v5, v3, v5, vcc
	v_cndmask_b32_e32 v4, v2, v4, vcc
	v_cndmask_b32_e64 v5, v5, v7, s[0:1]
	v_cndmask_b32_e64 v4, v4, v6, s[0:1]
	;; [unrolled: 1-line block ×3, first 2 shown]
	v_cmp_eq_u32_e64 s[6:7], 4, v0
	v_cndmask_b32_e64 v4, v4, v8, s[4:5]
	ds_read_b64 v[18:19], v53
	v_cndmask_b32_e64 v5, v5, v11, s[6:7]
	v_cmp_eq_u32_e64 s[8:9], 5, v0
	v_cndmask_b32_e64 v4, v4, v10, s[6:7]
	v_cmp_eq_u32_e64 s[10:11], 6, v0
	v_cndmask_b32_e64 v5, v5, v13, s[8:9]
	v_cndmask_b32_e64 v4, v4, v12, s[8:9]
	;; [unrolled: 1-line block ×3, first 2 shown]
	v_cmp_eq_u32_e64 s[12:13], 7, v0
	v_cndmask_b32_e64 v4, v4, v14, s[10:11]
	s_nop 0
	v_cndmask_b32_e64 v5, v5, v17, s[12:13]
	v_cndmask_b32_e64 v4, v4, v16, s[12:13]
	s_waitcnt lgkmcnt(0)
	v_mul_f64 v[4:5], v[4:5], v[18:19]
	s_cbranch_execz .LBB71_102
	s_branch .LBB71_103
.LBB71_101:
                                        ; implicit-def: $vgpr4_vgpr5
.LBB71_102:
	ds_read_b64 v[4:5], v53
.LBB71_103:
	v_mov_b32_e32 v18, 0
	ds_read_b64 v[18:19], v18 offset:8
	s_waitcnt lgkmcnt(0)
	v_mul_f64 v[4:5], v[4:5], v[18:19]
.LBB71_104:
	s_or_b64 exec, exec, s[14:15]
	v_cndmask_b32_e64 v18, 0, 1, s[18:19]
	v_cmp_gt_u32_e32 vcc, 2, v0
	v_cmp_ne_u32_e64 s[0:1], 1, v18
	ds_write_b64 v53, v[6:7]
	s_waitcnt lgkmcnt(0)
	; wave barrier
	s_and_saveexec_b64 s[16:17], vcc
	s_cbranch_execz .LBB71_110
; %bb.105:
	s_and_b64 vcc, exec, s[0:1]
	s_cbranch_vccnz .LBB71_107
; %bb.106:
	v_cmp_eq_u32_e32 vcc, 1, v0
	v_cmp_eq_u32_e64 s[4:5], 2, v0
	v_cmp_eq_u32_e64 s[6:7], 3, v0
	v_cndmask_b32_e32 v18, v3, v5, vcc
	v_cndmask_b32_e64 v7, v18, v7, s[4:5]
	v_cndmask_b32_e32 v18, v2, v4, vcc
	v_cndmask_b32_e64 v6, v18, v6, s[4:5]
	v_cndmask_b32_e64 v7, v7, v9, s[6:7]
	v_cmp_eq_u32_e64 s[8:9], 4, v0
	v_cndmask_b32_e64 v6, v6, v8, s[6:7]
	ds_read_b64 v[18:19], v53
	v_cndmask_b32_e64 v7, v7, v11, s[8:9]
	v_cmp_eq_u32_e64 s[10:11], 5, v0
	v_cndmask_b32_e64 v6, v6, v10, s[8:9]
	v_cmp_eq_u32_e64 s[12:13], 6, v0
	v_cndmask_b32_e64 v7, v7, v13, s[10:11]
	v_cndmask_b32_e64 v6, v6, v12, s[10:11]
	;; [unrolled: 1-line block ×3, first 2 shown]
	v_cmp_eq_u32_e64 s[14:15], 7, v0
	v_cndmask_b32_e64 v6, v6, v14, s[12:13]
	s_nop 0
	v_cndmask_b32_e64 v7, v7, v17, s[14:15]
	v_cndmask_b32_e64 v6, v6, v16, s[14:15]
	s_waitcnt lgkmcnt(0)
	v_mul_f64 v[6:7], v[6:7], v[18:19]
	s_cbranch_execz .LBB71_108
	s_branch .LBB71_109
.LBB71_107:
                                        ; implicit-def: $vgpr6_vgpr7
.LBB71_108:
	ds_read_b64 v[6:7], v53
.LBB71_109:
	v_mov_b32_e32 v18, 0
	ds_read2_b64 v[18:21], v18 offset0:2 offset1:9
	s_waitcnt lgkmcnt(0)
	v_fma_f64 v[20:21], v[4:5], v[20:21], v[6:7]
	v_cndmask_b32_e64 v7, v7, v21, s[2:3]
	v_cndmask_b32_e64 v6, v6, v20, s[2:3]
	v_mul_f64 v[6:7], v[6:7], v[18:19]
.LBB71_110:
	s_or_b64 exec, exec, s[16:17]
	v_cmp_gt_u32_e32 vcc, 3, v0
	ds_write_b64 v53, v[8:9]
	s_waitcnt lgkmcnt(0)
	; wave barrier
	s_and_saveexec_b64 s[16:17], vcc
	s_cbranch_execz .LBB71_118
; %bb.111:
	s_and_b64 vcc, exec, s[0:1]
	s_cbranch_vccnz .LBB71_113
; %bb.112:
	v_cmp_eq_u32_e32 vcc, 1, v0
	v_cmp_eq_u32_e64 s[4:5], 2, v0
	v_cmp_eq_u32_e64 s[6:7], 3, v0
	v_cndmask_b32_e32 v18, v3, v5, vcc
	v_cndmask_b32_e64 v18, v18, v7, s[4:5]
	v_cndmask_b32_e64 v18, v18, v9, s[6:7]
	v_cmp_eq_u32_e64 s[8:9], 4, v0
	v_cmp_eq_u32_e64 s[10:11], 5, v0
	;; [unrolled: 1-line block ×3, first 2 shown]
	v_cndmask_b32_e64 v18, v18, v11, s[8:9]
	v_cndmask_b32_e64 v18, v18, v13, s[10:11]
	v_cndmask_b32_e64 v18, v18, v15, s[12:13]
	v_cmp_eq_u32_e64 s[14:15], 7, v0
	ds_read_b64 v[20:21], v53
	s_nop 0
	v_cndmask_b32_e64 v19, v18, v17, s[14:15]
	v_cndmask_b32_e32 v18, v2, v4, vcc
	v_cndmask_b32_e64 v18, v18, v6, s[4:5]
	v_cndmask_b32_e64 v18, v18, v8, s[6:7]
	;; [unrolled: 1-line block ×6, first 2 shown]
	s_waitcnt lgkmcnt(0)
	v_mul_f64 v[18:19], v[18:19], v[20:21]
	s_cbranch_execz .LBB71_114
	s_branch .LBB71_115
.LBB71_113:
                                        ; implicit-def: $vgpr18_vgpr19
.LBB71_114:
	ds_read_b64 v[18:19], v53
.LBB71_115:
	v_cmp_ne_u32_e32 vcc, 2, v0
	s_and_saveexec_b64 s[18:19], vcc
	s_cbranch_execz .LBB71_117
; %bb.116:
	v_add_u32_e32 v20, 1, v0
	v_cmp_eq_u32_e32 vcc, 1, v20
	v_cmp_eq_u32_e64 s[4:5], 2, v20
	v_cmp_eq_u32_e64 s[6:7], 3, v20
	v_cndmask_b32_e32 v21, v3, v5, vcc
	v_cmp_eq_u32_e64 s[8:9], 4, v20
	v_cmp_eq_u32_e64 s[10:11], 5, v20
	;; [unrolled: 1-line block ×4, first 2 shown]
	v_cndmask_b32_e32 v20, v2, v4, vcc
	v_cndmask_b32_e64 v21, v21, v7, s[4:5]
	v_cndmask_b32_e64 v20, v20, v6, s[4:5]
	;; [unrolled: 1-line block ×4, first 2 shown]
	v_mov_b32_e32 v22, 0
	v_cndmask_b32_e64 v9, v9, v11, s[8:9]
	v_cndmask_b32_e64 v8, v8, v10, s[8:9]
	ds_read_b64 v[20:21], v53 offset:8
	ds_read_b64 v[22:23], v22 offset:80
	v_cndmask_b32_e64 v9, v9, v13, s[10:11]
	v_cndmask_b32_e64 v8, v8, v12, s[10:11]
	;; [unrolled: 1-line block ×6, first 2 shown]
	s_waitcnt lgkmcnt(1)
	v_fmac_f64_e32 v[18:19], v[8:9], v[20:21]
	s_waitcnt lgkmcnt(0)
	v_fma_f64 v[8:9], v[6:7], v[22:23], v[18:19]
	v_cndmask_b32_e64 v19, v19, v9, s[2:3]
	v_cndmask_b32_e64 v18, v18, v8, s[2:3]
.LBB71_117:
	s_or_b64 exec, exec, s[18:19]
	v_mov_b32_e32 v8, 0
	ds_read_b64 v[8:9], v8 offset:24
	s_waitcnt lgkmcnt(0)
	v_mul_f64 v[8:9], v[18:19], v[8:9]
.LBB71_118:
	s_or_b64 exec, exec, s[16:17]
	v_cmp_gt_u32_e32 vcc, 4, v0
	ds_write_b64 v53, v[10:11]
	s_waitcnt lgkmcnt(0)
	; wave barrier
	s_and_saveexec_b64 s[14:15], vcc
	s_cbranch_execz .LBB71_128
; %bb.119:
	s_and_b64 vcc, exec, s[0:1]
	s_cbranch_vccnz .LBB71_121
; %bb.120:
	v_cmp_eq_u32_e32 vcc, 1, v0
	v_cmp_eq_u32_e64 s[2:3], 2, v0
	v_cmp_eq_u32_e64 s[4:5], 3, v0
	v_cndmask_b32_e32 v18, v3, v5, vcc
	v_cndmask_b32_e64 v18, v18, v7, s[2:3]
	v_cndmask_b32_e64 v18, v18, v9, s[4:5]
	v_cmp_eq_u32_e64 s[6:7], 4, v0
	v_cmp_eq_u32_e64 s[8:9], 5, v0
	;; [unrolled: 1-line block ×3, first 2 shown]
	v_cndmask_b32_e64 v18, v18, v11, s[6:7]
	v_cndmask_b32_e64 v18, v18, v13, s[8:9]
	;; [unrolled: 1-line block ×3, first 2 shown]
	v_cmp_eq_u32_e64 s[12:13], 7, v0
	ds_read_b64 v[20:21], v53
	s_nop 0
	v_cndmask_b32_e64 v19, v18, v17, s[12:13]
	v_cndmask_b32_e32 v18, v2, v4, vcc
	v_cndmask_b32_e64 v18, v18, v6, s[2:3]
	v_cndmask_b32_e64 v18, v18, v8, s[4:5]
	;; [unrolled: 1-line block ×6, first 2 shown]
	s_waitcnt lgkmcnt(0)
	v_mul_f64 v[18:19], v[18:19], v[20:21]
	s_cbranch_execz .LBB71_122
	s_branch .LBB71_123
.LBB71_121:
                                        ; implicit-def: $vgpr18_vgpr19
.LBB71_122:
	ds_read_b64 v[18:19], v53
.LBB71_123:
	v_cmp_ne_u32_e32 vcc, 3, v0
	s_and_saveexec_b64 s[6:7], vcc
	s_cbranch_execz .LBB71_127
; %bb.124:
	v_mov_b32_e32 v20, 0x48
	v_lshl_add_u32 v22, v0, 3, v20
	s_mov_b64 s[8:9], 0
	v_mov_b64_e32 v[20:21], v[0:1]
.LBB71_125:                             ; =>This Inner Loop Header: Depth=1
	v_lshl_add_u64 v[20:21], v[20:21], 0, 1
	v_cmp_eq_u32_e32 vcc, 1, v20
	v_cmp_eq_u32_e64 s[4:5], 2, v20
	v_cmp_lt_u32_e64 s[2:3], 2, v20
	v_cndmask_b32_e32 v23, v3, v5, vcc
	v_cndmask_b32_e64 v23, v23, v7, s[4:5]
	v_cndmask_b32_e32 v26, v2, v4, vcc
	v_cmp_eq_u32_e32 vcc, 3, v20
	s_or_b64 s[8:9], s[2:3], s[8:9]
	v_cndmask_b32_e64 v26, v26, v6, s[4:5]
	v_cndmask_b32_e32 v23, v23, v9, vcc
	v_cmp_eq_u32_e64 s[2:3], 4, v20
	ds_read_b64 v[24:25], v22
	v_cndmask_b32_e32 v26, v26, v8, vcc
	v_cndmask_b32_e64 v23, v23, v11, s[2:3]
	v_cmp_eq_u32_e32 vcc, 5, v20
	v_cndmask_b32_e64 v26, v26, v10, s[2:3]
	v_cmp_eq_u32_e64 s[2:3], 6, v20
	v_cndmask_b32_e32 v23, v23, v13, vcc
	v_cndmask_b32_e32 v26, v26, v12, vcc
	v_cndmask_b32_e64 v23, v23, v15, s[2:3]
	v_cmp_eq_u32_e32 vcc, 7, v20
	v_add_u32_e32 v22, 8, v22
	s_nop 0
	v_cndmask_b32_e32 v27, v23, v17, vcc
	v_cndmask_b32_e64 v23, v26, v14, s[2:3]
	v_cndmask_b32_e32 v26, v23, v16, vcc
	s_waitcnt lgkmcnt(0)
	v_fmac_f64_e32 v[18:19], v[26:27], v[24:25]
	s_andn2_b64 exec, exec, s[8:9]
	s_cbranch_execnz .LBB71_125
; %bb.126:
	s_or_b64 exec, exec, s[8:9]
.LBB71_127:
	s_or_b64 exec, exec, s[6:7]
	v_mov_b32_e32 v10, 0
	ds_read_b64 v[10:11], v10 offset:32
	s_waitcnt lgkmcnt(0)
	v_mul_f64 v[10:11], v[18:19], v[10:11]
.LBB71_128:
	s_or_b64 exec, exec, s[14:15]
	v_cmp_gt_u32_e32 vcc, 5, v0
	ds_write_b64 v53, v[12:13]
	s_waitcnt lgkmcnt(0)
	; wave barrier
	s_and_saveexec_b64 s[14:15], vcc
	s_cbranch_execz .LBB71_138
; %bb.129:
	s_and_b64 vcc, exec, s[0:1]
	s_cbranch_vccnz .LBB71_131
; %bb.130:
	v_cmp_eq_u32_e32 vcc, 1, v0
	v_cmp_eq_u32_e64 s[2:3], 2, v0
	v_cmp_eq_u32_e64 s[4:5], 3, v0
	v_cndmask_b32_e32 v18, v3, v5, vcc
	v_cndmask_b32_e64 v18, v18, v7, s[2:3]
	v_cndmask_b32_e64 v18, v18, v9, s[4:5]
	v_cmp_eq_u32_e64 s[6:7], 4, v0
	v_cmp_eq_u32_e64 s[8:9], 5, v0
	;; [unrolled: 1-line block ×3, first 2 shown]
	v_cndmask_b32_e64 v18, v18, v11, s[6:7]
	v_cndmask_b32_e64 v18, v18, v13, s[8:9]
	;; [unrolled: 1-line block ×3, first 2 shown]
	v_cmp_eq_u32_e64 s[12:13], 7, v0
	ds_read_b64 v[20:21], v53
	s_nop 0
	v_cndmask_b32_e64 v19, v18, v17, s[12:13]
	v_cndmask_b32_e32 v18, v2, v4, vcc
	v_cndmask_b32_e64 v18, v18, v6, s[2:3]
	v_cndmask_b32_e64 v18, v18, v8, s[4:5]
	;; [unrolled: 1-line block ×6, first 2 shown]
	s_waitcnt lgkmcnt(0)
	v_mul_f64 v[18:19], v[18:19], v[20:21]
	s_cbranch_execz .LBB71_132
	s_branch .LBB71_133
.LBB71_131:
                                        ; implicit-def: $vgpr18_vgpr19
.LBB71_132:
	ds_read_b64 v[18:19], v53
.LBB71_133:
	v_cmp_ne_u32_e32 vcc, 4, v0
	s_and_saveexec_b64 s[6:7], vcc
	s_cbranch_execz .LBB71_137
; %bb.134:
	v_mov_b32_e32 v20, 0x48
	v_lshl_add_u32 v22, v0, 3, v20
	s_mov_b64 s[8:9], 0
	v_mov_b64_e32 v[20:21], v[0:1]
.LBB71_135:                             ; =>This Inner Loop Header: Depth=1
	v_lshl_add_u64 v[20:21], v[20:21], 0, 1
	v_cmp_eq_u32_e32 vcc, 1, v20
	v_cmp_eq_u32_e64 s[4:5], 2, v20
	v_cmp_lt_u32_e64 s[2:3], 3, v20
	v_cndmask_b32_e32 v23, v3, v5, vcc
	v_cndmask_b32_e64 v23, v23, v7, s[4:5]
	v_cndmask_b32_e32 v26, v2, v4, vcc
	v_cmp_eq_u32_e32 vcc, 3, v20
	s_or_b64 s[8:9], s[2:3], s[8:9]
	v_cndmask_b32_e64 v26, v26, v6, s[4:5]
	v_cndmask_b32_e32 v23, v23, v9, vcc
	v_cmp_eq_u32_e64 s[2:3], 4, v20
	ds_read_b64 v[24:25], v22
	v_cndmask_b32_e32 v26, v26, v8, vcc
	v_cndmask_b32_e64 v23, v23, v11, s[2:3]
	v_cmp_eq_u32_e32 vcc, 5, v20
	v_cndmask_b32_e64 v26, v26, v10, s[2:3]
	v_cmp_eq_u32_e64 s[2:3], 6, v20
	v_cndmask_b32_e32 v23, v23, v13, vcc
	v_cndmask_b32_e32 v26, v26, v12, vcc
	v_cndmask_b32_e64 v23, v23, v15, s[2:3]
	v_cmp_eq_u32_e32 vcc, 7, v20
	v_add_u32_e32 v22, 8, v22
	s_nop 0
	v_cndmask_b32_e32 v27, v23, v17, vcc
	v_cndmask_b32_e64 v23, v26, v14, s[2:3]
	v_cndmask_b32_e32 v26, v23, v16, vcc
	s_waitcnt lgkmcnt(0)
	v_fmac_f64_e32 v[18:19], v[26:27], v[24:25]
	s_andn2_b64 exec, exec, s[8:9]
	s_cbranch_execnz .LBB71_135
; %bb.136:
	s_or_b64 exec, exec, s[8:9]
.LBB71_137:
	s_or_b64 exec, exec, s[6:7]
	v_mov_b32_e32 v12, 0
	ds_read_b64 v[12:13], v12 offset:40
	s_waitcnt lgkmcnt(0)
	v_mul_f64 v[12:13], v[18:19], v[12:13]
.LBB71_138:
	s_or_b64 exec, exec, s[14:15]
	v_cmp_gt_u32_e64 s[2:3], 6, v0
	ds_write_b64 v53, v[14:15]
	s_waitcnt lgkmcnt(0)
	; wave barrier
	s_and_saveexec_b64 s[16:17], s[2:3]
	s_cbranch_execz .LBB71_148
; %bb.139:
	s_and_b64 vcc, exec, s[0:1]
	s_cbranch_vccnz .LBB71_141
; %bb.140:
	v_cmp_eq_u32_e32 vcc, 1, v0
	v_cmp_eq_u32_e64 s[4:5], 2, v0
	v_cmp_eq_u32_e64 s[6:7], 3, v0
	v_cndmask_b32_e32 v18, v3, v5, vcc
	v_cndmask_b32_e64 v18, v18, v7, s[4:5]
	v_cndmask_b32_e64 v18, v18, v9, s[6:7]
	v_cmp_eq_u32_e64 s[8:9], 4, v0
	v_cmp_eq_u32_e64 s[10:11], 5, v0
	;; [unrolled: 1-line block ×3, first 2 shown]
	v_cndmask_b32_e64 v18, v18, v11, s[8:9]
	v_cndmask_b32_e64 v18, v18, v13, s[10:11]
	;; [unrolled: 1-line block ×3, first 2 shown]
	v_cmp_eq_u32_e64 s[14:15], 7, v0
	ds_read_b64 v[20:21], v53
	s_nop 0
	v_cndmask_b32_e64 v19, v18, v17, s[14:15]
	v_cndmask_b32_e32 v18, v2, v4, vcc
	v_cndmask_b32_e64 v18, v18, v6, s[4:5]
	v_cndmask_b32_e64 v18, v18, v8, s[6:7]
	;; [unrolled: 1-line block ×6, first 2 shown]
	s_waitcnt lgkmcnt(0)
	v_mul_f64 v[18:19], v[18:19], v[20:21]
	s_cbranch_execz .LBB71_142
	s_branch .LBB71_143
.LBB71_141:
                                        ; implicit-def: $vgpr18_vgpr19
.LBB71_142:
	ds_read_b64 v[18:19], v53
.LBB71_143:
	v_cmp_ne_u32_e32 vcc, 5, v0
	s_and_saveexec_b64 s[8:9], vcc
	s_cbranch_execz .LBB71_147
; %bb.144:
	v_mov_b32_e32 v20, 0x48
	v_lshl_add_u32 v22, v0, 3, v20
	s_mov_b64 s[10:11], 0
	v_mov_b64_e32 v[20:21], v[0:1]
.LBB71_145:                             ; =>This Inner Loop Header: Depth=1
	v_lshl_add_u64 v[20:21], v[20:21], 0, 1
	v_cmp_eq_u32_e32 vcc, 1, v20
	v_cmp_eq_u32_e64 s[6:7], 2, v20
	v_cmp_lt_u32_e64 s[4:5], 4, v20
	v_cndmask_b32_e32 v23, v3, v5, vcc
	v_cndmask_b32_e64 v23, v23, v7, s[6:7]
	v_cndmask_b32_e32 v26, v2, v4, vcc
	v_cmp_eq_u32_e32 vcc, 3, v20
	s_or_b64 s[10:11], s[4:5], s[10:11]
	v_cndmask_b32_e64 v26, v26, v6, s[6:7]
	v_cndmask_b32_e32 v23, v23, v9, vcc
	v_cmp_eq_u32_e64 s[4:5], 4, v20
	ds_read_b64 v[24:25], v22
	v_cndmask_b32_e32 v26, v26, v8, vcc
	v_cndmask_b32_e64 v23, v23, v11, s[4:5]
	v_cmp_eq_u32_e32 vcc, 5, v20
	v_cndmask_b32_e64 v26, v26, v10, s[4:5]
	v_cmp_eq_u32_e64 s[4:5], 6, v20
	v_cndmask_b32_e32 v23, v23, v13, vcc
	v_cndmask_b32_e32 v26, v26, v12, vcc
	v_cndmask_b32_e64 v23, v23, v15, s[4:5]
	v_cmp_eq_u32_e32 vcc, 7, v20
	v_add_u32_e32 v22, 8, v22
	s_nop 0
	v_cndmask_b32_e32 v27, v23, v17, vcc
	v_cndmask_b32_e64 v23, v26, v14, s[4:5]
	v_cndmask_b32_e32 v26, v23, v16, vcc
	s_waitcnt lgkmcnt(0)
	v_fmac_f64_e32 v[18:19], v[26:27], v[24:25]
	s_andn2_b64 exec, exec, s[10:11]
	s_cbranch_execnz .LBB71_145
; %bb.146:
	s_or_b64 exec, exec, s[10:11]
.LBB71_147:
	s_or_b64 exec, exec, s[8:9]
	v_mov_b32_e32 v14, 0
	ds_read_b64 v[14:15], v14 offset:48
	s_waitcnt lgkmcnt(0)
	v_mul_f64 v[14:15], v[18:19], v[14:15]
.LBB71_148:
	s_or_b64 exec, exec, s[16:17]
	v_cmp_ne_u32_e32 vcc, 7, v0
	ds_write_b64 v53, v[16:17]
	s_waitcnt lgkmcnt(0)
	; wave barrier
	s_and_saveexec_b64 s[14:15], vcc
	s_cbranch_execz .LBB71_158
; %bb.149:
	s_and_b64 vcc, exec, s[0:1]
	s_cbranch_vccnz .LBB71_151
; %bb.150:
	v_cmp_eq_u32_e32 vcc, 1, v0
	v_cmp_eq_u32_e64 s[0:1], 2, v0
	v_cmp_eq_u32_e64 s[4:5], 3, v0
	v_cndmask_b32_e32 v18, v3, v5, vcc
	v_cndmask_b32_e64 v18, v18, v7, s[0:1]
	v_cndmask_b32_e64 v18, v18, v9, s[4:5]
	v_cmp_eq_u32_e64 s[6:7], 4, v0
	v_cmp_eq_u32_e64 s[8:9], 5, v0
	;; [unrolled: 1-line block ×3, first 2 shown]
	v_cndmask_b32_e64 v18, v18, v11, s[6:7]
	v_cndmask_b32_e64 v18, v18, v13, s[8:9]
	;; [unrolled: 1-line block ×3, first 2 shown]
	v_cmp_eq_u32_e64 s[12:13], 7, v0
	ds_read_b64 v[20:21], v53
	s_nop 0
	v_cndmask_b32_e64 v19, v18, v17, s[12:13]
	v_cndmask_b32_e32 v18, v2, v4, vcc
	v_cndmask_b32_e64 v18, v18, v6, s[0:1]
	v_cndmask_b32_e64 v18, v18, v8, s[4:5]
	;; [unrolled: 1-line block ×6, first 2 shown]
	s_waitcnt lgkmcnt(0)
	v_mul_f64 v[18:19], v[18:19], v[20:21]
	s_cbranch_execz .LBB71_152
	s_branch .LBB71_153
.LBB71_151:
                                        ; implicit-def: $vgpr18_vgpr19
.LBB71_152:
	ds_read_b64 v[18:19], v53
.LBB71_153:
	s_and_saveexec_b64 s[4:5], s[2:3]
	s_cbranch_execz .LBB71_157
; %bb.154:
	v_mov_b32_e32 v20, 0x48
	v_lshl_add_u32 v20, v0, 3, v20
	s_mov_b64 s[6:7], 0
.LBB71_155:                             ; =>This Inner Loop Header: Depth=1
	v_lshl_add_u64 v[0:1], v[0:1], 0, 1
	v_cmp_eq_u32_e32 vcc, 1, v0
	v_cmp_eq_u32_e64 s[2:3], 2, v0
	v_cmp_lt_u32_e64 s[0:1], 5, v0
	v_cndmask_b32_e32 v21, v3, v5, vcc
	v_cndmask_b32_e64 v21, v21, v7, s[2:3]
	v_cndmask_b32_e32 v24, v2, v4, vcc
	v_cmp_eq_u32_e32 vcc, 3, v0
	s_or_b64 s[6:7], s[0:1], s[6:7]
	v_cndmask_b32_e64 v24, v24, v6, s[2:3]
	v_cndmask_b32_e32 v21, v21, v9, vcc
	v_cmp_eq_u32_e64 s[0:1], 4, v0
	ds_read_b64 v[22:23], v20
	v_cndmask_b32_e32 v24, v24, v8, vcc
	v_cndmask_b32_e64 v21, v21, v11, s[0:1]
	v_cmp_eq_u32_e32 vcc, 5, v0
	v_cndmask_b32_e64 v24, v24, v10, s[0:1]
	v_cmp_eq_u32_e64 s[0:1], 6, v0
	v_cndmask_b32_e32 v21, v21, v13, vcc
	v_cndmask_b32_e32 v24, v24, v12, vcc
	v_cndmask_b32_e64 v21, v21, v15, s[0:1]
	v_cmp_eq_u32_e32 vcc, 7, v0
	v_add_u32_e32 v20, 8, v20
	s_nop 0
	v_cndmask_b32_e32 v25, v21, v17, vcc
	v_cndmask_b32_e64 v21, v24, v14, s[0:1]
	v_cndmask_b32_e32 v24, v21, v16, vcc
	s_waitcnt lgkmcnt(0)
	v_fmac_f64_e32 v[18:19], v[24:25], v[22:23]
	s_andn2_b64 exec, exec, s[6:7]
	s_cbranch_execnz .LBB71_155
; %bb.156:
	s_or_b64 exec, exec, s[6:7]
.LBB71_157:
	s_or_b64 exec, exec, s[4:5]
	v_mov_b32_e32 v0, 0
	ds_read_b64 v[0:1], v0 offset:56
	s_waitcnt lgkmcnt(0)
	v_mul_f64 v[16:17], v[18:19], v[0:1]
.LBB71_158:
	s_or_b64 exec, exec, s[14:15]
	v_mov_b64_e32 v[32:33], v[16:17]
	v_mov_b64_e32 v[30:31], v[14:15]
	;; [unrolled: 1-line block ×8, first 2 shown]
.LBB71_159:
	flat_store_dwordx2 v[34:35], v[18:19]
	flat_store_dwordx2 v[36:37], v[20:21]
	;; [unrolled: 1-line block ×8, first 2 shown]
.LBB71_160:
	s_endpgm
	.section	.rodata,"a",@progbits
	.p2align	6, 0x0
	.amdhsa_kernel _ZN9rocsolver6v33100L18trti2_kernel_smallILi8EdPKPdEEv13rocblas_fill_17rocblas_diagonal_T1_iil
		.amdhsa_group_segment_fixed_size 128
		.amdhsa_private_segment_fixed_size 0
		.amdhsa_kernarg_size 32
		.amdhsa_user_sgpr_count 2
		.amdhsa_user_sgpr_dispatch_ptr 0
		.amdhsa_user_sgpr_queue_ptr 0
		.amdhsa_user_sgpr_kernarg_segment_ptr 1
		.amdhsa_user_sgpr_dispatch_id 0
		.amdhsa_user_sgpr_kernarg_preload_length 0
		.amdhsa_user_sgpr_kernarg_preload_offset 0
		.amdhsa_user_sgpr_private_segment_size 0
		.amdhsa_uses_dynamic_stack 0
		.amdhsa_enable_private_segment 0
		.amdhsa_system_sgpr_workgroup_id_x 1
		.amdhsa_system_sgpr_workgroup_id_y 0
		.amdhsa_system_sgpr_workgroup_id_z 0
		.amdhsa_system_sgpr_workgroup_info 0
		.amdhsa_system_vgpr_workitem_id 0
		.amdhsa_next_free_vgpr 78
		.amdhsa_next_free_sgpr 30
		.amdhsa_accum_offset 80
		.amdhsa_reserve_vcc 1
		.amdhsa_float_round_mode_32 0
		.amdhsa_float_round_mode_16_64 0
		.amdhsa_float_denorm_mode_32 3
		.amdhsa_float_denorm_mode_16_64 3
		.amdhsa_dx10_clamp 1
		.amdhsa_ieee_mode 1
		.amdhsa_fp16_overflow 0
		.amdhsa_tg_split 0
		.amdhsa_exception_fp_ieee_invalid_op 0
		.amdhsa_exception_fp_denorm_src 0
		.amdhsa_exception_fp_ieee_div_zero 0
		.amdhsa_exception_fp_ieee_overflow 0
		.amdhsa_exception_fp_ieee_underflow 0
		.amdhsa_exception_fp_ieee_inexact 0
		.amdhsa_exception_int_div_zero 0
	.end_amdhsa_kernel
	.section	.text._ZN9rocsolver6v33100L18trti2_kernel_smallILi8EdPKPdEEv13rocblas_fill_17rocblas_diagonal_T1_iil,"axG",@progbits,_ZN9rocsolver6v33100L18trti2_kernel_smallILi8EdPKPdEEv13rocblas_fill_17rocblas_diagonal_T1_iil,comdat
.Lfunc_end71:
	.size	_ZN9rocsolver6v33100L18trti2_kernel_smallILi8EdPKPdEEv13rocblas_fill_17rocblas_diagonal_T1_iil, .Lfunc_end71-_ZN9rocsolver6v33100L18trti2_kernel_smallILi8EdPKPdEEv13rocblas_fill_17rocblas_diagonal_T1_iil
                                        ; -- End function
	.set _ZN9rocsolver6v33100L18trti2_kernel_smallILi8EdPKPdEEv13rocblas_fill_17rocblas_diagonal_T1_iil.num_vgpr, 78
	.set _ZN9rocsolver6v33100L18trti2_kernel_smallILi8EdPKPdEEv13rocblas_fill_17rocblas_diagonal_T1_iil.num_agpr, 0
	.set _ZN9rocsolver6v33100L18trti2_kernel_smallILi8EdPKPdEEv13rocblas_fill_17rocblas_diagonal_T1_iil.numbered_sgpr, 30
	.set _ZN9rocsolver6v33100L18trti2_kernel_smallILi8EdPKPdEEv13rocblas_fill_17rocblas_diagonal_T1_iil.num_named_barrier, 0
	.set _ZN9rocsolver6v33100L18trti2_kernel_smallILi8EdPKPdEEv13rocblas_fill_17rocblas_diagonal_T1_iil.private_seg_size, 0
	.set _ZN9rocsolver6v33100L18trti2_kernel_smallILi8EdPKPdEEv13rocblas_fill_17rocblas_diagonal_T1_iil.uses_vcc, 1
	.set _ZN9rocsolver6v33100L18trti2_kernel_smallILi8EdPKPdEEv13rocblas_fill_17rocblas_diagonal_T1_iil.uses_flat_scratch, 0
	.set _ZN9rocsolver6v33100L18trti2_kernel_smallILi8EdPKPdEEv13rocblas_fill_17rocblas_diagonal_T1_iil.has_dyn_sized_stack, 0
	.set _ZN9rocsolver6v33100L18trti2_kernel_smallILi8EdPKPdEEv13rocblas_fill_17rocblas_diagonal_T1_iil.has_recursion, 0
	.set _ZN9rocsolver6v33100L18trti2_kernel_smallILi8EdPKPdEEv13rocblas_fill_17rocblas_diagonal_T1_iil.has_indirect_call, 0
	.section	.AMDGPU.csdata,"",@progbits
; Kernel info:
; codeLenInByte = 8956
; TotalNumSgprs: 36
; NumVgprs: 78
; NumAgprs: 0
; TotalNumVgprs: 78
; ScratchSize: 0
; MemoryBound: 0
; FloatMode: 240
; IeeeMode: 1
; LDSByteSize: 128 bytes/workgroup (compile time only)
; SGPRBlocks: 4
; VGPRBlocks: 9
; NumSGPRsForWavesPerEU: 36
; NumVGPRsForWavesPerEU: 78
; AccumOffset: 80
; Occupancy: 6
; WaveLimiterHint : 1
; COMPUTE_PGM_RSRC2:SCRATCH_EN: 0
; COMPUTE_PGM_RSRC2:USER_SGPR: 2
; COMPUTE_PGM_RSRC2:TRAP_HANDLER: 0
; COMPUTE_PGM_RSRC2:TGID_X_EN: 1
; COMPUTE_PGM_RSRC2:TGID_Y_EN: 0
; COMPUTE_PGM_RSRC2:TGID_Z_EN: 0
; COMPUTE_PGM_RSRC2:TIDIG_COMP_CNT: 0
; COMPUTE_PGM_RSRC3_GFX90A:ACCUM_OFFSET: 19
; COMPUTE_PGM_RSRC3_GFX90A:TG_SPLIT: 0
	.section	.text._ZN9rocsolver6v33100L18trti2_kernel_smallILi9EdPKPdEEv13rocblas_fill_17rocblas_diagonal_T1_iil,"axG",@progbits,_ZN9rocsolver6v33100L18trti2_kernel_smallILi9EdPKPdEEv13rocblas_fill_17rocblas_diagonal_T1_iil,comdat
	.globl	_ZN9rocsolver6v33100L18trti2_kernel_smallILi9EdPKPdEEv13rocblas_fill_17rocblas_diagonal_T1_iil ; -- Begin function _ZN9rocsolver6v33100L18trti2_kernel_smallILi9EdPKPdEEv13rocblas_fill_17rocblas_diagonal_T1_iil
	.p2align	8
	.type	_ZN9rocsolver6v33100L18trti2_kernel_smallILi9EdPKPdEEv13rocblas_fill_17rocblas_diagonal_T1_iil,@function
_ZN9rocsolver6v33100L18trti2_kernel_smallILi9EdPKPdEEv13rocblas_fill_17rocblas_diagonal_T1_iil: ; @_ZN9rocsolver6v33100L18trti2_kernel_smallILi9EdPKPdEEv13rocblas_fill_17rocblas_diagonal_T1_iil
; %bb.0:
	v_cmp_gt_u32_e32 vcc, 9, v0
	s_and_saveexec_b64 s[4:5], vcc
	s_cbranch_execz .LBB72_186
; %bb.1:
	s_load_dwordx2 s[4:5], s[0:1], 0x10
	s_load_dwordx4 s[16:19], s[0:1], 0x0
	s_ashr_i32 s3, s2, 31
	s_lshl_b64 s[0:1], s[2:3], 3
	v_mov_b32_e32 v1, 0
	s_waitcnt lgkmcnt(0)
	s_ashr_i32 s3, s4, 31
	s_add_u32 s0, s18, s0
	s_addc_u32 s1, s19, s1
	s_load_dwordx2 s[0:1], s[0:1], 0x0
	s_mov_b32 s2, s4
	s_lshl_b64 s[2:3], s[2:3], 3
	v_lshlrev_b32_e32 v34, 3, v0
	v_mov_b32_e32 v35, v1
	s_waitcnt lgkmcnt(0)
	s_add_u32 s0, s0, s2
	s_addc_u32 s1, s1, s3
	v_lshl_add_u64 v[66:67], s[0:1], 0, v[34:35]
	s_ashr_i32 s3, s5, 31
	s_mov_b32 s2, s5
	v_lshl_add_u64 v[68:69], s[2:3], 3, v[66:67]
	s_add_i32 s2, s5, s5
	v_add_u32_e32 v2, s2, v0
	v_add_u32_e32 v10, s5, v2
	v_ashrrev_i32_e32 v11, 31, v10
	v_lshl_add_u64 v[72:73], v[10:11], 3, s[0:1]
	v_add_u32_e32 v10, s5, v10
	v_ashrrev_i32_e32 v11, 31, v10
	v_lshl_add_u64 v[74:75], v[10:11], 3, s[0:1]
	;; [unrolled: 3-line block ×3, first 2 shown]
	v_add_u32_e32 v10, s5, v10
	v_add_u32_e32 v18, s5, v10
	v_ashrrev_i32_e32 v19, 31, v18
	v_ashrrev_i32_e32 v3, 31, v2
	;; [unrolled: 1-line block ×3, first 2 shown]
	v_lshl_add_u64 v[80:81], v[18:19], 3, s[0:1]
	v_add_u32_e32 v18, s5, v18
	v_lshl_add_u64 v[70:71], v[2:3], 3, s[0:1]
	flat_load_dwordx2 v[2:3], v[66:67]
	flat_load_dwordx2 v[4:5], v[68:69]
	;; [unrolled: 1-line block ×4, first 2 shown]
	v_lshl_add_u64 v[78:79], v[10:11], 3, s[0:1]
	flat_load_dwordx2 v[10:11], v[74:75]
	flat_load_dwordx2 v[12:13], v[76:77]
	flat_load_dwordx2 v[14:15], v[78:79]
	flat_load_dwordx2 v[16:17], v[80:81]
	v_ashrrev_i32_e32 v19, 31, v18
	v_lshl_add_u64 v[82:83], v[18:19], 3, s[0:1]
	flat_load_dwordx2 v[18:19], v[82:83]
	s_cmpk_lg_i32 s17, 0x84
	s_cselect_b64 s[18:19], -1, 0
	s_cmpk_eq_i32 s17, 0x84
	v_mov_b64_e32 v[36:37], -1.0
	s_cbranch_scc1 .LBB72_3
; %bb.2:
	v_cmp_eq_u32_e64 s[0:1], 1, v0
	v_cmp_eq_u32_e64 s[2:3], 2, v0
	;; [unrolled: 1-line block ×3, first 2 shown]
	s_waitcnt vmcnt(0) lgkmcnt(0)
	v_cndmask_b32_e64 v20, v3, v5, s[0:1]
	v_cndmask_b32_e64 v20, v20, v7, s[2:3]
	;; [unrolled: 1-line block ×3, first 2 shown]
	v_cmp_eq_u32_e64 s[6:7], 4, v0
	v_cmp_eq_u32_e64 s[8:9], 5, v0
	v_cmp_eq_u32_e64 s[10:11], 6, v0
	v_cndmask_b32_e64 v20, v20, v11, s[6:7]
	v_cndmask_b32_e64 v20, v20, v13, s[8:9]
	;; [unrolled: 1-line block ×3, first 2 shown]
	v_cmp_eq_u32_e64 s[12:13], 7, v0
	v_cmp_eq_u32_e64 s[14:15], 8, v0
	s_nop 0
	v_cndmask_b32_e64 v20, v20, v17, s[12:13]
	v_cndmask_b32_e64 v21, v20, v19, s[14:15]
	;; [unrolled: 1-line block ×10, first 2 shown]
	v_div_scale_f64 v[22:23], s[20:21], v[20:21], v[20:21], 1.0
	v_rcp_f64_e32 v[24:25], v[22:23]
	s_nop 0
	v_fma_f64 v[26:27], -v[22:23], v[24:25], 1.0
	v_fmac_f64_e32 v[24:25], v[24:25], v[26:27]
	v_fma_f64 v[26:27], -v[22:23], v[24:25], 1.0
	v_fmac_f64_e32 v[24:25], v[24:25], v[26:27]
	v_div_scale_f64 v[26:27], vcc, 1.0, v[20:21], 1.0
	v_mul_f64 v[28:29], v[26:27], v[24:25]
	v_fma_f64 v[22:23], -v[22:23], v[28:29], v[26:27]
	s_nop 1
	v_div_fmas_f64 v[22:23], v[22:23], v[24:25], v[28:29]
	v_div_fixup_f64 v[36:37], v[22:23], v[20:21], 1.0
	v_cmp_eq_u32_e32 vcc, 0, v0
	v_cndmask_b32_e64 v19, v19, v37, s[14:15]
	v_cndmask_b32_e64 v18, v18, v36, s[14:15]
	;; [unrolled: 1-line block ×16, first 2 shown]
	v_cndmask_b32_e32 v3, v3, v37, vcc
	v_cndmask_b32_e32 v2, v2, v36, vcc
	v_xor_b32_e32 v37, 0x80000000, v37
.LBB72_3:
	s_cmpk_eq_i32 s16, 0x79
	v_add_u32_e32 v90, 0x50, v34
	ds_write_b64 v34, v[36:37]
	s_cbranch_scc1 .LBB72_7
; %bb.4:
	s_waitcnt vmcnt(0) lgkmcnt(0)
	v_mov_b64_e32 v[64:65], v[32:33]
	v_cmp_eq_u32_e64 s[0:1], 8, v0
	v_mov_b64_e32 v[62:63], v[30:31]
	v_mov_b64_e32 v[60:61], v[28:29]
	;; [unrolled: 1-line block ×15, first 2 shown]
	ds_write_b64 v90, v[16:17]
	s_waitcnt lgkmcnt(0)
	; wave barrier
	s_and_saveexec_b64 s[16:17], s[0:1]
	s_cbranch_execz .LBB72_11
; %bb.5:
	s_and_b64 vcc, exec, s[18:19]
	s_cbranch_vccz .LBB72_8
; %bb.6:
	v_cmp_eq_u32_e32 vcc, 1, v0
	v_cmp_eq_u32_e64 s[2:3], 2, v0
	v_cmp_eq_u32_e64 s[4:5], 3, v0
	v_cndmask_b32_e32 v34, v3, v5, vcc
	v_cndmask_b32_e64 v34, v34, v7, s[2:3]
	v_cndmask_b32_e64 v34, v34, v9, s[4:5]
	v_cmp_eq_u32_e64 s[6:7], 4, v0
	v_cmp_eq_u32_e64 s[8:9], 5, v0
	;; [unrolled: 1-line block ×3, first 2 shown]
	v_cndmask_b32_e64 v34, v34, v11, s[6:7]
	v_cndmask_b32_e64 v34, v34, v13, s[8:9]
	v_cndmask_b32_e64 v34, v34, v15, s[10:11]
	v_cmp_eq_u32_e64 s[12:13], 7, v0
	v_cmp_eq_u32_e64 s[14:15], 8, v0
	ds_read_b64 v[36:37], v90
	v_cndmask_b32_e64 v34, v34, v17, s[12:13]
	v_cndmask_b32_e64 v35, v34, v19, s[14:15]
	v_cndmask_b32_e32 v34, v2, v4, vcc
	v_cndmask_b32_e64 v34, v34, v6, s[2:3]
	v_cndmask_b32_e64 v34, v34, v8, s[4:5]
	;; [unrolled: 1-line block ×7, first 2 shown]
	s_waitcnt lgkmcnt(0)
	v_mul_f64 v[38:39], v[34:35], v[36:37]
	s_cbranch_execz .LBB72_9
	s_branch .LBB72_10
.LBB72_7:
                                        ; implicit-def: $vgpr34_vgpr35_vgpr36_vgpr37_vgpr38_vgpr39_vgpr40_vgpr41_vgpr42_vgpr43_vgpr44_vgpr45_vgpr46_vgpr47_vgpr48_vgpr49_vgpr50_vgpr51_vgpr52_vgpr53_vgpr54_vgpr55_vgpr56_vgpr57_vgpr58_vgpr59_vgpr60_vgpr61_vgpr62_vgpr63_vgpr64_vgpr65
	s_cbranch_execnz .LBB72_114
	s_branch .LBB72_185
.LBB72_8:
                                        ; implicit-def: $vgpr38_vgpr39
.LBB72_9:
	ds_read_b64 v[38:39], v90
.LBB72_10:
	v_mov_b32_e32 v34, 0
	ds_read_b64 v[40:41], v34 offset:56
	v_mov_b32_e32 v34, v2
	v_mov_b32_e32 v35, v3
	;; [unrolled: 1-line block ×4, first 2 shown]
	s_waitcnt lgkmcnt(0)
	v_mul_f64 v[48:49], v[38:39], v[40:41]
	v_mov_b32_e32 v38, v6
	v_mov_b32_e32 v39, v7
	v_mov_b32_e32 v40, v8
	v_mov_b32_e32 v41, v9
	v_mov_b32_e32 v42, v10
	v_mov_b32_e32 v43, v11
	v_mov_b32_e32 v44, v12
	v_mov_b32_e32 v45, v13
	v_mov_b32_e32 v46, v14
	v_mov_b32_e32 v47, v15
	v_mov_b32_e32 v50, v18
	v_mov_b32_e32 v51, v19
.LBB72_11:
	s_or_b64 exec, exec, s[16:17]
	v_cmp_lt_u32_e64 s[2:3], 6, v0
	ds_write_b64 v90, v[46:47]
	s_waitcnt lgkmcnt(0)
	; wave barrier
	s_and_saveexec_b64 s[20:21], s[2:3]
	s_cbranch_execz .LBB72_17
; %bb.12:
	s_andn2_b64 vcc, exec, s[18:19]
	s_cbranch_vccnz .LBB72_14
; %bb.13:
	v_cmp_eq_u32_e32 vcc, 1, v0
	v_cmp_eq_u32_e64 s[4:5], 2, v0
	v_cmp_eq_u32_e64 s[6:7], 3, v0
	v_cndmask_b32_e32 v52, v35, v37, vcc
	v_cndmask_b32_e64 v52, v52, v39, s[4:5]
	v_cndmask_b32_e64 v52, v52, v41, s[6:7]
	v_cmp_eq_u32_e64 s[8:9], 4, v0
	v_cmp_eq_u32_e64 s[10:11], 5, v0
	;; [unrolled: 1-line block ×3, first 2 shown]
	v_cndmask_b32_e64 v52, v52, v43, s[8:9]
	v_cndmask_b32_e64 v52, v52, v45, s[10:11]
	;; [unrolled: 1-line block ×3, first 2 shown]
	v_cndmask_b32_e32 v52, v34, v36, vcc
	v_cndmask_b32_e64 v52, v52, v38, s[4:5]
	v_cndmask_b32_e64 v52, v52, v40, s[6:7]
	;; [unrolled: 1-line block ×3, first 2 shown]
	ds_read_b64 v[52:53], v90
	v_cndmask_b32_e64 v54, v54, v44, s[10:11]
	v_cmp_eq_u32_e64 s[14:15], 7, v0
	v_cndmask_b32_e64 v46, v54, v46, s[12:13]
	v_cmp_eq_u32_e64 s[16:17], 8, v0
	v_cndmask_b32_e64 v47, v47, v49, s[14:15]
	v_cndmask_b32_e64 v46, v46, v48, s[14:15]
	;; [unrolled: 1-line block ×4, first 2 shown]
	s_waitcnt lgkmcnt(0)
	v_mul_f64 v[46:47], v[46:47], v[52:53]
	s_cbranch_execz .LBB72_15
	s_branch .LBB72_16
.LBB72_14:
                                        ; implicit-def: $vgpr46_vgpr47
.LBB72_15:
	ds_read_b64 v[46:47], v90
.LBB72_16:
	v_mov_b32_e32 v52, 0
	ds_read2_b64 v[52:55], v52 offset0:6 offset1:17
	s_waitcnt lgkmcnt(0)
	v_fma_f64 v[54:55], v[48:49], v[54:55], v[46:47]
	v_cndmask_b32_e64 v47, v47, v55, s[0:1]
	v_cndmask_b32_e64 v46, v46, v54, s[0:1]
	v_mul_f64 v[46:47], v[46:47], v[52:53]
.LBB72_17:
	s_or_b64 exec, exec, s[20:21]
	v_cmp_lt_u32_e64 s[0:1], 5, v0
	ds_write_b64 v90, v[44:45]
	s_waitcnt lgkmcnt(0)
	; wave barrier
	s_and_saveexec_b64 s[20:21], s[0:1]
	s_cbranch_execz .LBB72_33
; %bb.18:
	s_andn2_b64 vcc, exec, s[18:19]
	s_cbranch_vccnz .LBB72_20
; %bb.19:
	v_cmp_eq_u32_e32 vcc, 1, v0
	v_cmp_eq_u32_e64 s[4:5], 2, v0
	v_cmp_eq_u32_e64 s[6:7], 3, v0
	v_cndmask_b32_e32 v84, v35, v37, vcc
	v_cndmask_b32_e64 v84, v84, v39, s[4:5]
	v_cndmask_b32_e64 v84, v84, v41, s[6:7]
	v_cmp_eq_u32_e64 s[8:9], 4, v0
	v_cmp_eq_u32_e64 s[10:11], 5, v0
	;; [unrolled: 1-line block ×3, first 2 shown]
	v_cndmask_b32_e64 v84, v84, v43, s[8:9]
	v_cndmask_b32_e64 v84, v84, v45, s[10:11]
	;; [unrolled: 1-line block ×3, first 2 shown]
	v_cmp_eq_u32_e64 s[14:15], 7, v0
	v_cmp_eq_u32_e64 s[16:17], 8, v0
	ds_read_b64 v[86:87], v90
	v_cndmask_b32_e64 v84, v84, v49, s[14:15]
	v_cndmask_b32_e64 v85, v84, v51, s[16:17]
	v_cndmask_b32_e32 v84, v34, v36, vcc
	v_cndmask_b32_e64 v84, v84, v38, s[4:5]
	v_cndmask_b32_e64 v84, v84, v40, s[6:7]
	;; [unrolled: 1-line block ×7, first 2 shown]
	s_waitcnt lgkmcnt(0)
	v_mul_f64 v[84:85], v[84:85], v[86:87]
	s_cbranch_execz .LBB72_21
	s_branch .LBB72_22
.LBB72_20:
                                        ; implicit-def: $vgpr84_vgpr85
.LBB72_21:
	ds_read_b64 v[84:85], v90
.LBB72_22:
	s_and_saveexec_b64 s[6:7], s[2:3]
	s_cbranch_execz .LBB72_32
; %bb.23:
	v_add_u32_e32 v86, -7, v0
	v_add_u32_e32 v87, -6, v0
	v_mov_b32_e32 v88, 6
	v_cmp_lt_u32_e32 vcc, 6, v86
	s_and_saveexec_b64 s[2:3], vcc
	s_cbranch_execz .LBB72_27
; %bb.24:
	v_and_b32_e32 v86, -8, v87
	v_sub_u32_e32 v86, 0, v86
	s_mov_b64 s[4:5], 13
	s_movk_i32 s10, 0x80
	s_mov_b64 s[8:9], 0
.LBB72_25:                              ; =>This Inner Loop Header: Depth=1
	s_lshl_b32 s11, s4, 1
	s_add_i32 s12, s11, -13
	s_add_i32 s13, s11, -14
	s_set_gpr_idx_on s12, gpr_idx(SRC0)
	v_mov_b32_e32 v109, v34
	s_set_gpr_idx_off
	v_mov_b32_e32 v88, s10
	s_add_i32 s14, s11, -11
	s_set_gpr_idx_on s13, gpr_idx(SRC0)
	v_mov_b32_e32 v108, v34
	s_set_gpr_idx_off
	s_add_i32 s15, s11, -12
	ds_read_b128 v[92:95], v88
	ds_read_b128 v[96:99], v88 offset:16
	ds_read_b128 v[100:103], v88 offset:32
	;; [unrolled: 1-line block ×3, first 2 shown]
	s_set_gpr_idx_on s14, gpr_idx(SRC0)
	v_mov_b32_e32 v111, v34
	s_set_gpr_idx_off
	s_add_i32 s16, s11, -9
	s_set_gpr_idx_on s15, gpr_idx(SRC0)
	v_mov_b32_e32 v110, v34
	s_set_gpr_idx_off
	s_add_i32 s17, s11, -10
	;; [unrolled: 4-line block ×4, first 2 shown]
	s_waitcnt lgkmcnt(3)
	v_fmac_f64_e32 v[84:85], v[108:109], v[92:93]
	s_set_gpr_idx_on s22, gpr_idx(SRC0)
	v_mov_b32_e32 v93, v34
	s_set_gpr_idx_off
	s_add_i32 s24, s11, -5
	v_fmac_f64_e32 v[84:85], v[110:111], v[94:95]
	s_set_gpr_idx_on s23, gpr_idx(SRC0)
	v_mov_b32_e32 v92, v34
	s_set_gpr_idx_off
	s_add_i32 s25, s11, -6
	s_waitcnt lgkmcnt(2)
	v_fmac_f64_e32 v[84:85], v[112:113], v[96:97]
	s_set_gpr_idx_on s24, gpr_idx(SRC0)
	v_mov_b32_e32 v95, v34
	s_set_gpr_idx_off
	s_add_i32 s26, s11, -3
	v_fmac_f64_e32 v[84:85], v[92:93], v[98:99]
	s_set_gpr_idx_on s25, gpr_idx(SRC0)
	v_mov_b32_e32 v94, v34
	s_set_gpr_idx_off
	s_add_i32 s27, s11, -4
	s_waitcnt lgkmcnt(1)
	v_fmac_f64_e32 v[84:85], v[94:95], v[100:101]
	s_set_gpr_idx_on s26, gpr_idx(SRC0)
	v_mov_b32_e32 v93, v34
	s_set_gpr_idx_off
	s_add_i32 s28, s11, -1
	s_set_gpr_idx_on s27, gpr_idx(SRC0)
	v_mov_b32_e32 v92, v34
	s_set_gpr_idx_off
	s_add_i32 s29, s11, -2
	v_fmac_f64_e32 v[84:85], v[92:93], v[102:103]
	s_set_gpr_idx_on s28, gpr_idx(SRC0)
	v_mov_b32_e32 v93, v34
	s_set_gpr_idx_off
	s_add_u32 s4, s4, 8
	s_set_gpr_idx_on s29, gpr_idx(SRC0)
	v_mov_b32_e32 v92, v34
	s_set_gpr_idx_off
	v_add_u32_e32 v88, s4, v86
	s_waitcnt lgkmcnt(0)
	v_fmac_f64_e32 v[84:85], v[92:93], v[104:105]
	s_set_gpr_idx_on s11, gpr_idx(SRC0)
	v_mov_b32_e32 v93, v35
	s_set_gpr_idx_off
	s_addc_u32 s5, s5, 0
	s_add_i32 s10, s10, 64
	s_add_i32 s12, s4, -7
	v_cmp_eq_u32_e32 vcc, 13, v88
	s_set_gpr_idx_on s11, gpr_idx(SRC0)
	v_mov_b32_e32 v92, v34
	s_set_gpr_idx_off
	v_mov_b32_e32 v88, s12
	s_or_b64 s[8:9], vcc, s[8:9]
	v_fmac_f64_e32 v[84:85], v[92:93], v[106:107]
	s_andn2_b64 exec, exec, s[8:9]
	s_cbranch_execnz .LBB72_25
; %bb.26:
	s_or_b64 exec, exec, s[8:9]
.LBB72_27:
	s_or_b64 exec, exec, s[2:3]
	v_and_b32_e32 v52, 7, v87
	v_cmp_ne_u32_e32 vcc, 0, v52
	s_and_saveexec_b64 s[8:9], vcc
	s_cbranch_execz .LBB72_31
; %bb.28:
	v_mov_b32_e32 v53, 0x50
	v_lshl_add_u32 v53, v88, 3, v53
	v_mov_b32_e32 v89, 0
	s_mov_b64 s[10:11], 0
.LBB72_29:                              ; =>This Inner Loop Header: Depth=1
	v_cmp_eq_u32_e32 vcc, 1, v88
	v_add_u32_e32 v52, -1, v52
	v_cmp_eq_u32_e64 s[2:3], 2, v88
	v_cndmask_b32_e32 v56, v35, v37, vcc
	v_cndmask_b32_e32 v57, v34, v36, vcc
	v_cndmask_b32_e64 v56, v56, v39, s[2:3]
	v_cmp_eq_u32_e32 vcc, 0, v52
	v_cmp_eq_u32_e64 s[4:5], 3, v88
	v_cndmask_b32_e64 v57, v57, v38, s[2:3]
	s_or_b64 s[10:11], vcc, s[10:11]
	v_cndmask_b32_e64 v56, v56, v41, s[4:5]
	v_cmp_eq_u32_e32 vcc, 4, v88
	v_cndmask_b32_e64 v57, v57, v40, s[4:5]
	v_cmp_eq_u32_e64 s[2:3], 5, v88
	v_cndmask_b32_e32 v56, v56, v43, vcc
	ds_read_b64 v[54:55], v53
	v_cndmask_b32_e64 v56, v56, v45, s[2:3]
	v_cndmask_b32_e32 v57, v57, v42, vcc
	v_cmp_eq_u32_e32 vcc, 6, v88
	v_cndmask_b32_e64 v57, v57, v44, s[2:3]
	v_cmp_eq_u32_e64 s[2:3], 7, v88
	v_cndmask_b32_e32 v56, v56, v47, vcc
	v_cmp_eq_u32_e64 s[4:5], 8, v88
	v_cndmask_b32_e64 v56, v56, v49, s[2:3]
	v_cndmask_b32_e32 v58, v57, v46, vcc
	v_cndmask_b32_e64 v57, v56, v51, s[4:5]
	v_cndmask_b32_e64 v56, v58, v48, s[2:3]
	;; [unrolled: 1-line block ×3, first 2 shown]
	v_add_u32_e32 v53, 8, v53
	v_lshl_add_u64 v[88:89], v[88:89], 0, 1
	s_waitcnt lgkmcnt(0)
	v_fmac_f64_e32 v[84:85], v[56:57], v[54:55]
	s_andn2_b64 exec, exec, s[10:11]
	s_cbranch_execnz .LBB72_29
; %bb.30:
	s_or_b64 exec, exec, s[10:11]
.LBB72_31:
	s_or_b64 exec, exec, s[8:9]
.LBB72_32:
	s_or_b64 exec, exec, s[6:7]
	v_mov_b32_e32 v44, 0
	ds_read_b64 v[44:45], v44 offset:40
	s_waitcnt lgkmcnt(0)
	v_mul_f64 v[44:45], v[84:85], v[44:45]
.LBB72_33:
	s_or_b64 exec, exec, s[20:21]
	v_cmp_lt_u32_e64 s[2:3], 4, v0
	ds_write_b64 v90, v[42:43]
	s_waitcnt lgkmcnt(0)
	; wave barrier
	s_and_saveexec_b64 s[20:21], s[2:3]
	s_cbranch_execz .LBB72_49
; %bb.34:
	s_andn2_b64 vcc, exec, s[18:19]
	s_cbranch_vccnz .LBB72_36
; %bb.35:
	v_cmp_eq_u32_e32 vcc, 1, v0
	v_cmp_eq_u32_e64 s[4:5], 2, v0
	v_cmp_eq_u32_e64 s[6:7], 3, v0
	v_cndmask_b32_e32 v84, v35, v37, vcc
	v_cndmask_b32_e64 v84, v84, v39, s[4:5]
	v_cndmask_b32_e64 v84, v84, v41, s[6:7]
	v_cmp_eq_u32_e64 s[8:9], 4, v0
	v_cmp_eq_u32_e64 s[10:11], 5, v0
	;; [unrolled: 1-line block ×3, first 2 shown]
	v_cndmask_b32_e64 v84, v84, v43, s[8:9]
	v_cndmask_b32_e64 v84, v84, v45, s[10:11]
	;; [unrolled: 1-line block ×3, first 2 shown]
	v_cmp_eq_u32_e64 s[14:15], 7, v0
	v_cmp_eq_u32_e64 s[16:17], 8, v0
	ds_read_b64 v[86:87], v90
	v_cndmask_b32_e64 v84, v84, v49, s[14:15]
	v_cndmask_b32_e64 v85, v84, v51, s[16:17]
	v_cndmask_b32_e32 v84, v34, v36, vcc
	v_cndmask_b32_e64 v84, v84, v38, s[4:5]
	v_cndmask_b32_e64 v84, v84, v40, s[6:7]
	;; [unrolled: 1-line block ×7, first 2 shown]
	s_waitcnt lgkmcnt(0)
	v_mul_f64 v[84:85], v[84:85], v[86:87]
	s_cbranch_execz .LBB72_37
	s_branch .LBB72_38
.LBB72_36:
                                        ; implicit-def: $vgpr84_vgpr85
.LBB72_37:
	ds_read_b64 v[84:85], v90
.LBB72_38:
	s_and_saveexec_b64 s[6:7], s[0:1]
	s_cbranch_execz .LBB72_48
; %bb.39:
	v_add_u32_e32 v86, -6, v0
	v_add_u32_e32 v87, -5, v0
	v_cmp_lt_u32_e32 vcc, 6, v86
	v_mov_b32_e32 v86, 5
	s_and_saveexec_b64 s[0:1], vcc
	s_cbranch_execz .LBB72_43
; %bb.40:
	v_and_b32_e32 v86, -8, v87
	v_sub_u32_e32 v88, 0, v86
	s_mov_b64 s[4:5], 12
	s_movk_i32 s10, 0x78
	s_mov_b64 s[8:9], 0
.LBB72_41:                              ; =>This Inner Loop Header: Depth=1
	s_lshl_b32 s11, s4, 1
	s_add_i32 s12, s11, -13
	v_mov_b32_e32 v89, s10
	s_add_i32 s13, s11, -14
	s_set_gpr_idx_on s12, gpr_idx(SRC0)
	v_mov_b32_e32 v101, v34
	s_set_gpr_idx_off
	s_add_i32 s14, s11, -11
	s_set_gpr_idx_on s13, gpr_idx(SRC0)
	v_mov_b32_e32 v100, v34
	s_set_gpr_idx_off
	ds_read2_b64 v[92:95], v89 offset1:1
	s_add_i32 s15, s11, -12
	s_set_gpr_idx_on s14, gpr_idx(SRC0)
	v_mov_b32_e32 v103, v34
	s_set_gpr_idx_off
	s_add_i32 s16, s11, -9
	s_set_gpr_idx_on s15, gpr_idx(SRC0)
	v_mov_b32_e32 v102, v34
	s_set_gpr_idx_off
	s_add_i32 s17, s11, -10
	s_set_gpr_idx_on s16, gpr_idx(SRC0)
	v_mov_b32_e32 v105, v34
	s_set_gpr_idx_off
	s_add_i32 s22, s11, -7
	s_set_gpr_idx_on s17, gpr_idx(SRC0)
	v_mov_b32_e32 v104, v34
	s_set_gpr_idx_off
	ds_read2_b64 v[96:99], v89 offset0:2 offset1:3
	s_add_i32 s23, s11, -8
	s_waitcnt lgkmcnt(1)
	v_fmac_f64_e32 v[84:85], v[100:101], v[92:93]
	s_set_gpr_idx_on s22, gpr_idx(SRC0)
	v_mov_b32_e32 v101, v34
	s_set_gpr_idx_off
	s_add_i32 s24, s11, -5
	v_fmac_f64_e32 v[84:85], v[102:103], v[94:95]
	s_set_gpr_idx_on s23, gpr_idx(SRC0)
	v_mov_b32_e32 v100, v34
	s_set_gpr_idx_off
	s_add_i32 s25, s11, -6
	s_set_gpr_idx_on s24, gpr_idx(SRC0)
	v_mov_b32_e32 v103, v34
	s_set_gpr_idx_off
	s_add_i32 s26, s11, -3
	;; [unrolled: 4-line block ×3, first 2 shown]
	ds_read2_b64 v[92:95], v89 offset0:4 offset1:5
	s_waitcnt lgkmcnt(1)
	v_fmac_f64_e32 v[84:85], v[104:105], v[96:97]
	s_set_gpr_idx_on s26, gpr_idx(SRC0)
	v_mov_b32_e32 v105, v34
	s_set_gpr_idx_off
	s_add_i32 s28, s11, -1
	v_fmac_f64_e32 v[84:85], v[100:101], v[98:99]
	s_set_gpr_idx_on s27, gpr_idx(SRC0)
	v_mov_b32_e32 v104, v34
	s_set_gpr_idx_off
	s_add_i32 s29, s11, -2
	s_set_gpr_idx_on s28, gpr_idx(SRC0)
	v_mov_b32_e32 v101, v34
	s_set_gpr_idx_off
	s_set_gpr_idx_on s29, gpr_idx(SRC0)
	v_mov_b32_e32 v100, v34
	s_set_gpr_idx_off
	ds_read2_b64 v[96:99], v89 offset0:6 offset1:7
	s_add_u32 s4, s4, 8
	s_waitcnt lgkmcnt(1)
	v_fmac_f64_e32 v[84:85], v[102:103], v[92:93]
	s_set_gpr_idx_on s11, gpr_idx(SRC0)
	v_mov_b32_e32 v93, v35
	s_set_gpr_idx_off
	v_add_u32_e32 v86, s4, v88
	v_fmac_f64_e32 v[84:85], v[104:105], v[94:95]
	s_set_gpr_idx_on s11, gpr_idx(SRC0)
	v_mov_b32_e32 v92, v34
	s_set_gpr_idx_off
	s_addc_u32 s5, s5, 0
	s_add_i32 s10, s10, 64
	s_add_i32 s12, s4, -7
	v_cmp_eq_u32_e32 vcc, 12, v86
	s_waitcnt lgkmcnt(0)
	v_fmac_f64_e32 v[84:85], v[100:101], v[96:97]
	v_mov_b32_e32 v86, s12
	s_or_b64 s[8:9], vcc, s[8:9]
	v_fmac_f64_e32 v[84:85], v[92:93], v[98:99]
	s_andn2_b64 exec, exec, s[8:9]
	s_cbranch_execnz .LBB72_41
; %bb.42:
	s_or_b64 exec, exec, s[8:9]
.LBB72_43:
	s_or_b64 exec, exec, s[0:1]
	v_and_b32_e32 v52, 7, v87
	v_cmp_ne_u32_e32 vcc, 0, v52
	s_and_saveexec_b64 s[8:9], vcc
	s_cbranch_execz .LBB72_47
; %bb.44:
	v_mov_b32_e32 v53, 0x50
	v_lshl_add_u32 v53, v86, 3, v53
	v_mov_b32_e32 v87, 0
	s_mov_b64 s[10:11], 0
.LBB72_45:                              ; =>This Inner Loop Header: Depth=1
	v_cmp_eq_u32_e32 vcc, 1, v86
	v_add_u32_e32 v52, -1, v52
	v_cmp_eq_u32_e64 s[0:1], 2, v86
	v_cndmask_b32_e32 v56, v35, v37, vcc
	v_cndmask_b32_e32 v57, v34, v36, vcc
	v_cndmask_b32_e64 v56, v56, v39, s[0:1]
	v_cmp_eq_u32_e32 vcc, 0, v52
	v_cmp_eq_u32_e64 s[4:5], 3, v86
	v_cndmask_b32_e64 v57, v57, v38, s[0:1]
	s_or_b64 s[10:11], vcc, s[10:11]
	v_cndmask_b32_e64 v56, v56, v41, s[4:5]
	v_cmp_eq_u32_e32 vcc, 4, v86
	v_cndmask_b32_e64 v57, v57, v40, s[4:5]
	v_cmp_eq_u32_e64 s[0:1], 5, v86
	v_cndmask_b32_e32 v56, v56, v43, vcc
	ds_read_b64 v[54:55], v53
	v_cndmask_b32_e64 v56, v56, v45, s[0:1]
	v_cndmask_b32_e32 v57, v57, v42, vcc
	v_cmp_eq_u32_e32 vcc, 6, v86
	v_cndmask_b32_e64 v57, v57, v44, s[0:1]
	v_cmp_eq_u32_e64 s[0:1], 7, v86
	v_cndmask_b32_e32 v56, v56, v47, vcc
	v_cmp_eq_u32_e64 s[4:5], 8, v86
	v_cndmask_b32_e64 v56, v56, v49, s[0:1]
	v_cndmask_b32_e32 v58, v57, v46, vcc
	v_cndmask_b32_e64 v57, v56, v51, s[4:5]
	v_cndmask_b32_e64 v56, v58, v48, s[0:1]
	;; [unrolled: 1-line block ×3, first 2 shown]
	v_add_u32_e32 v53, 8, v53
	v_lshl_add_u64 v[86:87], v[86:87], 0, 1
	s_waitcnt lgkmcnt(0)
	v_fmac_f64_e32 v[84:85], v[56:57], v[54:55]
	s_andn2_b64 exec, exec, s[10:11]
	s_cbranch_execnz .LBB72_45
; %bb.46:
	s_or_b64 exec, exec, s[10:11]
.LBB72_47:
	s_or_b64 exec, exec, s[8:9]
.LBB72_48:
	s_or_b64 exec, exec, s[6:7]
	v_mov_b32_e32 v42, 0
	ds_read_b64 v[42:43], v42 offset:32
	s_waitcnt lgkmcnt(0)
	v_mul_f64 v[42:43], v[84:85], v[42:43]
.LBB72_49:
	s_or_b64 exec, exec, s[20:21]
	v_cmp_lt_u32_e64 s[0:1], 3, v0
	ds_write_b64 v90, v[40:41]
	s_waitcnt lgkmcnt(0)
	; wave barrier
	s_and_saveexec_b64 s[20:21], s[0:1]
	s_cbranch_execz .LBB72_65
; %bb.50:
	s_andn2_b64 vcc, exec, s[18:19]
	s_cbranch_vccnz .LBB72_52
; %bb.51:
	v_cmp_eq_u32_e32 vcc, 1, v0
	v_cmp_eq_u32_e64 s[4:5], 2, v0
	v_cmp_eq_u32_e64 s[6:7], 3, v0
	v_cndmask_b32_e32 v84, v35, v37, vcc
	v_cndmask_b32_e64 v84, v84, v39, s[4:5]
	v_cndmask_b32_e64 v84, v84, v41, s[6:7]
	v_cmp_eq_u32_e64 s[8:9], 4, v0
	v_cmp_eq_u32_e64 s[10:11], 5, v0
	;; [unrolled: 1-line block ×3, first 2 shown]
	v_cndmask_b32_e64 v84, v84, v43, s[8:9]
	v_cndmask_b32_e64 v84, v84, v45, s[10:11]
	v_cndmask_b32_e64 v84, v84, v47, s[12:13]
	v_cmp_eq_u32_e64 s[14:15], 7, v0
	v_cmp_eq_u32_e64 s[16:17], 8, v0
	ds_read_b64 v[86:87], v90
	v_cndmask_b32_e64 v84, v84, v49, s[14:15]
	v_cndmask_b32_e64 v85, v84, v51, s[16:17]
	v_cndmask_b32_e32 v84, v34, v36, vcc
	v_cndmask_b32_e64 v84, v84, v38, s[4:5]
	v_cndmask_b32_e64 v84, v84, v40, s[6:7]
	;; [unrolled: 1-line block ×7, first 2 shown]
	s_waitcnt lgkmcnt(0)
	v_mul_f64 v[84:85], v[84:85], v[86:87]
	s_cbranch_execz .LBB72_53
	s_branch .LBB72_54
.LBB72_52:
                                        ; implicit-def: $vgpr84_vgpr85
.LBB72_53:
	ds_read_b64 v[84:85], v90
.LBB72_54:
	s_and_saveexec_b64 s[6:7], s[2:3]
	s_cbranch_execz .LBB72_64
; %bb.55:
	v_add_u32_e32 v86, -5, v0
	v_add_u32_e32 v87, -4, v0
	v_cmp_lt_u32_e32 vcc, 6, v86
	v_mov_b32_e32 v88, 4
	s_and_saveexec_b64 s[2:3], vcc
	s_cbranch_execz .LBB72_59
; %bb.56:
	v_and_b32_e32 v86, -8, v87
	v_sub_u32_e32 v86, 0, v86
	s_mov_b64 s[4:5], 5
	s_movk_i32 s10, 0x70
	s_mov_b64 s[8:9], 0
.LBB72_57:                              ; =>This Inner Loop Header: Depth=1
	s_lshl_b32 s11, s4, 1
	s_add_i32 s12, s11, -1
	s_add_i32 s13, s11, -2
	s_set_gpr_idx_on s12, gpr_idx(SRC0)
	v_mov_b32_e32 v109, v34
	s_set_gpr_idx_off
	v_mov_b32_e32 v88, s10
	s_set_gpr_idx_on s13, gpr_idx(SRC0)
	v_mov_b32_e32 v108, v34
	s_set_gpr_idx_off
	ds_read_b128 v[92:95], v88
	ds_read_b128 v[96:99], v88 offset:16
	ds_read_b128 v[100:103], v88 offset:32
	;; [unrolled: 1-line block ×3, first 2 shown]
	s_set_gpr_idx_on s11, gpr_idx(SRC0)
	v_mov_b32_e32 v111, v35
	s_add_i32 s14, s11, 3
	v_mov_b32_e32 v110, v34
	s_set_gpr_idx_off
	s_add_i32 s15, s11, 2
	s_set_gpr_idx_on s14, gpr_idx(SRC0)
	v_mov_b32_e32 v113, v34
	s_set_gpr_idx_off
	s_add_i32 s16, s11, 5
	s_set_gpr_idx_on s15, gpr_idx(SRC0)
	v_mov_b32_e32 v112, v34
	s_set_gpr_idx_off
	s_add_i32 s17, s11, 4
	s_waitcnt lgkmcnt(3)
	v_fmac_f64_e32 v[84:85], v[108:109], v[92:93]
	s_set_gpr_idx_on s16, gpr_idx(SRC0)
	v_mov_b32_e32 v93, v34
	s_set_gpr_idx_off
	s_add_i32 s22, s11, 7
	v_fmac_f64_e32 v[84:85], v[110:111], v[94:95]
	s_set_gpr_idx_on s17, gpr_idx(SRC0)
	v_mov_b32_e32 v92, v34
	s_set_gpr_idx_off
	s_add_i32 s23, s11, 6
	s_waitcnt lgkmcnt(2)
	v_fmac_f64_e32 v[84:85], v[112:113], v[96:97]
	s_set_gpr_idx_on s22, gpr_idx(SRC0)
	v_mov_b32_e32 v95, v34
	s_set_gpr_idx_off
	s_add_i32 s24, s11, 9
	v_fmac_f64_e32 v[84:85], v[92:93], v[98:99]
	s_set_gpr_idx_on s23, gpr_idx(SRC0)
	v_mov_b32_e32 v94, v34
	s_set_gpr_idx_off
	s_add_i32 s25, s11, 8
	s_waitcnt lgkmcnt(1)
	v_fmac_f64_e32 v[84:85], v[94:95], v[100:101]
	s_set_gpr_idx_on s24, gpr_idx(SRC0)
	v_mov_b32_e32 v93, v34
	s_set_gpr_idx_off
	s_add_i32 s26, s11, 11
	s_set_gpr_idx_on s25, gpr_idx(SRC0)
	v_mov_b32_e32 v92, v34
	s_set_gpr_idx_off
	s_add_i32 s27, s11, 10
	s_add_i32 s28, s11, 13
	;; [unrolled: 1-line block ×3, first 2 shown]
	v_fmac_f64_e32 v[84:85], v[92:93], v[102:103]
	s_set_gpr_idx_on s26, gpr_idx(SRC0)
	v_mov_b32_e32 v93, v34
	s_set_gpr_idx_off
	s_add_u32 s4, s4, 8
	s_set_gpr_idx_on s27, gpr_idx(SRC0)
	v_mov_b32_e32 v92, v34
	s_set_gpr_idx_off
	v_add_u32_e32 v88, s4, v86
	s_waitcnt lgkmcnt(0)
	v_fmac_f64_e32 v[84:85], v[92:93], v[104:105]
	s_set_gpr_idx_on s28, gpr_idx(SRC0)
	v_mov_b32_e32 v93, v34
	s_set_gpr_idx_off
	s_addc_u32 s5, s5, 0
	s_add_i32 s10, s10, 64
	s_add_i32 s12, s4, -1
	v_cmp_eq_u32_e32 vcc, 5, v88
	s_set_gpr_idx_on s29, gpr_idx(SRC0)
	v_mov_b32_e32 v92, v34
	s_set_gpr_idx_off
	v_mov_b32_e32 v88, s12
	s_or_b64 s[8:9], vcc, s[8:9]
	v_fmac_f64_e32 v[84:85], v[92:93], v[106:107]
	s_andn2_b64 exec, exec, s[8:9]
	s_cbranch_execnz .LBB72_57
; %bb.58:
	s_or_b64 exec, exec, s[8:9]
.LBB72_59:
	s_or_b64 exec, exec, s[2:3]
	v_and_b32_e32 v52, 7, v87
	v_cmp_ne_u32_e32 vcc, 0, v52
	s_and_saveexec_b64 s[8:9], vcc
	s_cbranch_execz .LBB72_63
; %bb.60:
	v_mov_b32_e32 v53, 0x50
	v_lshl_add_u32 v53, v88, 3, v53
	v_mov_b32_e32 v89, 0
	s_mov_b64 s[10:11], 0
.LBB72_61:                              ; =>This Inner Loop Header: Depth=1
	v_cmp_eq_u32_e32 vcc, 1, v88
	v_add_u32_e32 v52, -1, v52
	v_cmp_eq_u32_e64 s[2:3], 2, v88
	v_cndmask_b32_e32 v56, v35, v37, vcc
	v_cndmask_b32_e32 v57, v34, v36, vcc
	v_cndmask_b32_e64 v56, v56, v39, s[2:3]
	v_cmp_eq_u32_e32 vcc, 0, v52
	v_cmp_eq_u32_e64 s[4:5], 3, v88
	v_cndmask_b32_e64 v57, v57, v38, s[2:3]
	s_or_b64 s[10:11], vcc, s[10:11]
	v_cndmask_b32_e64 v56, v56, v41, s[4:5]
	v_cmp_eq_u32_e32 vcc, 4, v88
	v_cndmask_b32_e64 v57, v57, v40, s[4:5]
	v_cmp_eq_u32_e64 s[2:3], 5, v88
	v_cndmask_b32_e32 v56, v56, v43, vcc
	ds_read_b64 v[54:55], v53
	v_cndmask_b32_e64 v56, v56, v45, s[2:3]
	v_cndmask_b32_e32 v57, v57, v42, vcc
	v_cmp_eq_u32_e32 vcc, 6, v88
	v_cndmask_b32_e64 v57, v57, v44, s[2:3]
	v_cmp_eq_u32_e64 s[2:3], 7, v88
	v_cndmask_b32_e32 v56, v56, v47, vcc
	v_cmp_eq_u32_e64 s[4:5], 8, v88
	v_cndmask_b32_e64 v56, v56, v49, s[2:3]
	v_cndmask_b32_e32 v58, v57, v46, vcc
	v_cndmask_b32_e64 v57, v56, v51, s[4:5]
	v_cndmask_b32_e64 v56, v58, v48, s[2:3]
	;; [unrolled: 1-line block ×3, first 2 shown]
	v_add_u32_e32 v53, 8, v53
	v_lshl_add_u64 v[88:89], v[88:89], 0, 1
	s_waitcnt lgkmcnt(0)
	v_fmac_f64_e32 v[84:85], v[56:57], v[54:55]
	s_andn2_b64 exec, exec, s[10:11]
	s_cbranch_execnz .LBB72_61
; %bb.62:
	s_or_b64 exec, exec, s[10:11]
.LBB72_63:
	s_or_b64 exec, exec, s[8:9]
.LBB72_64:
	s_or_b64 exec, exec, s[6:7]
	v_mov_b32_e32 v40, 0
	ds_read_b64 v[40:41], v40 offset:24
	s_waitcnt lgkmcnt(0)
	v_mul_f64 v[40:41], v[84:85], v[40:41]
.LBB72_65:
	s_or_b64 exec, exec, s[20:21]
	v_cmp_lt_u32_e64 s[2:3], 2, v0
	ds_write_b64 v90, v[38:39]
	s_waitcnt lgkmcnt(0)
	; wave barrier
	s_and_saveexec_b64 s[20:21], s[2:3]
	s_cbranch_execz .LBB72_81
; %bb.66:
	s_andn2_b64 vcc, exec, s[18:19]
	s_cbranch_vccnz .LBB72_68
; %bb.67:
	v_cmp_eq_u32_e32 vcc, 1, v0
	v_cmp_eq_u32_e64 s[4:5], 2, v0
	v_cmp_eq_u32_e64 s[6:7], 3, v0
	v_cndmask_b32_e32 v84, v35, v37, vcc
	v_cndmask_b32_e64 v84, v84, v39, s[4:5]
	v_cndmask_b32_e64 v84, v84, v41, s[6:7]
	v_cmp_eq_u32_e64 s[8:9], 4, v0
	v_cmp_eq_u32_e64 s[10:11], 5, v0
	;; [unrolled: 1-line block ×3, first 2 shown]
	v_cndmask_b32_e64 v84, v84, v43, s[8:9]
	v_cndmask_b32_e64 v84, v84, v45, s[10:11]
	;; [unrolled: 1-line block ×3, first 2 shown]
	v_cmp_eq_u32_e64 s[14:15], 7, v0
	v_cmp_eq_u32_e64 s[16:17], 8, v0
	ds_read_b64 v[86:87], v90
	v_cndmask_b32_e64 v84, v84, v49, s[14:15]
	v_cndmask_b32_e64 v85, v84, v51, s[16:17]
	v_cndmask_b32_e32 v84, v34, v36, vcc
	v_cndmask_b32_e64 v84, v84, v38, s[4:5]
	v_cndmask_b32_e64 v84, v84, v40, s[6:7]
	v_cndmask_b32_e64 v84, v84, v42, s[8:9]
	v_cndmask_b32_e64 v84, v84, v44, s[10:11]
	v_cndmask_b32_e64 v84, v84, v46, s[12:13]
	v_cndmask_b32_e64 v84, v84, v48, s[14:15]
	v_cndmask_b32_e64 v84, v84, v50, s[16:17]
	s_waitcnt lgkmcnt(0)
	v_mul_f64 v[84:85], v[84:85], v[86:87]
	s_cbranch_execz .LBB72_69
	s_branch .LBB72_70
.LBB72_68:
                                        ; implicit-def: $vgpr84_vgpr85
.LBB72_69:
	ds_read_b64 v[84:85], v90
.LBB72_70:
	s_and_saveexec_b64 s[6:7], s[0:1]
	s_cbranch_execz .LBB72_80
; %bb.71:
	v_add_u32_e32 v86, -4, v0
	v_add_u32_e32 v87, -3, v0
	v_cmp_lt_u32_e32 vcc, 6, v86
	v_mov_b32_e32 v86, 3
	s_and_saveexec_b64 s[0:1], vcc
	s_cbranch_execz .LBB72_75
; %bb.72:
	v_and_b32_e32 v86, -8, v87
	v_sub_u32_e32 v88, 0, v86
	s_mov_b64 s[4:5], 10
	s_movk_i32 s10, 0x68
	s_mov_b64 s[8:9], 0
.LBB72_73:                              ; =>This Inner Loop Header: Depth=1
	s_lshl_b32 s11, s4, 1
	s_add_i32 s12, s11, -13
	v_mov_b32_e32 v89, s10
	s_add_i32 s13, s11, -14
	s_set_gpr_idx_on s12, gpr_idx(SRC0)
	v_mov_b32_e32 v101, v34
	s_set_gpr_idx_off
	s_add_i32 s14, s11, -11
	s_set_gpr_idx_on s13, gpr_idx(SRC0)
	v_mov_b32_e32 v100, v34
	s_set_gpr_idx_off
	ds_read2_b64 v[92:95], v89 offset1:1
	s_add_i32 s15, s11, -12
	s_set_gpr_idx_on s14, gpr_idx(SRC0)
	v_mov_b32_e32 v103, v34
	s_set_gpr_idx_off
	s_add_i32 s16, s11, -9
	s_set_gpr_idx_on s15, gpr_idx(SRC0)
	v_mov_b32_e32 v102, v34
	s_set_gpr_idx_off
	;; [unrolled: 4-line block ×4, first 2 shown]
	ds_read2_b64 v[96:99], v89 offset0:2 offset1:3
	s_add_i32 s23, s11, -8
	s_waitcnt lgkmcnt(1)
	v_fmac_f64_e32 v[84:85], v[100:101], v[92:93]
	s_set_gpr_idx_on s22, gpr_idx(SRC0)
	v_mov_b32_e32 v101, v34
	s_set_gpr_idx_off
	s_add_i32 s24, s11, -5
	v_fmac_f64_e32 v[84:85], v[102:103], v[94:95]
	s_set_gpr_idx_on s23, gpr_idx(SRC0)
	v_mov_b32_e32 v100, v34
	s_set_gpr_idx_off
	s_add_i32 s25, s11, -6
	s_set_gpr_idx_on s24, gpr_idx(SRC0)
	v_mov_b32_e32 v103, v34
	s_set_gpr_idx_off
	s_add_i32 s26, s11, -3
	;; [unrolled: 4-line block ×3, first 2 shown]
	ds_read2_b64 v[92:95], v89 offset0:4 offset1:5
	s_waitcnt lgkmcnt(1)
	v_fmac_f64_e32 v[84:85], v[104:105], v[96:97]
	s_set_gpr_idx_on s26, gpr_idx(SRC0)
	v_mov_b32_e32 v105, v34
	s_set_gpr_idx_off
	s_add_i32 s28, s11, -1
	v_fmac_f64_e32 v[84:85], v[100:101], v[98:99]
	s_set_gpr_idx_on s27, gpr_idx(SRC0)
	v_mov_b32_e32 v104, v34
	s_set_gpr_idx_off
	s_add_i32 s29, s11, -2
	s_set_gpr_idx_on s28, gpr_idx(SRC0)
	v_mov_b32_e32 v101, v34
	s_set_gpr_idx_off
	s_set_gpr_idx_on s29, gpr_idx(SRC0)
	v_mov_b32_e32 v100, v34
	s_set_gpr_idx_off
	ds_read2_b64 v[96:99], v89 offset0:6 offset1:7
	s_add_u32 s4, s4, 8
	s_waitcnt lgkmcnt(1)
	v_fmac_f64_e32 v[84:85], v[102:103], v[92:93]
	s_set_gpr_idx_on s11, gpr_idx(SRC0)
	v_mov_b32_e32 v93, v35
	s_set_gpr_idx_off
	v_add_u32_e32 v86, s4, v88
	v_fmac_f64_e32 v[84:85], v[104:105], v[94:95]
	s_set_gpr_idx_on s11, gpr_idx(SRC0)
	v_mov_b32_e32 v92, v34
	s_set_gpr_idx_off
	s_addc_u32 s5, s5, 0
	s_add_i32 s10, s10, 64
	s_add_i32 s12, s4, -7
	v_cmp_eq_u32_e32 vcc, 10, v86
	s_waitcnt lgkmcnt(0)
	v_fmac_f64_e32 v[84:85], v[100:101], v[96:97]
	v_mov_b32_e32 v86, s12
	s_or_b64 s[8:9], vcc, s[8:9]
	v_fmac_f64_e32 v[84:85], v[92:93], v[98:99]
	s_andn2_b64 exec, exec, s[8:9]
	s_cbranch_execnz .LBB72_73
; %bb.74:
	s_or_b64 exec, exec, s[8:9]
.LBB72_75:
	s_or_b64 exec, exec, s[0:1]
	v_and_b32_e32 v52, 7, v87
	v_cmp_ne_u32_e32 vcc, 0, v52
	s_and_saveexec_b64 s[8:9], vcc
	s_cbranch_execz .LBB72_79
; %bb.76:
	v_mov_b32_e32 v53, 0x50
	v_lshl_add_u32 v53, v86, 3, v53
	v_mov_b32_e32 v87, 0
	s_mov_b64 s[10:11], 0
.LBB72_77:                              ; =>This Inner Loop Header: Depth=1
	v_cmp_eq_u32_e32 vcc, 1, v86
	v_add_u32_e32 v52, -1, v52
	v_cmp_eq_u32_e64 s[0:1], 2, v86
	v_cndmask_b32_e32 v56, v35, v37, vcc
	v_cndmask_b32_e32 v57, v34, v36, vcc
	v_cndmask_b32_e64 v56, v56, v39, s[0:1]
	v_cmp_eq_u32_e32 vcc, 0, v52
	v_cmp_eq_u32_e64 s[4:5], 3, v86
	v_cndmask_b32_e64 v57, v57, v38, s[0:1]
	s_or_b64 s[10:11], vcc, s[10:11]
	v_cndmask_b32_e64 v56, v56, v41, s[4:5]
	v_cmp_eq_u32_e32 vcc, 4, v86
	v_cndmask_b32_e64 v57, v57, v40, s[4:5]
	v_cmp_eq_u32_e64 s[0:1], 5, v86
	v_cndmask_b32_e32 v56, v56, v43, vcc
	ds_read_b64 v[54:55], v53
	v_cndmask_b32_e64 v56, v56, v45, s[0:1]
	v_cndmask_b32_e32 v57, v57, v42, vcc
	v_cmp_eq_u32_e32 vcc, 6, v86
	v_cndmask_b32_e64 v57, v57, v44, s[0:1]
	v_cmp_eq_u32_e64 s[0:1], 7, v86
	v_cndmask_b32_e32 v56, v56, v47, vcc
	v_cmp_eq_u32_e64 s[4:5], 8, v86
	v_cndmask_b32_e64 v56, v56, v49, s[0:1]
	v_cndmask_b32_e32 v58, v57, v46, vcc
	v_cndmask_b32_e64 v57, v56, v51, s[4:5]
	v_cndmask_b32_e64 v56, v58, v48, s[0:1]
	;; [unrolled: 1-line block ×3, first 2 shown]
	v_add_u32_e32 v53, 8, v53
	v_lshl_add_u64 v[86:87], v[86:87], 0, 1
	s_waitcnt lgkmcnt(0)
	v_fmac_f64_e32 v[84:85], v[56:57], v[54:55]
	s_andn2_b64 exec, exec, s[10:11]
	s_cbranch_execnz .LBB72_77
; %bb.78:
	s_or_b64 exec, exec, s[10:11]
.LBB72_79:
	s_or_b64 exec, exec, s[8:9]
.LBB72_80:
	s_or_b64 exec, exec, s[6:7]
	v_mov_b32_e32 v38, 0
	ds_read_b64 v[38:39], v38 offset:16
	s_waitcnt lgkmcnt(0)
	v_mul_f64 v[38:39], v[84:85], v[38:39]
.LBB72_81:
	s_or_b64 exec, exec, s[20:21]
	v_cmp_lt_u32_e64 s[0:1], 1, v0
	ds_write_b64 v90, v[36:37]
	s_waitcnt lgkmcnt(0)
	; wave barrier
	s_and_saveexec_b64 s[20:21], s[0:1]
	s_cbranch_execz .LBB72_97
; %bb.82:
	s_andn2_b64 vcc, exec, s[18:19]
	s_cbranch_vccnz .LBB72_84
; %bb.83:
	v_cmp_eq_u32_e32 vcc, 1, v0
	v_cmp_eq_u32_e64 s[4:5], 2, v0
	v_cmp_eq_u32_e64 s[6:7], 3, v0
	v_cndmask_b32_e32 v84, v35, v37, vcc
	v_cndmask_b32_e64 v84, v84, v39, s[4:5]
	v_cndmask_b32_e64 v84, v84, v41, s[6:7]
	v_cmp_eq_u32_e64 s[8:9], 4, v0
	v_cmp_eq_u32_e64 s[10:11], 5, v0
	;; [unrolled: 1-line block ×3, first 2 shown]
	v_cndmask_b32_e64 v84, v84, v43, s[8:9]
	v_cndmask_b32_e64 v84, v84, v45, s[10:11]
	;; [unrolled: 1-line block ×3, first 2 shown]
	v_cmp_eq_u32_e64 s[14:15], 7, v0
	v_cmp_eq_u32_e64 s[16:17], 8, v0
	ds_read_b64 v[86:87], v90
	v_cndmask_b32_e64 v84, v84, v49, s[14:15]
	v_cndmask_b32_e64 v85, v84, v51, s[16:17]
	v_cndmask_b32_e32 v84, v34, v36, vcc
	v_cndmask_b32_e64 v84, v84, v38, s[4:5]
	v_cndmask_b32_e64 v84, v84, v40, s[6:7]
	;; [unrolled: 1-line block ×7, first 2 shown]
	s_waitcnt lgkmcnt(0)
	v_mul_f64 v[84:85], v[84:85], v[86:87]
	s_cbranch_execz .LBB72_85
	s_branch .LBB72_86
.LBB72_84:
                                        ; implicit-def: $vgpr84_vgpr85
.LBB72_85:
	ds_read_b64 v[84:85], v90
.LBB72_86:
	s_and_saveexec_b64 s[6:7], s[2:3]
	s_cbranch_execz .LBB72_96
; %bb.87:
	v_add_u32_e32 v86, -3, v0
	v_add_u32_e32 v87, -2, v0
	v_cmp_lt_u32_e32 vcc, 6, v86
	v_mov_b32_e32 v88, 2
	s_and_saveexec_b64 s[2:3], vcc
	s_cbranch_execz .LBB72_91
; %bb.88:
	v_and_b32_e32 v86, -8, v87
	v_sub_u32_e32 v86, 0, v86
	s_mov_b64 s[4:5], 9
	s_movk_i32 s10, 0x60
	s_mov_b64 s[8:9], 0
.LBB72_89:                              ; =>This Inner Loop Header: Depth=1
	s_lshl_b32 s11, s4, 1
	s_add_i32 s12, s11, -13
	s_add_i32 s13, s11, -14
	s_set_gpr_idx_on s12, gpr_idx(SRC0)
	v_mov_b32_e32 v109, v34
	s_set_gpr_idx_off
	v_mov_b32_e32 v88, s10
	s_add_i32 s14, s11, -11
	s_set_gpr_idx_on s13, gpr_idx(SRC0)
	v_mov_b32_e32 v108, v34
	s_set_gpr_idx_off
	s_add_i32 s15, s11, -12
	ds_read_b128 v[92:95], v88
	ds_read_b128 v[96:99], v88 offset:16
	ds_read_b128 v[100:103], v88 offset:32
	;; [unrolled: 1-line block ×3, first 2 shown]
	s_set_gpr_idx_on s14, gpr_idx(SRC0)
	v_mov_b32_e32 v111, v34
	s_set_gpr_idx_off
	s_add_i32 s16, s11, -9
	s_set_gpr_idx_on s15, gpr_idx(SRC0)
	v_mov_b32_e32 v110, v34
	s_set_gpr_idx_off
	s_add_i32 s17, s11, -10
	s_set_gpr_idx_on s16, gpr_idx(SRC0)
	v_mov_b32_e32 v113, v34
	s_set_gpr_idx_off
	s_add_i32 s22, s11, -7
	s_set_gpr_idx_on s17, gpr_idx(SRC0)
	v_mov_b32_e32 v112, v34
	s_set_gpr_idx_off
	s_add_i32 s23, s11, -8
	s_waitcnt lgkmcnt(3)
	v_fmac_f64_e32 v[84:85], v[108:109], v[92:93]
	s_set_gpr_idx_on s22, gpr_idx(SRC0)
	v_mov_b32_e32 v93, v34
	s_set_gpr_idx_off
	s_add_i32 s24, s11, -5
	v_fmac_f64_e32 v[84:85], v[110:111], v[94:95]
	s_set_gpr_idx_on s23, gpr_idx(SRC0)
	v_mov_b32_e32 v92, v34
	s_set_gpr_idx_off
	s_add_i32 s25, s11, -6
	s_waitcnt lgkmcnt(2)
	v_fmac_f64_e32 v[84:85], v[112:113], v[96:97]
	s_set_gpr_idx_on s24, gpr_idx(SRC0)
	v_mov_b32_e32 v95, v34
	s_set_gpr_idx_off
	s_add_i32 s26, s11, -3
	v_fmac_f64_e32 v[84:85], v[92:93], v[98:99]
	s_set_gpr_idx_on s25, gpr_idx(SRC0)
	v_mov_b32_e32 v94, v34
	s_set_gpr_idx_off
	s_add_i32 s27, s11, -4
	s_waitcnt lgkmcnt(1)
	v_fmac_f64_e32 v[84:85], v[94:95], v[100:101]
	s_set_gpr_idx_on s26, gpr_idx(SRC0)
	v_mov_b32_e32 v93, v34
	s_set_gpr_idx_off
	s_add_i32 s28, s11, -1
	s_set_gpr_idx_on s27, gpr_idx(SRC0)
	v_mov_b32_e32 v92, v34
	s_set_gpr_idx_off
	s_add_i32 s29, s11, -2
	v_fmac_f64_e32 v[84:85], v[92:93], v[102:103]
	s_set_gpr_idx_on s28, gpr_idx(SRC0)
	v_mov_b32_e32 v93, v34
	s_set_gpr_idx_off
	s_add_u32 s4, s4, 8
	s_set_gpr_idx_on s29, gpr_idx(SRC0)
	v_mov_b32_e32 v92, v34
	s_set_gpr_idx_off
	v_add_u32_e32 v88, s4, v86
	s_waitcnt lgkmcnt(0)
	v_fmac_f64_e32 v[84:85], v[92:93], v[104:105]
	s_set_gpr_idx_on s11, gpr_idx(SRC0)
	v_mov_b32_e32 v93, v35
	s_set_gpr_idx_off
	s_addc_u32 s5, s5, 0
	s_add_i32 s10, s10, 64
	s_add_i32 s12, s4, -7
	v_cmp_eq_u32_e32 vcc, 9, v88
	s_set_gpr_idx_on s11, gpr_idx(SRC0)
	v_mov_b32_e32 v92, v34
	s_set_gpr_idx_off
	v_mov_b32_e32 v88, s12
	s_or_b64 s[8:9], vcc, s[8:9]
	v_fmac_f64_e32 v[84:85], v[92:93], v[106:107]
	s_andn2_b64 exec, exec, s[8:9]
	s_cbranch_execnz .LBB72_89
; %bb.90:
	s_or_b64 exec, exec, s[8:9]
.LBB72_91:
	s_or_b64 exec, exec, s[2:3]
	v_and_b32_e32 v52, 7, v87
	v_cmp_ne_u32_e32 vcc, 0, v52
	s_and_saveexec_b64 s[8:9], vcc
	s_cbranch_execz .LBB72_95
; %bb.92:
	v_mov_b32_e32 v53, 0x50
	v_lshl_add_u32 v53, v88, 3, v53
	v_mov_b32_e32 v89, 0
	s_mov_b64 s[10:11], 0
.LBB72_93:                              ; =>This Inner Loop Header: Depth=1
	v_cmp_eq_u32_e32 vcc, 1, v88
	v_add_u32_e32 v52, -1, v52
	v_cmp_eq_u32_e64 s[2:3], 2, v88
	v_cndmask_b32_e32 v56, v35, v37, vcc
	v_cndmask_b32_e32 v57, v34, v36, vcc
	v_cndmask_b32_e64 v56, v56, v39, s[2:3]
	v_cmp_eq_u32_e32 vcc, 0, v52
	v_cmp_eq_u32_e64 s[4:5], 3, v88
	v_cndmask_b32_e64 v57, v57, v38, s[2:3]
	s_or_b64 s[10:11], vcc, s[10:11]
	v_cndmask_b32_e64 v56, v56, v41, s[4:5]
	v_cmp_eq_u32_e32 vcc, 4, v88
	v_cndmask_b32_e64 v57, v57, v40, s[4:5]
	v_cmp_eq_u32_e64 s[2:3], 5, v88
	v_cndmask_b32_e32 v56, v56, v43, vcc
	ds_read_b64 v[54:55], v53
	v_cndmask_b32_e64 v56, v56, v45, s[2:3]
	v_cndmask_b32_e32 v57, v57, v42, vcc
	v_cmp_eq_u32_e32 vcc, 6, v88
	v_cndmask_b32_e64 v57, v57, v44, s[2:3]
	v_cmp_eq_u32_e64 s[2:3], 7, v88
	v_cndmask_b32_e32 v56, v56, v47, vcc
	v_cmp_eq_u32_e64 s[4:5], 8, v88
	v_cndmask_b32_e64 v56, v56, v49, s[2:3]
	v_cndmask_b32_e32 v58, v57, v46, vcc
	v_cndmask_b32_e64 v57, v56, v51, s[4:5]
	v_cndmask_b32_e64 v56, v58, v48, s[2:3]
	;; [unrolled: 1-line block ×3, first 2 shown]
	v_add_u32_e32 v53, 8, v53
	v_lshl_add_u64 v[88:89], v[88:89], 0, 1
	s_waitcnt lgkmcnt(0)
	v_fmac_f64_e32 v[84:85], v[56:57], v[54:55]
	s_andn2_b64 exec, exec, s[10:11]
	s_cbranch_execnz .LBB72_93
; %bb.94:
	s_or_b64 exec, exec, s[10:11]
.LBB72_95:
	s_or_b64 exec, exec, s[8:9]
.LBB72_96:
	s_or_b64 exec, exec, s[6:7]
	v_mov_b32_e32 v36, 0
	ds_read_b64 v[36:37], v36 offset:8
	s_waitcnt lgkmcnt(0)
	v_mul_f64 v[36:37], v[84:85], v[36:37]
.LBB72_97:
	s_or_b64 exec, exec, s[20:21]
	v_cmp_ne_u32_e32 vcc, 0, v0
	ds_write_b64 v90, v[34:35]
	s_waitcnt lgkmcnt(0)
	; wave barrier
	s_and_saveexec_b64 s[16:17], vcc
	s_cbranch_execz .LBB72_113
; %bb.98:
	s_andn2_b64 vcc, exec, s[18:19]
	s_cbranch_vccnz .LBB72_100
; %bb.99:
	v_cmp_eq_u32_e32 vcc, 1, v0
	v_cmp_eq_u32_e64 s[2:3], 2, v0
	v_cmp_eq_u32_e64 s[4:5], 3, v0
	v_cndmask_b32_e32 v84, v35, v37, vcc
	v_cndmask_b32_e64 v84, v84, v39, s[2:3]
	v_cndmask_b32_e64 v84, v84, v41, s[4:5]
	v_cmp_eq_u32_e64 s[6:7], 4, v0
	v_cmp_eq_u32_e64 s[8:9], 5, v0
	;; [unrolled: 1-line block ×3, first 2 shown]
	v_cndmask_b32_e64 v84, v84, v43, s[6:7]
	v_cndmask_b32_e64 v84, v84, v45, s[8:9]
	;; [unrolled: 1-line block ×3, first 2 shown]
	v_cmp_eq_u32_e64 s[12:13], 7, v0
	v_cmp_eq_u32_e64 s[14:15], 8, v0
	ds_read_b64 v[86:87], v90
	v_cndmask_b32_e64 v84, v84, v49, s[12:13]
	v_cndmask_b32_e64 v85, v84, v51, s[14:15]
	v_cndmask_b32_e32 v84, v34, v36, vcc
	v_cndmask_b32_e64 v84, v84, v38, s[2:3]
	v_cndmask_b32_e64 v84, v84, v40, s[4:5]
	;; [unrolled: 1-line block ×7, first 2 shown]
	s_waitcnt lgkmcnt(0)
	v_mul_f64 v[84:85], v[84:85], v[86:87]
	s_cbranch_execz .LBB72_101
	s_branch .LBB72_102
.LBB72_100:
                                        ; implicit-def: $vgpr84_vgpr85
.LBB72_101:
	ds_read_b64 v[84:85], v90
.LBB72_102:
	s_and_saveexec_b64 s[4:5], s[0:1]
	s_cbranch_execz .LBB72_112
; %bb.103:
	v_add_u32_e32 v86, -2, v0
	v_add_u32_e32 v87, -1, v0
	v_cmp_lt_u32_e32 vcc, 6, v86
	v_mov_b32_e32 v86, 1
	s_and_saveexec_b64 s[0:1], vcc
	s_cbranch_execz .LBB72_107
; %bb.104:
	v_and_b32_e32 v86, -8, v87
	v_sub_u32_e32 v88, 0, v86
	s_mov_b64 s[2:3], 8
	s_movk_i32 s8, 0x58
	s_mov_b64 s[6:7], 0
.LBB72_105:                             ; =>This Inner Loop Header: Depth=1
	s_lshl_b32 s9, s2, 1
	s_add_i32 s10, s9, -13
	v_mov_b32_e32 v89, s8
	s_add_i32 s11, s9, -14
	s_set_gpr_idx_on s10, gpr_idx(SRC0)
	v_mov_b32_e32 v101, v34
	s_set_gpr_idx_off
	s_add_i32 s12, s9, -11
	s_set_gpr_idx_on s11, gpr_idx(SRC0)
	v_mov_b32_e32 v100, v34
	s_set_gpr_idx_off
	ds_read2_b64 v[92:95], v89 offset1:1
	s_add_i32 s13, s9, -12
	s_set_gpr_idx_on s12, gpr_idx(SRC0)
	v_mov_b32_e32 v103, v34
	s_set_gpr_idx_off
	s_add_i32 s14, s9, -9
	s_set_gpr_idx_on s13, gpr_idx(SRC0)
	v_mov_b32_e32 v102, v34
	s_set_gpr_idx_off
	;; [unrolled: 4-line block ×4, first 2 shown]
	ds_read2_b64 v[96:99], v89 offset0:2 offset1:3
	s_add_i32 s21, s9, -8
	s_waitcnt lgkmcnt(1)
	v_fmac_f64_e32 v[84:85], v[100:101], v[92:93]
	s_set_gpr_idx_on s20, gpr_idx(SRC0)
	v_mov_b32_e32 v101, v34
	s_set_gpr_idx_off
	s_add_i32 s22, s9, -5
	v_fmac_f64_e32 v[84:85], v[102:103], v[94:95]
	s_set_gpr_idx_on s21, gpr_idx(SRC0)
	v_mov_b32_e32 v100, v34
	s_set_gpr_idx_off
	s_add_i32 s23, s9, -6
	s_set_gpr_idx_on s22, gpr_idx(SRC0)
	v_mov_b32_e32 v103, v34
	s_set_gpr_idx_off
	s_add_i32 s24, s9, -3
	;; [unrolled: 4-line block ×3, first 2 shown]
	ds_read2_b64 v[92:95], v89 offset0:4 offset1:5
	s_waitcnt lgkmcnt(1)
	v_fmac_f64_e32 v[84:85], v[104:105], v[96:97]
	s_set_gpr_idx_on s24, gpr_idx(SRC0)
	v_mov_b32_e32 v105, v34
	s_set_gpr_idx_off
	s_add_i32 s26, s9, -1
	v_fmac_f64_e32 v[84:85], v[100:101], v[98:99]
	s_set_gpr_idx_on s25, gpr_idx(SRC0)
	v_mov_b32_e32 v104, v34
	s_set_gpr_idx_off
	s_add_i32 s27, s9, -2
	s_set_gpr_idx_on s26, gpr_idx(SRC0)
	v_mov_b32_e32 v101, v34
	s_set_gpr_idx_off
	s_set_gpr_idx_on s27, gpr_idx(SRC0)
	v_mov_b32_e32 v100, v34
	s_set_gpr_idx_off
	ds_read2_b64 v[96:99], v89 offset0:6 offset1:7
	s_add_u32 s2, s2, 8
	s_waitcnt lgkmcnt(1)
	v_fmac_f64_e32 v[84:85], v[102:103], v[92:93]
	s_set_gpr_idx_on s9, gpr_idx(SRC0)
	v_mov_b32_e32 v93, v35
	s_set_gpr_idx_off
	v_add_u32_e32 v86, s2, v88
	v_fmac_f64_e32 v[84:85], v[104:105], v[94:95]
	s_set_gpr_idx_on s9, gpr_idx(SRC0)
	v_mov_b32_e32 v92, v34
	s_set_gpr_idx_off
	s_addc_u32 s3, s3, 0
	s_add_i32 s8, s8, 64
	s_add_i32 s10, s2, -7
	v_cmp_eq_u32_e32 vcc, 8, v86
	s_waitcnt lgkmcnt(0)
	v_fmac_f64_e32 v[84:85], v[100:101], v[96:97]
	v_mov_b32_e32 v86, s10
	s_or_b64 s[6:7], vcc, s[6:7]
	v_fmac_f64_e32 v[84:85], v[92:93], v[98:99]
	s_andn2_b64 exec, exec, s[6:7]
	s_cbranch_execnz .LBB72_105
; %bb.106:
	s_or_b64 exec, exec, s[6:7]
.LBB72_107:
	s_or_b64 exec, exec, s[0:1]
	v_and_b32_e32 v52, 7, v87
	v_cmp_ne_u32_e32 vcc, 0, v52
	s_and_saveexec_b64 s[6:7], vcc
	s_cbranch_execz .LBB72_111
; %bb.108:
	v_mov_b32_e32 v53, 0x50
	v_lshl_add_u32 v53, v86, 3, v53
	v_mov_b32_e32 v87, 0
	s_mov_b64 s[8:9], 0
.LBB72_109:                             ; =>This Inner Loop Header: Depth=1
	v_cmp_eq_u32_e32 vcc, 1, v86
	v_add_u32_e32 v52, -1, v52
	v_cmp_eq_u32_e64 s[0:1], 2, v86
	v_cndmask_b32_e32 v56, v35, v37, vcc
	v_cndmask_b32_e32 v57, v34, v36, vcc
	v_cndmask_b32_e64 v56, v56, v39, s[0:1]
	v_cmp_eq_u32_e32 vcc, 0, v52
	v_cmp_eq_u32_e64 s[2:3], 3, v86
	v_cndmask_b32_e64 v57, v57, v38, s[0:1]
	s_or_b64 s[8:9], vcc, s[8:9]
	v_cndmask_b32_e64 v56, v56, v41, s[2:3]
	v_cmp_eq_u32_e32 vcc, 4, v86
	v_cndmask_b32_e64 v57, v57, v40, s[2:3]
	v_cmp_eq_u32_e64 s[0:1], 5, v86
	v_cndmask_b32_e32 v56, v56, v43, vcc
	ds_read_b64 v[54:55], v53
	v_cndmask_b32_e64 v56, v56, v45, s[0:1]
	v_cndmask_b32_e32 v57, v57, v42, vcc
	v_cmp_eq_u32_e32 vcc, 6, v86
	v_cndmask_b32_e64 v57, v57, v44, s[0:1]
	v_cmp_eq_u32_e64 s[0:1], 7, v86
	v_cndmask_b32_e32 v56, v56, v47, vcc
	v_cmp_eq_u32_e64 s[2:3], 8, v86
	v_cndmask_b32_e64 v56, v56, v49, s[0:1]
	v_cndmask_b32_e32 v58, v57, v46, vcc
	v_cndmask_b32_e64 v57, v56, v51, s[2:3]
	v_cndmask_b32_e64 v56, v58, v48, s[0:1]
	;; [unrolled: 1-line block ×3, first 2 shown]
	v_add_u32_e32 v53, 8, v53
	v_lshl_add_u64 v[86:87], v[86:87], 0, 1
	s_waitcnt lgkmcnt(0)
	v_fmac_f64_e32 v[84:85], v[56:57], v[54:55]
	s_andn2_b64 exec, exec, s[8:9]
	s_cbranch_execnz .LBB72_109
; %bb.110:
	s_or_b64 exec, exec, s[8:9]
.LBB72_111:
	s_or_b64 exec, exec, s[6:7]
.LBB72_112:
	s_or_b64 exec, exec, s[4:5]
	v_mov_b32_e32 v34, 0
	ds_read_b64 v[34:35], v34
	s_waitcnt lgkmcnt(0)
	v_mul_f64 v[34:35], v[84:85], v[34:35]
.LBB72_113:
	s_or_b64 exec, exec, s[16:17]
	s_branch .LBB72_185
.LBB72_114:
	v_cmp_eq_u32_e64 s[2:3], 0, v0
	s_waitcnt vmcnt(0) lgkmcnt(0)
	ds_write_b64 v90, v[4:5]
	s_waitcnt lgkmcnt(0)
	; wave barrier
	s_and_saveexec_b64 s[16:17], s[2:3]
	s_cbranch_execz .LBB72_120
; %bb.115:
	s_and_b64 vcc, exec, s[18:19]
	s_cbranch_vccz .LBB72_117
; %bb.116:
	v_cmp_eq_u32_e32 vcc, 1, v0
	v_cmp_eq_u32_e64 s[0:1], 2, v0
	v_cmp_eq_u32_e64 s[4:5], 3, v0
	v_cndmask_b32_e32 v5, v3, v5, vcc
	v_cndmask_b32_e32 v4, v2, v4, vcc
	v_cndmask_b32_e64 v5, v5, v7, s[0:1]
	v_cndmask_b32_e64 v4, v4, v6, s[0:1]
	v_cndmask_b32_e64 v5, v5, v9, s[4:5]
	v_cmp_eq_u32_e64 s[6:7], 4, v0
	v_cndmask_b32_e64 v4, v4, v8, s[4:5]
	v_cmp_eq_u32_e64 s[8:9], 5, v0
	v_cndmask_b32_e64 v5, v5, v11, s[6:7]
	v_cndmask_b32_e64 v4, v4, v10, s[6:7]
	ds_read_b64 v[20:21], v90
	v_cndmask_b32_e64 v5, v5, v13, s[8:9]
	v_cmp_eq_u32_e64 s[10:11], 6, v0
	v_cndmask_b32_e64 v4, v4, v12, s[8:9]
	v_cmp_eq_u32_e64 s[12:13], 7, v0
	v_cndmask_b32_e64 v5, v5, v15, s[10:11]
	v_cndmask_b32_e64 v4, v4, v14, s[10:11]
	;; [unrolled: 1-line block ×3, first 2 shown]
	v_cmp_eq_u32_e64 s[14:15], 8, v0
	v_cndmask_b32_e64 v4, v4, v16, s[12:13]
	s_nop 0
	v_cndmask_b32_e64 v5, v5, v19, s[14:15]
	v_cndmask_b32_e64 v4, v4, v18, s[14:15]
	s_waitcnt lgkmcnt(0)
	v_mul_f64 v[4:5], v[4:5], v[20:21]
	s_cbranch_execz .LBB72_118
	s_branch .LBB72_119
.LBB72_117:
                                        ; implicit-def: $vgpr4_vgpr5
.LBB72_118:
	ds_read_b64 v[4:5], v90
.LBB72_119:
	v_mov_b32_e32 v20, 0
	ds_read_b64 v[20:21], v20 offset:8
	s_waitcnt lgkmcnt(0)
	v_mul_f64 v[4:5], v[4:5], v[20:21]
.LBB72_120:
	s_or_b64 exec, exec, s[16:17]
	v_cndmask_b32_e64 v34, 0, 1, s[18:19]
	v_cmp_gt_u32_e32 vcc, 2, v0
	v_cmp_ne_u32_e64 s[0:1], 1, v34
	ds_write_b64 v90, v[6:7]
	s_waitcnt lgkmcnt(0)
	; wave barrier
	s_and_saveexec_b64 s[18:19], vcc
	s_cbranch_execz .LBB72_126
; %bb.121:
	s_and_b64 vcc, exec, s[0:1]
	s_cbranch_vccnz .LBB72_123
; %bb.122:
	v_cmp_eq_u32_e32 vcc, 1, v0
	v_cmp_eq_u32_e64 s[4:5], 2, v0
	v_cmp_eq_u32_e64 s[6:7], 3, v0
	v_cndmask_b32_e32 v20, v3, v5, vcc
	v_cndmask_b32_e64 v7, v20, v7, s[4:5]
	v_cndmask_b32_e32 v20, v2, v4, vcc
	v_cndmask_b32_e64 v6, v20, v6, s[4:5]
	v_cndmask_b32_e64 v7, v7, v9, s[6:7]
	v_cmp_eq_u32_e64 s[8:9], 4, v0
	v_cndmask_b32_e64 v6, v6, v8, s[6:7]
	v_cmp_eq_u32_e64 s[10:11], 5, v0
	v_cndmask_b32_e64 v7, v7, v11, s[8:9]
	v_cndmask_b32_e64 v6, v6, v10, s[8:9]
	ds_read_b64 v[20:21], v90
	v_cndmask_b32_e64 v7, v7, v13, s[10:11]
	v_cmp_eq_u32_e64 s[12:13], 6, v0
	v_cndmask_b32_e64 v6, v6, v12, s[10:11]
	v_cmp_eq_u32_e64 s[14:15], 7, v0
	v_cndmask_b32_e64 v7, v7, v15, s[12:13]
	v_cndmask_b32_e64 v6, v6, v14, s[12:13]
	;; [unrolled: 1-line block ×3, first 2 shown]
	v_cmp_eq_u32_e64 s[16:17], 8, v0
	v_cndmask_b32_e64 v6, v6, v16, s[14:15]
	s_nop 0
	v_cndmask_b32_e64 v7, v7, v19, s[16:17]
	v_cndmask_b32_e64 v6, v6, v18, s[16:17]
	s_waitcnt lgkmcnt(0)
	v_mul_f64 v[6:7], v[6:7], v[20:21]
	s_cbranch_execz .LBB72_124
	s_branch .LBB72_125
.LBB72_123:
                                        ; implicit-def: $vgpr6_vgpr7
.LBB72_124:
	ds_read_b64 v[6:7], v90
.LBB72_125:
	v_mov_b32_e32 v20, 0
	ds_read2_b64 v[20:23], v20 offset0:2 offset1:11
	s_waitcnt lgkmcnt(0)
	v_fma_f64 v[22:23], v[4:5], v[22:23], v[6:7]
	v_cndmask_b32_e64 v7, v7, v23, s[2:3]
	v_cndmask_b32_e64 v6, v6, v22, s[2:3]
	v_mul_f64 v[6:7], v[6:7], v[20:21]
.LBB72_126:
	s_or_b64 exec, exec, s[18:19]
	v_cmp_gt_u32_e32 vcc, 3, v0
	ds_write_b64 v90, v[8:9]
	s_waitcnt lgkmcnt(0)
	; wave barrier
	s_and_saveexec_b64 s[18:19], vcc
	s_cbranch_execz .LBB72_134
; %bb.127:
	s_and_b64 vcc, exec, s[0:1]
	s_cbranch_vccnz .LBB72_129
; %bb.128:
	v_cmp_eq_u32_e32 vcc, 1, v0
	v_cmp_eq_u32_e64 s[4:5], 2, v0
	v_cmp_eq_u32_e64 s[6:7], 3, v0
	v_cndmask_b32_e32 v20, v3, v5, vcc
	v_cndmask_b32_e64 v20, v20, v7, s[4:5]
	v_cndmask_b32_e64 v20, v20, v9, s[6:7]
	v_cmp_eq_u32_e64 s[8:9], 4, v0
	v_cmp_eq_u32_e64 s[10:11], 5, v0
	;; [unrolled: 1-line block ×3, first 2 shown]
	v_cndmask_b32_e64 v20, v20, v11, s[8:9]
	v_cndmask_b32_e64 v20, v20, v13, s[10:11]
	;; [unrolled: 1-line block ×3, first 2 shown]
	v_cmp_eq_u32_e64 s[14:15], 7, v0
	v_cmp_eq_u32_e64 s[16:17], 8, v0
	ds_read_b64 v[22:23], v90
	v_cndmask_b32_e64 v20, v20, v17, s[14:15]
	v_cndmask_b32_e64 v21, v20, v19, s[16:17]
	v_cndmask_b32_e32 v20, v2, v4, vcc
	v_cndmask_b32_e64 v20, v20, v6, s[4:5]
	v_cndmask_b32_e64 v20, v20, v8, s[6:7]
	;; [unrolled: 1-line block ×7, first 2 shown]
	s_waitcnt lgkmcnt(0)
	v_mul_f64 v[20:21], v[20:21], v[22:23]
	s_cbranch_execz .LBB72_130
	s_branch .LBB72_131
.LBB72_129:
                                        ; implicit-def: $vgpr20_vgpr21
.LBB72_130:
	ds_read_b64 v[20:21], v90
.LBB72_131:
	v_cmp_ne_u32_e32 vcc, 2, v0
	s_and_saveexec_b64 s[20:21], vcc
	s_cbranch_execz .LBB72_133
; %bb.132:
	v_add_u32_e32 v22, 1, v0
	v_cmp_eq_u32_e32 vcc, 1, v22
	v_cmp_eq_u32_e64 s[4:5], 2, v22
	v_cmp_eq_u32_e64 s[6:7], 3, v22
	v_cndmask_b32_e32 v23, v3, v5, vcc
	v_cmp_eq_u32_e64 s[8:9], 4, v22
	v_cmp_eq_u32_e64 s[10:11], 5, v22
	;; [unrolled: 1-line block ×5, first 2 shown]
	v_cndmask_b32_e32 v22, v2, v4, vcc
	v_cndmask_b32_e64 v23, v23, v7, s[4:5]
	v_cndmask_b32_e64 v22, v22, v6, s[4:5]
	;; [unrolled: 1-line block ×6, first 2 shown]
	v_mov_b32_e32 v24, 0
	v_cndmask_b32_e64 v9, v9, v13, s[10:11]
	v_cndmask_b32_e64 v8, v8, v12, s[10:11]
	ds_read_b64 v[22:23], v90 offset:8
	ds_read_b64 v[24:25], v24 offset:96
	v_cndmask_b32_e64 v9, v9, v15, s[12:13]
	v_cndmask_b32_e64 v8, v8, v14, s[12:13]
	;; [unrolled: 1-line block ×6, first 2 shown]
	s_waitcnt lgkmcnt(1)
	v_fmac_f64_e32 v[20:21], v[8:9], v[22:23]
	s_waitcnt lgkmcnt(0)
	v_fma_f64 v[8:9], v[6:7], v[24:25], v[20:21]
	v_cndmask_b32_e64 v21, v21, v9, s[2:3]
	v_cndmask_b32_e64 v20, v20, v8, s[2:3]
.LBB72_133:
	s_or_b64 exec, exec, s[20:21]
	v_mov_b32_e32 v8, 0
	ds_read_b64 v[8:9], v8 offset:24
	s_waitcnt lgkmcnt(0)
	v_mul_f64 v[8:9], v[20:21], v[8:9]
.LBB72_134:
	s_or_b64 exec, exec, s[18:19]
	v_cmp_gt_u32_e32 vcc, 4, v0
	ds_write_b64 v90, v[10:11]
	s_waitcnt lgkmcnt(0)
	; wave barrier
	s_and_saveexec_b64 s[16:17], vcc
	s_cbranch_execz .LBB72_144
; %bb.135:
	s_and_b64 vcc, exec, s[0:1]
	s_cbranch_vccnz .LBB72_137
; %bb.136:
	v_cmp_eq_u32_e32 vcc, 1, v0
	v_cmp_eq_u32_e64 s[2:3], 2, v0
	v_cmp_eq_u32_e64 s[4:5], 3, v0
	v_cndmask_b32_e32 v20, v3, v5, vcc
	v_cndmask_b32_e64 v20, v20, v7, s[2:3]
	v_cndmask_b32_e64 v20, v20, v9, s[4:5]
	v_cmp_eq_u32_e64 s[6:7], 4, v0
	v_cmp_eq_u32_e64 s[8:9], 5, v0
	;; [unrolled: 1-line block ×3, first 2 shown]
	v_cndmask_b32_e64 v20, v20, v11, s[6:7]
	v_cndmask_b32_e64 v20, v20, v13, s[8:9]
	;; [unrolled: 1-line block ×3, first 2 shown]
	v_cmp_eq_u32_e64 s[12:13], 7, v0
	v_cmp_eq_u32_e64 s[14:15], 8, v0
	ds_read_b64 v[22:23], v90
	v_cndmask_b32_e64 v20, v20, v17, s[12:13]
	v_cndmask_b32_e64 v21, v20, v19, s[14:15]
	v_cndmask_b32_e32 v20, v2, v4, vcc
	v_cndmask_b32_e64 v20, v20, v6, s[2:3]
	v_cndmask_b32_e64 v20, v20, v8, s[4:5]
	;; [unrolled: 1-line block ×7, first 2 shown]
	s_waitcnt lgkmcnt(0)
	v_mul_f64 v[20:21], v[20:21], v[22:23]
	s_cbranch_execz .LBB72_138
	s_branch .LBB72_139
.LBB72_137:
                                        ; implicit-def: $vgpr20_vgpr21
.LBB72_138:
	ds_read_b64 v[20:21], v90
.LBB72_139:
	v_cmp_ne_u32_e32 vcc, 3, v0
	s_and_saveexec_b64 s[6:7], vcc
	s_cbranch_execz .LBB72_143
; %bb.140:
	v_mov_b32_e32 v22, 0x58
	v_lshl_add_u32 v24, v0, 3, v22
	s_mov_b64 s[8:9], 0
	v_mov_b64_e32 v[22:23], v[0:1]
.LBB72_141:                             ; =>This Inner Loop Header: Depth=1
	v_lshl_add_u64 v[22:23], v[22:23], 0, 1
	v_cmp_eq_u32_e32 vcc, 1, v22
	v_cmp_eq_u32_e64 s[4:5], 2, v22
	v_cmp_lt_u32_e64 s[2:3], 2, v22
	v_cndmask_b32_e32 v25, v3, v5, vcc
	v_cndmask_b32_e64 v25, v25, v7, s[4:5]
	v_cndmask_b32_e32 v28, v2, v4, vcc
	v_cmp_eq_u32_e32 vcc, 3, v22
	s_or_b64 s[8:9], s[2:3], s[8:9]
	v_cndmask_b32_e64 v28, v28, v6, s[4:5]
	v_cndmask_b32_e32 v25, v25, v9, vcc
	v_cmp_eq_u32_e64 s[2:3], 4, v22
	v_cndmask_b32_e32 v28, v28, v8, vcc
	v_cmp_eq_u32_e32 vcc, 5, v22
	v_cndmask_b32_e64 v25, v25, v11, s[2:3]
	ds_read_b64 v[26:27], v24
	v_cndmask_b32_e32 v25, v25, v13, vcc
	v_cndmask_b32_e64 v28, v28, v10, s[2:3]
	v_cmp_eq_u32_e64 s[2:3], 6, v22
	v_cndmask_b32_e32 v28, v28, v12, vcc
	v_cmp_eq_u32_e32 vcc, 7, v22
	v_cndmask_b32_e64 v25, v25, v15, s[2:3]
	v_cndmask_b32_e64 v28, v28, v14, s[2:3]
	v_cndmask_b32_e32 v25, v25, v17, vcc
	v_cmp_eq_u32_e64 s[2:3], 8, v22
	v_add_u32_e32 v24, 8, v24
	s_nop 0
	v_cndmask_b32_e64 v29, v25, v19, s[2:3]
	v_cndmask_b32_e32 v25, v28, v16, vcc
	v_cndmask_b32_e64 v28, v25, v18, s[2:3]
	s_waitcnt lgkmcnt(0)
	v_fmac_f64_e32 v[20:21], v[28:29], v[26:27]
	s_andn2_b64 exec, exec, s[8:9]
	s_cbranch_execnz .LBB72_141
; %bb.142:
	s_or_b64 exec, exec, s[8:9]
.LBB72_143:
	s_or_b64 exec, exec, s[6:7]
	v_mov_b32_e32 v10, 0
	ds_read_b64 v[10:11], v10 offset:32
	s_waitcnt lgkmcnt(0)
	v_mul_f64 v[10:11], v[20:21], v[10:11]
.LBB72_144:
	s_or_b64 exec, exec, s[16:17]
	v_cmp_gt_u32_e32 vcc, 5, v0
	ds_write_b64 v90, v[12:13]
	s_waitcnt lgkmcnt(0)
	; wave barrier
	s_and_saveexec_b64 s[16:17], vcc
	s_cbranch_execz .LBB72_154
; %bb.145:
	s_and_b64 vcc, exec, s[0:1]
	s_cbranch_vccnz .LBB72_147
; %bb.146:
	v_cmp_eq_u32_e32 vcc, 1, v0
	v_cmp_eq_u32_e64 s[2:3], 2, v0
	v_cmp_eq_u32_e64 s[4:5], 3, v0
	v_cndmask_b32_e32 v20, v3, v5, vcc
	v_cndmask_b32_e64 v20, v20, v7, s[2:3]
	v_cndmask_b32_e64 v20, v20, v9, s[4:5]
	v_cmp_eq_u32_e64 s[6:7], 4, v0
	v_cmp_eq_u32_e64 s[8:9], 5, v0
	;; [unrolled: 1-line block ×3, first 2 shown]
	v_cndmask_b32_e64 v20, v20, v11, s[6:7]
	v_cndmask_b32_e64 v20, v20, v13, s[8:9]
	;; [unrolled: 1-line block ×3, first 2 shown]
	v_cmp_eq_u32_e64 s[12:13], 7, v0
	v_cmp_eq_u32_e64 s[14:15], 8, v0
	ds_read_b64 v[22:23], v90
	v_cndmask_b32_e64 v20, v20, v17, s[12:13]
	v_cndmask_b32_e64 v21, v20, v19, s[14:15]
	v_cndmask_b32_e32 v20, v2, v4, vcc
	v_cndmask_b32_e64 v20, v20, v6, s[2:3]
	v_cndmask_b32_e64 v20, v20, v8, s[4:5]
	;; [unrolled: 1-line block ×7, first 2 shown]
	s_waitcnt lgkmcnt(0)
	v_mul_f64 v[20:21], v[20:21], v[22:23]
	s_cbranch_execz .LBB72_148
	s_branch .LBB72_149
.LBB72_147:
                                        ; implicit-def: $vgpr20_vgpr21
.LBB72_148:
	ds_read_b64 v[20:21], v90
.LBB72_149:
	v_cmp_ne_u32_e32 vcc, 4, v0
	s_and_saveexec_b64 s[6:7], vcc
	s_cbranch_execz .LBB72_153
; %bb.150:
	v_mov_b32_e32 v22, 0x58
	v_lshl_add_u32 v24, v0, 3, v22
	s_mov_b64 s[8:9], 0
	v_mov_b64_e32 v[22:23], v[0:1]
.LBB72_151:                             ; =>This Inner Loop Header: Depth=1
	v_lshl_add_u64 v[22:23], v[22:23], 0, 1
	v_cmp_eq_u32_e32 vcc, 1, v22
	v_cmp_eq_u32_e64 s[4:5], 2, v22
	v_cmp_lt_u32_e64 s[2:3], 3, v22
	v_cndmask_b32_e32 v25, v3, v5, vcc
	v_cndmask_b32_e64 v25, v25, v7, s[4:5]
	v_cndmask_b32_e32 v28, v2, v4, vcc
	v_cmp_eq_u32_e32 vcc, 3, v22
	s_or_b64 s[8:9], s[2:3], s[8:9]
	v_cndmask_b32_e64 v28, v28, v6, s[4:5]
	v_cndmask_b32_e32 v25, v25, v9, vcc
	v_cmp_eq_u32_e64 s[2:3], 4, v22
	v_cndmask_b32_e32 v28, v28, v8, vcc
	v_cmp_eq_u32_e32 vcc, 5, v22
	v_cndmask_b32_e64 v25, v25, v11, s[2:3]
	ds_read_b64 v[26:27], v24
	v_cndmask_b32_e32 v25, v25, v13, vcc
	v_cndmask_b32_e64 v28, v28, v10, s[2:3]
	v_cmp_eq_u32_e64 s[2:3], 6, v22
	v_cndmask_b32_e32 v28, v28, v12, vcc
	v_cmp_eq_u32_e32 vcc, 7, v22
	v_cndmask_b32_e64 v25, v25, v15, s[2:3]
	v_cndmask_b32_e64 v28, v28, v14, s[2:3]
	v_cndmask_b32_e32 v25, v25, v17, vcc
	v_cmp_eq_u32_e64 s[2:3], 8, v22
	v_add_u32_e32 v24, 8, v24
	s_nop 0
	v_cndmask_b32_e64 v29, v25, v19, s[2:3]
	v_cndmask_b32_e32 v25, v28, v16, vcc
	v_cndmask_b32_e64 v28, v25, v18, s[2:3]
	s_waitcnt lgkmcnt(0)
	v_fmac_f64_e32 v[20:21], v[28:29], v[26:27]
	s_andn2_b64 exec, exec, s[8:9]
	s_cbranch_execnz .LBB72_151
; %bb.152:
	s_or_b64 exec, exec, s[8:9]
.LBB72_153:
	s_or_b64 exec, exec, s[6:7]
	v_mov_b32_e32 v12, 0
	ds_read_b64 v[12:13], v12 offset:40
	s_waitcnt lgkmcnt(0)
	v_mul_f64 v[12:13], v[20:21], v[12:13]
.LBB72_154:
	s_or_b64 exec, exec, s[16:17]
	v_cmp_gt_u32_e32 vcc, 6, v0
	ds_write_b64 v90, v[14:15]
	s_waitcnt lgkmcnt(0)
	; wave barrier
	s_and_saveexec_b64 s[16:17], vcc
	s_cbranch_execz .LBB72_164
; %bb.155:
	s_and_b64 vcc, exec, s[0:1]
	s_cbranch_vccnz .LBB72_157
; %bb.156:
	v_cmp_eq_u32_e32 vcc, 1, v0
	v_cmp_eq_u32_e64 s[2:3], 2, v0
	v_cmp_eq_u32_e64 s[4:5], 3, v0
	v_cndmask_b32_e32 v20, v3, v5, vcc
	v_cndmask_b32_e64 v20, v20, v7, s[2:3]
	v_cndmask_b32_e64 v20, v20, v9, s[4:5]
	v_cmp_eq_u32_e64 s[6:7], 4, v0
	v_cmp_eq_u32_e64 s[8:9], 5, v0
	;; [unrolled: 1-line block ×3, first 2 shown]
	v_cndmask_b32_e64 v20, v20, v11, s[6:7]
	v_cndmask_b32_e64 v20, v20, v13, s[8:9]
	;; [unrolled: 1-line block ×3, first 2 shown]
	v_cmp_eq_u32_e64 s[12:13], 7, v0
	v_cmp_eq_u32_e64 s[14:15], 8, v0
	ds_read_b64 v[22:23], v90
	v_cndmask_b32_e64 v20, v20, v17, s[12:13]
	v_cndmask_b32_e64 v21, v20, v19, s[14:15]
	v_cndmask_b32_e32 v20, v2, v4, vcc
	v_cndmask_b32_e64 v20, v20, v6, s[2:3]
	v_cndmask_b32_e64 v20, v20, v8, s[4:5]
	v_cndmask_b32_e64 v20, v20, v10, s[6:7]
	v_cndmask_b32_e64 v20, v20, v12, s[8:9]
	v_cndmask_b32_e64 v20, v20, v14, s[10:11]
	v_cndmask_b32_e64 v20, v20, v16, s[12:13]
	v_cndmask_b32_e64 v20, v20, v18, s[14:15]
	s_waitcnt lgkmcnt(0)
	v_mul_f64 v[20:21], v[20:21], v[22:23]
	s_cbranch_execz .LBB72_158
	s_branch .LBB72_159
.LBB72_157:
                                        ; implicit-def: $vgpr20_vgpr21
.LBB72_158:
	ds_read_b64 v[20:21], v90
.LBB72_159:
	v_cmp_ne_u32_e32 vcc, 5, v0
	s_and_saveexec_b64 s[6:7], vcc
	s_cbranch_execz .LBB72_163
; %bb.160:
	v_mov_b32_e32 v22, 0x58
	v_lshl_add_u32 v24, v0, 3, v22
	s_mov_b64 s[8:9], 0
	v_mov_b64_e32 v[22:23], v[0:1]
.LBB72_161:                             ; =>This Inner Loop Header: Depth=1
	v_lshl_add_u64 v[22:23], v[22:23], 0, 1
	v_cmp_eq_u32_e32 vcc, 1, v22
	v_cmp_eq_u32_e64 s[4:5], 2, v22
	v_cmp_lt_u32_e64 s[2:3], 4, v22
	v_cndmask_b32_e32 v25, v3, v5, vcc
	v_cndmask_b32_e64 v25, v25, v7, s[4:5]
	v_cndmask_b32_e32 v28, v2, v4, vcc
	v_cmp_eq_u32_e32 vcc, 3, v22
	s_or_b64 s[8:9], s[2:3], s[8:9]
	v_cndmask_b32_e64 v28, v28, v6, s[4:5]
	v_cndmask_b32_e32 v25, v25, v9, vcc
	v_cmp_eq_u32_e64 s[2:3], 4, v22
	v_cndmask_b32_e32 v28, v28, v8, vcc
	v_cmp_eq_u32_e32 vcc, 5, v22
	v_cndmask_b32_e64 v25, v25, v11, s[2:3]
	ds_read_b64 v[26:27], v24
	v_cndmask_b32_e32 v25, v25, v13, vcc
	v_cndmask_b32_e64 v28, v28, v10, s[2:3]
	v_cmp_eq_u32_e64 s[2:3], 6, v22
	v_cndmask_b32_e32 v28, v28, v12, vcc
	v_cmp_eq_u32_e32 vcc, 7, v22
	v_cndmask_b32_e64 v25, v25, v15, s[2:3]
	v_cndmask_b32_e64 v28, v28, v14, s[2:3]
	v_cndmask_b32_e32 v25, v25, v17, vcc
	v_cmp_eq_u32_e64 s[2:3], 8, v22
	v_add_u32_e32 v24, 8, v24
	s_nop 0
	v_cndmask_b32_e64 v29, v25, v19, s[2:3]
	v_cndmask_b32_e32 v25, v28, v16, vcc
	v_cndmask_b32_e64 v28, v25, v18, s[2:3]
	s_waitcnt lgkmcnt(0)
	v_fmac_f64_e32 v[20:21], v[28:29], v[26:27]
	s_andn2_b64 exec, exec, s[8:9]
	s_cbranch_execnz .LBB72_161
; %bb.162:
	s_or_b64 exec, exec, s[8:9]
.LBB72_163:
	s_or_b64 exec, exec, s[6:7]
	v_mov_b32_e32 v14, 0
	ds_read_b64 v[14:15], v14 offset:48
	s_waitcnt lgkmcnt(0)
	v_mul_f64 v[14:15], v[20:21], v[14:15]
.LBB72_164:
	s_or_b64 exec, exec, s[16:17]
	v_cmp_gt_u32_e64 s[2:3], 7, v0
	ds_write_b64 v90, v[16:17]
	s_waitcnt lgkmcnt(0)
	; wave barrier
	s_and_saveexec_b64 s[18:19], s[2:3]
	s_cbranch_execz .LBB72_174
; %bb.165:
	s_and_b64 vcc, exec, s[0:1]
	s_cbranch_vccnz .LBB72_167
; %bb.166:
	v_cmp_eq_u32_e32 vcc, 1, v0
	v_cmp_eq_u32_e64 s[4:5], 2, v0
	v_cmp_eq_u32_e64 s[6:7], 3, v0
	v_cndmask_b32_e32 v20, v3, v5, vcc
	v_cndmask_b32_e64 v20, v20, v7, s[4:5]
	v_cndmask_b32_e64 v20, v20, v9, s[6:7]
	v_cmp_eq_u32_e64 s[8:9], 4, v0
	v_cmp_eq_u32_e64 s[10:11], 5, v0
	;; [unrolled: 1-line block ×3, first 2 shown]
	v_cndmask_b32_e64 v20, v20, v11, s[8:9]
	v_cndmask_b32_e64 v20, v20, v13, s[10:11]
	;; [unrolled: 1-line block ×3, first 2 shown]
	v_cmp_eq_u32_e64 s[14:15], 7, v0
	v_cmp_eq_u32_e64 s[16:17], 8, v0
	ds_read_b64 v[22:23], v90
	v_cndmask_b32_e64 v20, v20, v17, s[14:15]
	v_cndmask_b32_e64 v21, v20, v19, s[16:17]
	v_cndmask_b32_e32 v20, v2, v4, vcc
	v_cndmask_b32_e64 v20, v20, v6, s[4:5]
	v_cndmask_b32_e64 v20, v20, v8, s[6:7]
	;; [unrolled: 1-line block ×7, first 2 shown]
	s_waitcnt lgkmcnt(0)
	v_mul_f64 v[20:21], v[20:21], v[22:23]
	s_cbranch_execz .LBB72_168
	s_branch .LBB72_169
.LBB72_167:
                                        ; implicit-def: $vgpr20_vgpr21
.LBB72_168:
	ds_read_b64 v[20:21], v90
.LBB72_169:
	v_cmp_ne_u32_e32 vcc, 6, v0
	s_and_saveexec_b64 s[8:9], vcc
	s_cbranch_execz .LBB72_173
; %bb.170:
	v_mov_b32_e32 v22, 0x58
	v_lshl_add_u32 v24, v0, 3, v22
	s_mov_b64 s[10:11], 0
	v_mov_b64_e32 v[22:23], v[0:1]
.LBB72_171:                             ; =>This Inner Loop Header: Depth=1
	v_lshl_add_u64 v[22:23], v[22:23], 0, 1
	v_cmp_eq_u32_e32 vcc, 1, v22
	v_cmp_eq_u32_e64 s[6:7], 2, v22
	v_cmp_lt_u32_e64 s[4:5], 5, v22
	v_cndmask_b32_e32 v25, v3, v5, vcc
	v_cndmask_b32_e64 v25, v25, v7, s[6:7]
	v_cndmask_b32_e32 v28, v2, v4, vcc
	v_cmp_eq_u32_e32 vcc, 3, v22
	s_or_b64 s[10:11], s[4:5], s[10:11]
	v_cndmask_b32_e64 v28, v28, v6, s[6:7]
	v_cndmask_b32_e32 v25, v25, v9, vcc
	v_cmp_eq_u32_e64 s[4:5], 4, v22
	v_cndmask_b32_e32 v28, v28, v8, vcc
	v_cmp_eq_u32_e32 vcc, 5, v22
	v_cndmask_b32_e64 v25, v25, v11, s[4:5]
	ds_read_b64 v[26:27], v24
	v_cndmask_b32_e32 v25, v25, v13, vcc
	v_cndmask_b32_e64 v28, v28, v10, s[4:5]
	v_cmp_eq_u32_e64 s[4:5], 6, v22
	v_cndmask_b32_e32 v28, v28, v12, vcc
	v_cmp_eq_u32_e32 vcc, 7, v22
	v_cndmask_b32_e64 v25, v25, v15, s[4:5]
	v_cndmask_b32_e64 v28, v28, v14, s[4:5]
	v_cndmask_b32_e32 v25, v25, v17, vcc
	v_cmp_eq_u32_e64 s[4:5], 8, v22
	v_add_u32_e32 v24, 8, v24
	s_nop 0
	v_cndmask_b32_e64 v29, v25, v19, s[4:5]
	v_cndmask_b32_e32 v25, v28, v16, vcc
	v_cndmask_b32_e64 v28, v25, v18, s[4:5]
	s_waitcnt lgkmcnt(0)
	v_fmac_f64_e32 v[20:21], v[28:29], v[26:27]
	s_andn2_b64 exec, exec, s[10:11]
	s_cbranch_execnz .LBB72_171
; %bb.172:
	s_or_b64 exec, exec, s[10:11]
.LBB72_173:
	s_or_b64 exec, exec, s[8:9]
	v_mov_b32_e32 v16, 0
	ds_read_b64 v[16:17], v16 offset:56
	s_waitcnt lgkmcnt(0)
	v_mul_f64 v[16:17], v[20:21], v[16:17]
.LBB72_174:
	s_or_b64 exec, exec, s[18:19]
	v_cmp_ne_u32_e32 vcc, 8, v0
	ds_write_b64 v90, v[18:19]
	s_waitcnt lgkmcnt(0)
	; wave barrier
	s_and_saveexec_b64 s[16:17], vcc
	s_cbranch_execz .LBB72_184
; %bb.175:
	s_and_b64 vcc, exec, s[0:1]
	s_cbranch_vccnz .LBB72_177
; %bb.176:
	v_cmp_eq_u32_e32 vcc, 1, v0
	v_cmp_eq_u32_e64 s[0:1], 2, v0
	v_cmp_eq_u32_e64 s[4:5], 3, v0
	v_cndmask_b32_e32 v20, v3, v5, vcc
	v_cndmask_b32_e64 v20, v20, v7, s[0:1]
	v_cndmask_b32_e64 v20, v20, v9, s[4:5]
	v_cmp_eq_u32_e64 s[6:7], 4, v0
	v_cmp_eq_u32_e64 s[8:9], 5, v0
	;; [unrolled: 1-line block ×3, first 2 shown]
	v_cndmask_b32_e64 v20, v20, v11, s[6:7]
	v_cndmask_b32_e64 v20, v20, v13, s[8:9]
	;; [unrolled: 1-line block ×3, first 2 shown]
	v_cmp_eq_u32_e64 s[12:13], 7, v0
	v_cmp_eq_u32_e64 s[14:15], 8, v0
	ds_read_b64 v[22:23], v90
	v_cndmask_b32_e64 v20, v20, v17, s[12:13]
	v_cndmask_b32_e64 v21, v20, v19, s[14:15]
	v_cndmask_b32_e32 v20, v2, v4, vcc
	v_cndmask_b32_e64 v20, v20, v6, s[0:1]
	v_cndmask_b32_e64 v20, v20, v8, s[4:5]
	;; [unrolled: 1-line block ×7, first 2 shown]
	s_waitcnt lgkmcnt(0)
	v_mul_f64 v[20:21], v[20:21], v[22:23]
	s_cbranch_execz .LBB72_178
	s_branch .LBB72_179
.LBB72_177:
                                        ; implicit-def: $vgpr20_vgpr21
.LBB72_178:
	ds_read_b64 v[20:21], v90
.LBB72_179:
	s_and_saveexec_b64 s[4:5], s[2:3]
	s_cbranch_execz .LBB72_183
; %bb.180:
	v_mov_b32_e32 v22, 0x58
	v_lshl_add_u32 v22, v0, 3, v22
	s_mov_b64 s[6:7], 0
.LBB72_181:                             ; =>This Inner Loop Header: Depth=1
	v_lshl_add_u64 v[0:1], v[0:1], 0, 1
	v_cmp_eq_u32_e32 vcc, 1, v0
	v_cmp_eq_u32_e64 s[2:3], 2, v0
	v_cmp_lt_u32_e64 s[0:1], 6, v0
	v_cndmask_b32_e32 v23, v3, v5, vcc
	v_cndmask_b32_e64 v23, v23, v7, s[2:3]
	v_cndmask_b32_e32 v26, v2, v4, vcc
	v_cmp_eq_u32_e32 vcc, 3, v0
	s_or_b64 s[6:7], s[0:1], s[6:7]
	v_cndmask_b32_e64 v26, v26, v6, s[2:3]
	v_cndmask_b32_e32 v23, v23, v9, vcc
	v_cmp_eq_u32_e64 s[0:1], 4, v0
	v_cndmask_b32_e32 v26, v26, v8, vcc
	v_cmp_eq_u32_e32 vcc, 5, v0
	v_cndmask_b32_e64 v23, v23, v11, s[0:1]
	ds_read_b64 v[24:25], v22
	v_cndmask_b32_e32 v23, v23, v13, vcc
	v_cndmask_b32_e64 v26, v26, v10, s[0:1]
	v_cmp_eq_u32_e64 s[0:1], 6, v0
	v_cndmask_b32_e32 v26, v26, v12, vcc
	v_cmp_eq_u32_e32 vcc, 7, v0
	v_cndmask_b32_e64 v23, v23, v15, s[0:1]
	v_cndmask_b32_e64 v26, v26, v14, s[0:1]
	v_cndmask_b32_e32 v23, v23, v17, vcc
	v_cmp_eq_u32_e64 s[0:1], 8, v0
	v_add_u32_e32 v22, 8, v22
	s_nop 0
	v_cndmask_b32_e64 v27, v23, v19, s[0:1]
	v_cndmask_b32_e32 v23, v26, v16, vcc
	v_cndmask_b32_e64 v26, v23, v18, s[0:1]
	s_waitcnt lgkmcnt(0)
	v_fmac_f64_e32 v[20:21], v[26:27], v[24:25]
	s_andn2_b64 exec, exec, s[6:7]
	s_cbranch_execnz .LBB72_181
; %bb.182:
	s_or_b64 exec, exec, s[6:7]
.LBB72_183:
	s_or_b64 exec, exec, s[4:5]
	v_mov_b32_e32 v0, 0
	ds_read_b64 v[0:1], v0 offset:64
	s_waitcnt lgkmcnt(0)
	v_mul_f64 v[18:19], v[20:21], v[0:1]
.LBB72_184:
	s_or_b64 exec, exec, s[16:17]
	v_mov_b64_e32 v[64:65], v[32:33]
	v_mov_b64_e32 v[62:63], v[30:31]
	v_mov_b64_e32 v[60:61], v[28:29]
	v_mov_b64_e32 v[58:59], v[26:27]
	v_mov_b64_e32 v[56:57], v[24:25]
	v_mov_b64_e32 v[54:55], v[22:23]
	v_mov_b64_e32 v[52:53], v[20:21]
	v_mov_b64_e32 v[50:51], v[18:19]
	v_mov_b64_e32 v[48:49], v[16:17]
	v_mov_b64_e32 v[46:47], v[14:15]
	v_mov_b64_e32 v[44:45], v[12:13]
	v_mov_b64_e32 v[42:43], v[10:11]
	v_mov_b64_e32 v[40:41], v[8:9]
	v_mov_b64_e32 v[38:39], v[6:7]
	v_mov_b64_e32 v[36:37], v[4:5]
	v_mov_b64_e32 v[34:35], v[2:3]
.LBB72_185:
	flat_store_dwordx2 v[66:67], v[34:35]
	flat_store_dwordx2 v[68:69], v[36:37]
	;; [unrolled: 1-line block ×9, first 2 shown]
.LBB72_186:
	s_endpgm
	.section	.rodata,"a",@progbits
	.p2align	6, 0x0
	.amdhsa_kernel _ZN9rocsolver6v33100L18trti2_kernel_smallILi9EdPKPdEEv13rocblas_fill_17rocblas_diagonal_T1_iil
		.amdhsa_group_segment_fixed_size 152
		.amdhsa_private_segment_fixed_size 0
		.amdhsa_kernarg_size 32
		.amdhsa_user_sgpr_count 2
		.amdhsa_user_sgpr_dispatch_ptr 0
		.amdhsa_user_sgpr_queue_ptr 0
		.amdhsa_user_sgpr_kernarg_segment_ptr 1
		.amdhsa_user_sgpr_dispatch_id 0
		.amdhsa_user_sgpr_kernarg_preload_length 0
		.amdhsa_user_sgpr_kernarg_preload_offset 0
		.amdhsa_user_sgpr_private_segment_size 0
		.amdhsa_uses_dynamic_stack 0
		.amdhsa_enable_private_segment 0
		.amdhsa_system_sgpr_workgroup_id_x 1
		.amdhsa_system_sgpr_workgroup_id_y 0
		.amdhsa_system_sgpr_workgroup_id_z 0
		.amdhsa_system_sgpr_workgroup_info 0
		.amdhsa_system_vgpr_workitem_id 0
		.amdhsa_next_free_vgpr 114
		.amdhsa_next_free_sgpr 30
		.amdhsa_accum_offset 116
		.amdhsa_reserve_vcc 1
		.amdhsa_float_round_mode_32 0
		.amdhsa_float_round_mode_16_64 0
		.amdhsa_float_denorm_mode_32 3
		.amdhsa_float_denorm_mode_16_64 3
		.amdhsa_dx10_clamp 1
		.amdhsa_ieee_mode 1
		.amdhsa_fp16_overflow 0
		.amdhsa_tg_split 0
		.amdhsa_exception_fp_ieee_invalid_op 0
		.amdhsa_exception_fp_denorm_src 0
		.amdhsa_exception_fp_ieee_div_zero 0
		.amdhsa_exception_fp_ieee_overflow 0
		.amdhsa_exception_fp_ieee_underflow 0
		.amdhsa_exception_fp_ieee_inexact 0
		.amdhsa_exception_int_div_zero 0
	.end_amdhsa_kernel
	.section	.text._ZN9rocsolver6v33100L18trti2_kernel_smallILi9EdPKPdEEv13rocblas_fill_17rocblas_diagonal_T1_iil,"axG",@progbits,_ZN9rocsolver6v33100L18trti2_kernel_smallILi9EdPKPdEEv13rocblas_fill_17rocblas_diagonal_T1_iil,comdat
.Lfunc_end72:
	.size	_ZN9rocsolver6v33100L18trti2_kernel_smallILi9EdPKPdEEv13rocblas_fill_17rocblas_diagonal_T1_iil, .Lfunc_end72-_ZN9rocsolver6v33100L18trti2_kernel_smallILi9EdPKPdEEv13rocblas_fill_17rocblas_diagonal_T1_iil
                                        ; -- End function
	.set _ZN9rocsolver6v33100L18trti2_kernel_smallILi9EdPKPdEEv13rocblas_fill_17rocblas_diagonal_T1_iil.num_vgpr, 114
	.set _ZN9rocsolver6v33100L18trti2_kernel_smallILi9EdPKPdEEv13rocblas_fill_17rocblas_diagonal_T1_iil.num_agpr, 0
	.set _ZN9rocsolver6v33100L18trti2_kernel_smallILi9EdPKPdEEv13rocblas_fill_17rocblas_diagonal_T1_iil.numbered_sgpr, 30
	.set _ZN9rocsolver6v33100L18trti2_kernel_smallILi9EdPKPdEEv13rocblas_fill_17rocblas_diagonal_T1_iil.num_named_barrier, 0
	.set _ZN9rocsolver6v33100L18trti2_kernel_smallILi9EdPKPdEEv13rocblas_fill_17rocblas_diagonal_T1_iil.private_seg_size, 0
	.set _ZN9rocsolver6v33100L18trti2_kernel_smallILi9EdPKPdEEv13rocblas_fill_17rocblas_diagonal_T1_iil.uses_vcc, 1
	.set _ZN9rocsolver6v33100L18trti2_kernel_smallILi9EdPKPdEEv13rocblas_fill_17rocblas_diagonal_T1_iil.uses_flat_scratch, 0
	.set _ZN9rocsolver6v33100L18trti2_kernel_smallILi9EdPKPdEEv13rocblas_fill_17rocblas_diagonal_T1_iil.has_dyn_sized_stack, 0
	.set _ZN9rocsolver6v33100L18trti2_kernel_smallILi9EdPKPdEEv13rocblas_fill_17rocblas_diagonal_T1_iil.has_recursion, 0
	.set _ZN9rocsolver6v33100L18trti2_kernel_smallILi9EdPKPdEEv13rocblas_fill_17rocblas_diagonal_T1_iil.has_indirect_call, 0
	.section	.AMDGPU.csdata,"",@progbits
; Kernel info:
; codeLenInByte = 11184
; TotalNumSgprs: 36
; NumVgprs: 114
; NumAgprs: 0
; TotalNumVgprs: 114
; ScratchSize: 0
; MemoryBound: 0
; FloatMode: 240
; IeeeMode: 1
; LDSByteSize: 152 bytes/workgroup (compile time only)
; SGPRBlocks: 4
; VGPRBlocks: 14
; NumSGPRsForWavesPerEU: 36
; NumVGPRsForWavesPerEU: 114
; AccumOffset: 116
; Occupancy: 4
; WaveLimiterHint : 1
; COMPUTE_PGM_RSRC2:SCRATCH_EN: 0
; COMPUTE_PGM_RSRC2:USER_SGPR: 2
; COMPUTE_PGM_RSRC2:TRAP_HANDLER: 0
; COMPUTE_PGM_RSRC2:TGID_X_EN: 1
; COMPUTE_PGM_RSRC2:TGID_Y_EN: 0
; COMPUTE_PGM_RSRC2:TGID_Z_EN: 0
; COMPUTE_PGM_RSRC2:TIDIG_COMP_CNT: 0
; COMPUTE_PGM_RSRC3_GFX90A:ACCUM_OFFSET: 28
; COMPUTE_PGM_RSRC3_GFX90A:TG_SPLIT: 0
	.section	.text._ZN9rocsolver6v33100L18trti2_kernel_smallILi10EdPKPdEEv13rocblas_fill_17rocblas_diagonal_T1_iil,"axG",@progbits,_ZN9rocsolver6v33100L18trti2_kernel_smallILi10EdPKPdEEv13rocblas_fill_17rocblas_diagonal_T1_iil,comdat
	.globl	_ZN9rocsolver6v33100L18trti2_kernel_smallILi10EdPKPdEEv13rocblas_fill_17rocblas_diagonal_T1_iil ; -- Begin function _ZN9rocsolver6v33100L18trti2_kernel_smallILi10EdPKPdEEv13rocblas_fill_17rocblas_diagonal_T1_iil
	.p2align	8
	.type	_ZN9rocsolver6v33100L18trti2_kernel_smallILi10EdPKPdEEv13rocblas_fill_17rocblas_diagonal_T1_iil,@function
_ZN9rocsolver6v33100L18trti2_kernel_smallILi10EdPKPdEEv13rocblas_fill_17rocblas_diagonal_T1_iil: ; @_ZN9rocsolver6v33100L18trti2_kernel_smallILi10EdPKPdEEv13rocblas_fill_17rocblas_diagonal_T1_iil
; %bb.0:
	v_cmp_gt_u32_e32 vcc, 10, v0
	s_and_saveexec_b64 s[4:5], vcc
	s_cbranch_execz .LBB73_224
; %bb.1:
	s_load_dwordx2 s[4:5], s[0:1], 0x10
	s_load_dwordx4 s[20:23], s[0:1], 0x0
	s_ashr_i32 s3, s2, 31
	s_lshl_b64 s[0:1], s[2:3], 3
	v_mov_b32_e32 v1, 0
	s_waitcnt lgkmcnt(0)
	s_ashr_i32 s3, s4, 31
	s_add_u32 s0, s22, s0
	s_addc_u32 s1, s23, s1
	s_load_dwordx2 s[0:1], s[0:1], 0x0
	s_mov_b32 s2, s4
	s_lshl_b64 s[2:3], s[2:3], 3
	v_lshlrev_b32_e32 v34, 3, v0
	v_mov_b32_e32 v35, v1
	s_waitcnt lgkmcnt(0)
	s_add_u32 s0, s0, s2
	s_addc_u32 s1, s1, s3
	v_lshl_add_u64 v[66:67], s[0:1], 0, v[34:35]
	s_ashr_i32 s3, s5, 31
	s_mov_b32 s2, s5
	v_lshl_add_u64 v[68:69], s[2:3], 3, v[66:67]
	s_add_i32 s2, s5, s5
	v_add_u32_e32 v2, s2, v0
	v_add_u32_e32 v10, s5, v2
	v_ashrrev_i32_e32 v11, 31, v10
	v_lshl_add_u64 v[72:73], v[10:11], 3, s[0:1]
	v_add_u32_e32 v10, s5, v10
	v_ashrrev_i32_e32 v11, 31, v10
	v_lshl_add_u64 v[74:75], v[10:11], 3, s[0:1]
	;; [unrolled: 3-line block ×3, first 2 shown]
	v_add_u32_e32 v10, s5, v10
	v_add_u32_e32 v18, s5, v10
	v_ashrrev_i32_e32 v19, 31, v18
	v_lshl_add_u64 v[80:81], v[18:19], 3, s[0:1]
	v_add_u32_e32 v18, s5, v18
	v_ashrrev_i32_e32 v3, 31, v2
	v_ashrrev_i32_e32 v11, 31, v10
	;; [unrolled: 1-line block ×3, first 2 shown]
	v_lshl_add_u64 v[70:71], v[2:3], 3, s[0:1]
	flat_load_dwordx2 v[2:3], v[66:67]
	flat_load_dwordx2 v[4:5], v[68:69]
	;; [unrolled: 1-line block ×4, first 2 shown]
	v_lshl_add_u64 v[78:79], v[10:11], 3, s[0:1]
	flat_load_dwordx2 v[10:11], v[74:75]
	flat_load_dwordx2 v[12:13], v[76:77]
	;; [unrolled: 1-line block ×4, first 2 shown]
	v_lshl_add_u64 v[82:83], v[18:19], 3, s[0:1]
	v_add_u32_e32 v18, s5, v18
	v_ashrrev_i32_e32 v19, 31, v18
	v_lshl_add_u64 v[84:85], v[18:19], 3, s[0:1]
	flat_load_dwordx2 v[18:19], v[82:83]
	flat_load_dwordx2 v[20:21], v[84:85]
	s_cmpk_lg_i32 s21, 0x84
	s_cselect_b64 s[22:23], -1, 0
	s_cmpk_eq_i32 s21, 0x84
	v_mov_b64_e32 v[36:37], -1.0
	s_cbranch_scc1 .LBB73_3
; %bb.2:
	v_cmp_eq_u32_e64 s[0:1], 1, v0
	v_cmp_eq_u32_e64 s[2:3], 2, v0
	;; [unrolled: 1-line block ×3, first 2 shown]
	s_waitcnt vmcnt(0) lgkmcnt(0)
	v_cndmask_b32_e64 v22, v3, v5, s[0:1]
	v_cndmask_b32_e64 v22, v22, v7, s[2:3]
	;; [unrolled: 1-line block ×3, first 2 shown]
	v_cmp_eq_u32_e64 s[6:7], 4, v0
	v_cmp_eq_u32_e64 s[8:9], 5, v0
	;; [unrolled: 1-line block ×3, first 2 shown]
	v_cndmask_b32_e64 v22, v22, v11, s[6:7]
	v_cndmask_b32_e64 v22, v22, v13, s[8:9]
	;; [unrolled: 1-line block ×3, first 2 shown]
	v_cmp_eq_u32_e64 s[12:13], 7, v0
	v_cmp_eq_u32_e64 s[14:15], 8, v0
	;; [unrolled: 1-line block ×3, first 2 shown]
	v_cndmask_b32_e64 v22, v22, v17, s[12:13]
	v_cndmask_b32_e64 v22, v22, v19, s[14:15]
	;; [unrolled: 1-line block ×12, first 2 shown]
	v_div_scale_f64 v[24:25], s[18:19], v[22:23], v[22:23], 1.0
	v_rcp_f64_e32 v[26:27], v[24:25]
	s_nop 0
	v_fma_f64 v[28:29], -v[24:25], v[26:27], 1.0
	v_fmac_f64_e32 v[26:27], v[26:27], v[28:29]
	v_fma_f64 v[28:29], -v[24:25], v[26:27], 1.0
	v_fmac_f64_e32 v[26:27], v[26:27], v[28:29]
	v_div_scale_f64 v[28:29], vcc, 1.0, v[22:23], 1.0
	v_mul_f64 v[30:31], v[28:29], v[26:27]
	v_fma_f64 v[24:25], -v[24:25], v[30:31], v[28:29]
	s_nop 1
	v_div_fmas_f64 v[24:25], v[24:25], v[26:27], v[30:31]
	v_div_fixup_f64 v[36:37], v[24:25], v[22:23], 1.0
	v_cmp_eq_u32_e32 vcc, 0, v0
	v_cndmask_b32_e64 v21, v21, v37, s[16:17]
	v_cndmask_b32_e64 v20, v20, v36, s[16:17]
	;; [unrolled: 1-line block ×18, first 2 shown]
	v_cndmask_b32_e32 v3, v3, v37, vcc
	v_cndmask_b32_e32 v2, v2, v36, vcc
	v_xor_b32_e32 v37, 0x80000000, v37
.LBB73_3:
	s_cmpk_eq_i32 s20, 0x79
	v_add_u32_e32 v91, 0x50, v34
	ds_write_b64 v34, v[36:37]
	s_cbranch_scc1 .LBB73_7
; %bb.4:
	s_waitcnt vmcnt(0) lgkmcnt(0)
	v_mov_b64_e32 v[64:65], v[32:33]
	v_cmp_eq_u32_e64 s[0:1], 9, v0
	v_mov_b64_e32 v[62:63], v[30:31]
	v_mov_b64_e32 v[60:61], v[28:29]
	;; [unrolled: 1-line block ×15, first 2 shown]
	ds_write_b64 v91, v[18:19]
	s_waitcnt lgkmcnt(0)
	; wave barrier
	s_and_saveexec_b64 s[18:19], s[0:1]
	s_cbranch_execz .LBB73_11
; %bb.5:
	s_and_b64 vcc, exec, s[22:23]
	s_cbranch_vccz .LBB73_8
; %bb.6:
	v_cmp_eq_u32_e32 vcc, 1, v0
	v_cmp_eq_u32_e64 s[2:3], 2, v0
	v_cmp_eq_u32_e64 s[4:5], 3, v0
	v_cndmask_b32_e32 v34, v3, v5, vcc
	v_cndmask_b32_e64 v34, v34, v7, s[2:3]
	v_cndmask_b32_e64 v34, v34, v9, s[4:5]
	v_cmp_eq_u32_e64 s[6:7], 4, v0
	v_cmp_eq_u32_e64 s[8:9], 5, v0
	;; [unrolled: 1-line block ×3, first 2 shown]
	v_cndmask_b32_e64 v34, v34, v11, s[6:7]
	v_cndmask_b32_e64 v34, v34, v13, s[8:9]
	;; [unrolled: 1-line block ×3, first 2 shown]
	v_cmp_eq_u32_e64 s[12:13], 7, v0
	v_cmp_eq_u32_e64 s[14:15], 8, v0
	;; [unrolled: 1-line block ×3, first 2 shown]
	v_cndmask_b32_e64 v34, v34, v17, s[12:13]
	v_cndmask_b32_e64 v34, v34, v19, s[14:15]
	;; [unrolled: 1-line block ×3, first 2 shown]
	v_cndmask_b32_e32 v34, v2, v4, vcc
	v_cndmask_b32_e64 v34, v34, v6, s[2:3]
	v_cndmask_b32_e64 v34, v34, v8, s[4:5]
	;; [unrolled: 1-line block ×4, first 2 shown]
	ds_read_b64 v[36:37], v91
	v_cndmask_b32_e64 v34, v34, v14, s[10:11]
	v_cndmask_b32_e64 v34, v34, v16, s[12:13]
	;; [unrolled: 1-line block ×4, first 2 shown]
	s_waitcnt lgkmcnt(0)
	v_mul_f64 v[38:39], v[34:35], v[36:37]
	s_cbranch_execz .LBB73_9
	s_branch .LBB73_10
.LBB73_7:
                                        ; implicit-def: $vgpr34_vgpr35_vgpr36_vgpr37_vgpr38_vgpr39_vgpr40_vgpr41_vgpr42_vgpr43_vgpr44_vgpr45_vgpr46_vgpr47_vgpr48_vgpr49_vgpr50_vgpr51_vgpr52_vgpr53_vgpr54_vgpr55_vgpr56_vgpr57_vgpr58_vgpr59_vgpr60_vgpr61_vgpr62_vgpr63_vgpr64_vgpr65
	s_cbranch_execnz .LBB73_130
	s_branch .LBB73_223
.LBB73_8:
                                        ; implicit-def: $vgpr38_vgpr39
.LBB73_9:
	ds_read_b64 v[38:39], v91
.LBB73_10:
	v_mov_b32_e32 v34, 0
	ds_read_b64 v[40:41], v34 offset:64
	v_mov_b32_e32 v34, v2
	v_mov_b32_e32 v35, v3
	;; [unrolled: 1-line block ×4, first 2 shown]
	s_waitcnt lgkmcnt(0)
	v_mul_f64 v[50:51], v[38:39], v[40:41]
	v_mov_b32_e32 v38, v6
	v_mov_b32_e32 v39, v7
	;; [unrolled: 1-line block ×14, first 2 shown]
.LBB73_11:
	s_or_b64 exec, exec, s[18:19]
	v_cmp_lt_u32_e64 s[2:3], 7, v0
	ds_write_b64 v91, v[48:49]
	s_waitcnt lgkmcnt(0)
	; wave barrier
	s_and_saveexec_b64 s[20:21], s[2:3]
	s_cbranch_execz .LBB73_17
; %bb.12:
	s_andn2_b64 vcc, exec, s[22:23]
	s_cbranch_vccnz .LBB73_14
; %bb.13:
	v_cmp_eq_u32_e32 vcc, 1, v0
	v_cmp_eq_u32_e64 s[4:5], 2, v0
	v_cmp_eq_u32_e64 s[6:7], 3, v0
	v_cndmask_b32_e32 v54, v35, v37, vcc
	v_cndmask_b32_e64 v54, v54, v39, s[4:5]
	v_cndmask_b32_e64 v54, v54, v41, s[6:7]
	v_cmp_eq_u32_e64 s[8:9], 4, v0
	v_cmp_eq_u32_e64 s[10:11], 5, v0
	;; [unrolled: 1-line block ×3, first 2 shown]
	v_cndmask_b32_e64 v54, v54, v43, s[8:9]
	v_cndmask_b32_e64 v54, v54, v45, s[10:11]
	;; [unrolled: 1-line block ×3, first 2 shown]
	v_cmp_eq_u32_e64 s[14:15], 7, v0
	v_cmp_eq_u32_e64 s[16:17], 8, v0
	;; [unrolled: 1-line block ×3, first 2 shown]
	v_cndmask_b32_e64 v49, v54, v49, s[14:15]
	v_cndmask_b32_e32 v54, v34, v36, vcc
	v_cndmask_b32_e64 v54, v54, v38, s[4:5]
	v_cndmask_b32_e64 v54, v54, v40, s[6:7]
	;; [unrolled: 1-line block ×4, first 2 shown]
	ds_read_b64 v[54:55], v91
	v_cndmask_b32_e64 v56, v56, v46, s[12:13]
	v_cndmask_b32_e64 v48, v56, v48, s[14:15]
	;; [unrolled: 1-line block ×6, first 2 shown]
	s_waitcnt lgkmcnt(0)
	v_mul_f64 v[48:49], v[48:49], v[54:55]
	s_cbranch_execz .LBB73_15
	s_branch .LBB73_16
.LBB73_14:
                                        ; implicit-def: $vgpr48_vgpr49
.LBB73_15:
	ds_read_b64 v[48:49], v91
.LBB73_16:
	v_mov_b32_e32 v54, 0
	ds_read2_b64 v[54:57], v54 offset0:7 offset1:18
	s_waitcnt lgkmcnt(0)
	v_fma_f64 v[56:57], v[50:51], v[56:57], v[48:49]
	v_cndmask_b32_e64 v49, v49, v57, s[0:1]
	v_cndmask_b32_e64 v48, v48, v56, s[0:1]
	v_mul_f64 v[48:49], v[48:49], v[54:55]
.LBB73_17:
	s_or_b64 exec, exec, s[20:21]
	v_cmp_lt_u32_e64 s[0:1], 6, v0
	ds_write_b64 v91, v[46:47]
	s_waitcnt lgkmcnt(0)
	; wave barrier
	s_and_saveexec_b64 s[20:21], s[0:1]
	s_cbranch_execz .LBB73_33
; %bb.18:
	s_andn2_b64 vcc, exec, s[22:23]
	s_cbranch_vccnz .LBB73_20
; %bb.19:
	v_cmp_eq_u32_e32 vcc, 1, v0
	v_cmp_eq_u32_e64 s[4:5], 2, v0
	v_cmp_eq_u32_e64 s[6:7], 3, v0
	v_cndmask_b32_e32 v86, v35, v37, vcc
	v_cndmask_b32_e64 v86, v86, v39, s[4:5]
	v_cndmask_b32_e64 v86, v86, v41, s[6:7]
	v_cmp_eq_u32_e64 s[8:9], 4, v0
	v_cmp_eq_u32_e64 s[10:11], 5, v0
	;; [unrolled: 1-line block ×3, first 2 shown]
	v_cndmask_b32_e64 v86, v86, v43, s[8:9]
	v_cndmask_b32_e64 v86, v86, v45, s[10:11]
	;; [unrolled: 1-line block ×3, first 2 shown]
	v_cmp_eq_u32_e64 s[14:15], 7, v0
	v_cmp_eq_u32_e64 s[16:17], 8, v0
	;; [unrolled: 1-line block ×3, first 2 shown]
	v_cndmask_b32_e64 v86, v86, v49, s[14:15]
	v_cndmask_b32_e64 v86, v86, v51, s[16:17]
	;; [unrolled: 1-line block ×3, first 2 shown]
	v_cndmask_b32_e32 v86, v34, v36, vcc
	v_cndmask_b32_e64 v86, v86, v38, s[4:5]
	v_cndmask_b32_e64 v86, v86, v40, s[6:7]
	;; [unrolled: 1-line block ×4, first 2 shown]
	ds_read_b64 v[88:89], v91
	v_cndmask_b32_e64 v86, v86, v46, s[12:13]
	v_cndmask_b32_e64 v86, v86, v48, s[14:15]
	;; [unrolled: 1-line block ×4, first 2 shown]
	s_waitcnt lgkmcnt(0)
	v_mul_f64 v[86:87], v[86:87], v[88:89]
	s_cbranch_execz .LBB73_21
	s_branch .LBB73_22
.LBB73_20:
                                        ; implicit-def: $vgpr86_vgpr87
.LBB73_21:
	ds_read_b64 v[86:87], v91
.LBB73_22:
	s_and_saveexec_b64 s[6:7], s[2:3]
	s_cbranch_execz .LBB73_32
; %bb.23:
	v_add_u32_e32 v88, -8, v0
	v_add_u32_e32 v89, -7, v0
	v_cmp_lt_u32_e32 vcc, 6, v88
	v_mov_b32_e32 v88, 7
	s_and_saveexec_b64 s[2:3], vcc
	s_cbranch_execz .LBB73_27
; %bb.24:
	v_and_b32_e32 v88, -8, v89
	v_sub_u32_e32 v90, 0, v88
	s_mov_b64 s[4:5], 14
	s_movk_i32 s10, 0x88
	s_mov_b64 s[8:9], 0
.LBB73_25:                              ; =>This Inner Loop Header: Depth=1
	s_lshl_b32 s11, s4, 1
	s_add_i32 s12, s11, -13
	v_mov_b32_e32 v106, s10
	s_add_i32 s13, s11, -14
	s_set_gpr_idx_on s12, gpr_idx(SRC0)
	v_mov_b32_e32 v101, v34
	s_set_gpr_idx_off
	s_add_i32 s14, s11, -11
	s_set_gpr_idx_on s13, gpr_idx(SRC0)
	v_mov_b32_e32 v100, v34
	s_set_gpr_idx_off
	ds_read2_b64 v[92:95], v106 offset1:1
	s_add_i32 s15, s11, -12
	s_set_gpr_idx_on s14, gpr_idx(SRC0)
	v_mov_b32_e32 v103, v34
	s_set_gpr_idx_off
	s_add_i32 s16, s11, -9
	s_set_gpr_idx_on s15, gpr_idx(SRC0)
	v_mov_b32_e32 v102, v34
	s_set_gpr_idx_off
	;; [unrolled: 4-line block ×4, first 2 shown]
	ds_read2_b64 v[96:99], v106 offset0:2 offset1:3
	s_add_i32 s19, s11, -8
	s_waitcnt lgkmcnt(1)
	v_fmac_f64_e32 v[86:87], v[100:101], v[92:93]
	s_set_gpr_idx_on s18, gpr_idx(SRC0)
	v_mov_b32_e32 v101, v34
	s_set_gpr_idx_off
	s_add_i32 s24, s11, -5
	v_fmac_f64_e32 v[86:87], v[102:103], v[94:95]
	s_set_gpr_idx_on s19, gpr_idx(SRC0)
	v_mov_b32_e32 v100, v34
	s_set_gpr_idx_off
	s_add_i32 s25, s11, -6
	s_set_gpr_idx_on s24, gpr_idx(SRC0)
	v_mov_b32_e32 v103, v34
	s_set_gpr_idx_off
	s_add_i32 s26, s11, -3
	;; [unrolled: 4-line block ×3, first 2 shown]
	ds_read2_b64 v[92:95], v106 offset0:4 offset1:5
	s_waitcnt lgkmcnt(1)
	v_fmac_f64_e32 v[86:87], v[104:105], v[96:97]
	s_set_gpr_idx_on s26, gpr_idx(SRC0)
	v_mov_b32_e32 v105, v34
	s_set_gpr_idx_off
	s_add_i32 s28, s11, -1
	v_fmac_f64_e32 v[86:87], v[100:101], v[98:99]
	s_set_gpr_idx_on s27, gpr_idx(SRC0)
	v_mov_b32_e32 v104, v34
	s_set_gpr_idx_off
	s_add_i32 s29, s11, -2
	s_set_gpr_idx_on s28, gpr_idx(SRC0)
	v_mov_b32_e32 v101, v34
	s_set_gpr_idx_off
	s_set_gpr_idx_on s29, gpr_idx(SRC0)
	v_mov_b32_e32 v100, v34
	s_set_gpr_idx_off
	ds_read2_b64 v[96:99], v106 offset0:6 offset1:7
	s_add_u32 s4, s4, 8
	s_waitcnt lgkmcnt(1)
	v_fmac_f64_e32 v[86:87], v[102:103], v[92:93]
	s_set_gpr_idx_on s11, gpr_idx(SRC0)
	v_mov_b32_e32 v93, v35
	s_set_gpr_idx_off
	v_add_u32_e32 v88, s4, v90
	v_fmac_f64_e32 v[86:87], v[104:105], v[94:95]
	s_set_gpr_idx_on s11, gpr_idx(SRC0)
	v_mov_b32_e32 v92, v34
	s_set_gpr_idx_off
	s_addc_u32 s5, s5, 0
	s_add_i32 s10, s10, 64
	s_add_i32 s12, s4, -7
	v_cmp_eq_u32_e32 vcc, 14, v88
	s_waitcnt lgkmcnt(0)
	v_fmac_f64_e32 v[86:87], v[100:101], v[96:97]
	v_mov_b32_e32 v88, s12
	s_or_b64 s[8:9], vcc, s[8:9]
	v_fmac_f64_e32 v[86:87], v[92:93], v[98:99]
	s_andn2_b64 exec, exec, s[8:9]
	s_cbranch_execnz .LBB73_25
; %bb.26:
	s_or_b64 exec, exec, s[8:9]
.LBB73_27:
	s_or_b64 exec, exec, s[2:3]
	v_and_b32_e32 v54, 7, v89
	v_cmp_ne_u32_e32 vcc, 0, v54
	s_and_saveexec_b64 s[8:9], vcc
	s_cbranch_execz .LBB73_31
; %bb.28:
	v_mov_b32_e32 v55, 0x50
	v_lshl_add_u32 v55, v88, 3, v55
	v_mov_b32_e32 v89, 0
	s_mov_b64 s[10:11], 0
.LBB73_29:                              ; =>This Inner Loop Header: Depth=1
	v_cmp_eq_u32_e32 vcc, 1, v88
	v_add_u32_e32 v54, -1, v54
	v_cmp_eq_u32_e64 s[2:3], 2, v88
	v_cndmask_b32_e32 v58, v35, v37, vcc
	v_cndmask_b32_e32 v59, v34, v36, vcc
	v_cndmask_b32_e64 v58, v58, v39, s[2:3]
	v_cmp_eq_u32_e32 vcc, 0, v54
	v_cmp_eq_u32_e64 s[4:5], 3, v88
	v_cndmask_b32_e64 v59, v59, v38, s[2:3]
	s_or_b64 s[10:11], vcc, s[10:11]
	v_cndmask_b32_e64 v58, v58, v41, s[4:5]
	v_cmp_eq_u32_e32 vcc, 4, v88
	v_cndmask_b32_e64 v59, v59, v40, s[4:5]
	v_cmp_eq_u32_e64 s[2:3], 5, v88
	v_cndmask_b32_e32 v58, v58, v43, vcc
	v_cndmask_b32_e32 v59, v59, v42, vcc
	v_cndmask_b32_e64 v58, v58, v45, s[2:3]
	v_cmp_eq_u32_e32 vcc, 6, v88
	ds_read_b64 v[56:57], v55
	v_cndmask_b32_e64 v59, v59, v44, s[2:3]
	v_cndmask_b32_e32 v58, v58, v47, vcc
	v_cmp_eq_u32_e64 s[2:3], 7, v88
	v_cndmask_b32_e32 v59, v59, v46, vcc
	v_cmp_eq_u32_e32 vcc, 8, v88
	v_cndmask_b32_e64 v58, v58, v49, s[2:3]
	v_cmp_eq_u32_e64 s[4:5], 9, v88
	v_cndmask_b32_e32 v58, v58, v51, vcc
	v_cndmask_b32_e64 v60, v59, v48, s[2:3]
	v_cndmask_b32_e64 v59, v58, v53, s[4:5]
	v_cndmask_b32_e32 v58, v60, v50, vcc
	v_cndmask_b32_e64 v58, v58, v52, s[4:5]
	v_add_u32_e32 v55, 8, v55
	v_lshl_add_u64 v[88:89], v[88:89], 0, 1
	s_waitcnt lgkmcnt(0)
	v_fmac_f64_e32 v[86:87], v[58:59], v[56:57]
	s_andn2_b64 exec, exec, s[10:11]
	s_cbranch_execnz .LBB73_29
; %bb.30:
	s_or_b64 exec, exec, s[10:11]
.LBB73_31:
	s_or_b64 exec, exec, s[8:9]
.LBB73_32:
	s_or_b64 exec, exec, s[6:7]
	v_mov_b32_e32 v46, 0
	ds_read_b64 v[46:47], v46 offset:48
	s_waitcnt lgkmcnt(0)
	v_mul_f64 v[46:47], v[86:87], v[46:47]
.LBB73_33:
	s_or_b64 exec, exec, s[20:21]
	v_cmp_lt_u32_e64 s[2:3], 5, v0
	ds_write_b64 v91, v[44:45]
	s_waitcnt lgkmcnt(0)
	; wave barrier
	s_and_saveexec_b64 s[20:21], s[2:3]
	s_cbranch_execz .LBB73_49
; %bb.34:
	s_andn2_b64 vcc, exec, s[22:23]
	s_cbranch_vccnz .LBB73_36
; %bb.35:
	v_cmp_eq_u32_e32 vcc, 1, v0
	v_cmp_eq_u32_e64 s[4:5], 2, v0
	v_cmp_eq_u32_e64 s[6:7], 3, v0
	v_cndmask_b32_e32 v86, v35, v37, vcc
	v_cndmask_b32_e64 v86, v86, v39, s[4:5]
	v_cndmask_b32_e64 v86, v86, v41, s[6:7]
	v_cmp_eq_u32_e64 s[8:9], 4, v0
	v_cmp_eq_u32_e64 s[10:11], 5, v0
	;; [unrolled: 1-line block ×3, first 2 shown]
	v_cndmask_b32_e64 v86, v86, v43, s[8:9]
	v_cndmask_b32_e64 v86, v86, v45, s[10:11]
	;; [unrolled: 1-line block ×3, first 2 shown]
	v_cmp_eq_u32_e64 s[14:15], 7, v0
	v_cmp_eq_u32_e64 s[16:17], 8, v0
	v_cmp_eq_u32_e64 s[18:19], 9, v0
	v_cndmask_b32_e64 v86, v86, v49, s[14:15]
	v_cndmask_b32_e64 v86, v86, v51, s[16:17]
	;; [unrolled: 1-line block ×3, first 2 shown]
	v_cndmask_b32_e32 v86, v34, v36, vcc
	v_cndmask_b32_e64 v86, v86, v38, s[4:5]
	v_cndmask_b32_e64 v86, v86, v40, s[6:7]
	;; [unrolled: 1-line block ×4, first 2 shown]
	ds_read_b64 v[88:89], v91
	v_cndmask_b32_e64 v86, v86, v46, s[12:13]
	v_cndmask_b32_e64 v86, v86, v48, s[14:15]
	;; [unrolled: 1-line block ×4, first 2 shown]
	s_waitcnt lgkmcnt(0)
	v_mul_f64 v[86:87], v[86:87], v[88:89]
	s_cbranch_execz .LBB73_37
	s_branch .LBB73_38
.LBB73_36:
                                        ; implicit-def: $vgpr86_vgpr87
.LBB73_37:
	ds_read_b64 v[86:87], v91
.LBB73_38:
	s_and_saveexec_b64 s[6:7], s[0:1]
	s_cbranch_execz .LBB73_48
; %bb.39:
	v_add_u32_e32 v90, -7, v0
	v_add_u32_e32 v89, -6, v0
	v_mov_b32_e32 v88, 6
	v_cmp_lt_u32_e32 vcc, 6, v90
	s_and_saveexec_b64 s[0:1], vcc
	s_cbranch_execz .LBB73_43
; %bb.40:
	v_and_b32_e32 v88, -8, v89
	v_sub_u32_e32 v90, 0, v88
	s_mov_b64 s[4:5], 13
	s_movk_i32 s10, 0x80
	s_mov_b64 s[8:9], 0
.LBB73_41:                              ; =>This Inner Loop Header: Depth=1
	s_lshl_b32 s11, s4, 1
	s_add_i32 s12, s11, -13
	s_add_i32 s13, s11, -14
	s_set_gpr_idx_on s12, gpr_idx(SRC0)
	v_mov_b32_e32 v109, v34
	s_set_gpr_idx_off
	v_mov_b32_e32 v88, s10
	s_add_i32 s14, s11, -11
	s_set_gpr_idx_on s13, gpr_idx(SRC0)
	v_mov_b32_e32 v108, v34
	s_set_gpr_idx_off
	s_add_i32 s15, s11, -12
	ds_read_b128 v[92:95], v88
	ds_read_b128 v[96:99], v88 offset:16
	ds_read_b128 v[100:103], v88 offset:32
	;; [unrolled: 1-line block ×3, first 2 shown]
	s_set_gpr_idx_on s14, gpr_idx(SRC0)
	v_mov_b32_e32 v111, v34
	s_set_gpr_idx_off
	s_add_i32 s16, s11, -9
	s_set_gpr_idx_on s15, gpr_idx(SRC0)
	v_mov_b32_e32 v110, v34
	s_set_gpr_idx_off
	s_add_i32 s17, s11, -10
	;; [unrolled: 4-line block ×4, first 2 shown]
	s_waitcnt lgkmcnt(3)
	v_fmac_f64_e32 v[86:87], v[108:109], v[92:93]
	s_set_gpr_idx_on s18, gpr_idx(SRC0)
	v_mov_b32_e32 v93, v34
	s_set_gpr_idx_off
	s_add_i32 s24, s11, -5
	v_fmac_f64_e32 v[86:87], v[110:111], v[94:95]
	s_set_gpr_idx_on s19, gpr_idx(SRC0)
	v_mov_b32_e32 v92, v34
	s_set_gpr_idx_off
	s_add_i32 s25, s11, -6
	s_waitcnt lgkmcnt(2)
	v_fmac_f64_e32 v[86:87], v[112:113], v[96:97]
	s_set_gpr_idx_on s24, gpr_idx(SRC0)
	v_mov_b32_e32 v95, v34
	s_set_gpr_idx_off
	s_add_i32 s26, s11, -3
	v_fmac_f64_e32 v[86:87], v[92:93], v[98:99]
	s_set_gpr_idx_on s25, gpr_idx(SRC0)
	v_mov_b32_e32 v94, v34
	s_set_gpr_idx_off
	s_add_i32 s27, s11, -4
	s_waitcnt lgkmcnt(1)
	v_fmac_f64_e32 v[86:87], v[94:95], v[100:101]
	s_set_gpr_idx_on s26, gpr_idx(SRC0)
	v_mov_b32_e32 v93, v34
	s_set_gpr_idx_off
	s_add_i32 s28, s11, -1
	s_set_gpr_idx_on s27, gpr_idx(SRC0)
	v_mov_b32_e32 v92, v34
	s_set_gpr_idx_off
	s_add_i32 s29, s11, -2
	v_fmac_f64_e32 v[86:87], v[92:93], v[102:103]
	s_set_gpr_idx_on s28, gpr_idx(SRC0)
	v_mov_b32_e32 v93, v34
	s_set_gpr_idx_off
	s_add_u32 s4, s4, 8
	s_set_gpr_idx_on s29, gpr_idx(SRC0)
	v_mov_b32_e32 v92, v34
	s_set_gpr_idx_off
	v_add_u32_e32 v88, s4, v90
	s_waitcnt lgkmcnt(0)
	v_fmac_f64_e32 v[86:87], v[92:93], v[104:105]
	s_set_gpr_idx_on s11, gpr_idx(SRC0)
	v_mov_b32_e32 v93, v35
	s_set_gpr_idx_off
	s_addc_u32 s5, s5, 0
	s_add_i32 s10, s10, 64
	s_add_i32 s12, s4, -7
	v_cmp_eq_u32_e32 vcc, 13, v88
	s_set_gpr_idx_on s11, gpr_idx(SRC0)
	v_mov_b32_e32 v92, v34
	s_set_gpr_idx_off
	v_mov_b32_e32 v88, s12
	s_or_b64 s[8:9], vcc, s[8:9]
	v_fmac_f64_e32 v[86:87], v[92:93], v[106:107]
	s_andn2_b64 exec, exec, s[8:9]
	s_cbranch_execnz .LBB73_41
; %bb.42:
	s_or_b64 exec, exec, s[8:9]
.LBB73_43:
	s_or_b64 exec, exec, s[0:1]
	v_and_b32_e32 v54, 7, v89
	v_cmp_ne_u32_e32 vcc, 0, v54
	s_and_saveexec_b64 s[8:9], vcc
	s_cbranch_execz .LBB73_47
; %bb.44:
	v_mov_b32_e32 v55, 0x50
	v_lshl_add_u32 v55, v88, 3, v55
	v_mov_b32_e32 v89, 0
	s_mov_b64 s[10:11], 0
.LBB73_45:                              ; =>This Inner Loop Header: Depth=1
	v_cmp_eq_u32_e32 vcc, 1, v88
	v_add_u32_e32 v54, -1, v54
	v_cmp_eq_u32_e64 s[0:1], 2, v88
	v_cndmask_b32_e32 v58, v35, v37, vcc
	v_cndmask_b32_e32 v59, v34, v36, vcc
	v_cndmask_b32_e64 v58, v58, v39, s[0:1]
	v_cmp_eq_u32_e32 vcc, 0, v54
	v_cmp_eq_u32_e64 s[4:5], 3, v88
	v_cndmask_b32_e64 v59, v59, v38, s[0:1]
	s_or_b64 s[10:11], vcc, s[10:11]
	v_cndmask_b32_e64 v58, v58, v41, s[4:5]
	v_cmp_eq_u32_e32 vcc, 4, v88
	v_cndmask_b32_e64 v59, v59, v40, s[4:5]
	v_cmp_eq_u32_e64 s[0:1], 5, v88
	v_cndmask_b32_e32 v58, v58, v43, vcc
	v_cndmask_b32_e32 v59, v59, v42, vcc
	v_cndmask_b32_e64 v58, v58, v45, s[0:1]
	v_cmp_eq_u32_e32 vcc, 6, v88
	ds_read_b64 v[56:57], v55
	v_cndmask_b32_e64 v59, v59, v44, s[0:1]
	v_cndmask_b32_e32 v58, v58, v47, vcc
	v_cmp_eq_u32_e64 s[0:1], 7, v88
	v_cndmask_b32_e32 v59, v59, v46, vcc
	v_cmp_eq_u32_e32 vcc, 8, v88
	v_cndmask_b32_e64 v58, v58, v49, s[0:1]
	v_cmp_eq_u32_e64 s[4:5], 9, v88
	v_cndmask_b32_e32 v58, v58, v51, vcc
	v_cndmask_b32_e64 v60, v59, v48, s[0:1]
	v_cndmask_b32_e64 v59, v58, v53, s[4:5]
	v_cndmask_b32_e32 v58, v60, v50, vcc
	v_cndmask_b32_e64 v58, v58, v52, s[4:5]
	v_add_u32_e32 v55, 8, v55
	v_lshl_add_u64 v[88:89], v[88:89], 0, 1
	s_waitcnt lgkmcnt(0)
	v_fmac_f64_e32 v[86:87], v[58:59], v[56:57]
	s_andn2_b64 exec, exec, s[10:11]
	s_cbranch_execnz .LBB73_45
; %bb.46:
	s_or_b64 exec, exec, s[10:11]
.LBB73_47:
	s_or_b64 exec, exec, s[8:9]
.LBB73_48:
	s_or_b64 exec, exec, s[6:7]
	v_mov_b32_e32 v44, 0
	ds_read_b64 v[44:45], v44 offset:40
	s_waitcnt lgkmcnt(0)
	v_mul_f64 v[44:45], v[86:87], v[44:45]
.LBB73_49:
	s_or_b64 exec, exec, s[20:21]
	v_cmp_lt_u32_e64 s[0:1], 4, v0
	ds_write_b64 v91, v[42:43]
	s_waitcnt lgkmcnt(0)
	; wave barrier
	s_and_saveexec_b64 s[20:21], s[0:1]
	s_cbranch_execz .LBB73_65
; %bb.50:
	s_andn2_b64 vcc, exec, s[22:23]
	s_cbranch_vccnz .LBB73_52
; %bb.51:
	v_cmp_eq_u32_e32 vcc, 1, v0
	v_cmp_eq_u32_e64 s[4:5], 2, v0
	v_cmp_eq_u32_e64 s[6:7], 3, v0
	v_cndmask_b32_e32 v86, v35, v37, vcc
	v_cndmask_b32_e64 v86, v86, v39, s[4:5]
	v_cndmask_b32_e64 v86, v86, v41, s[6:7]
	v_cmp_eq_u32_e64 s[8:9], 4, v0
	v_cmp_eq_u32_e64 s[10:11], 5, v0
	;; [unrolled: 1-line block ×3, first 2 shown]
	v_cndmask_b32_e64 v86, v86, v43, s[8:9]
	v_cndmask_b32_e64 v86, v86, v45, s[10:11]
	;; [unrolled: 1-line block ×3, first 2 shown]
	v_cmp_eq_u32_e64 s[14:15], 7, v0
	v_cmp_eq_u32_e64 s[16:17], 8, v0
	;; [unrolled: 1-line block ×3, first 2 shown]
	v_cndmask_b32_e64 v86, v86, v49, s[14:15]
	v_cndmask_b32_e64 v86, v86, v51, s[16:17]
	v_cndmask_b32_e64 v87, v86, v53, s[18:19]
	v_cndmask_b32_e32 v86, v34, v36, vcc
	v_cndmask_b32_e64 v86, v86, v38, s[4:5]
	v_cndmask_b32_e64 v86, v86, v40, s[6:7]
	;; [unrolled: 1-line block ×4, first 2 shown]
	ds_read_b64 v[88:89], v91
	v_cndmask_b32_e64 v86, v86, v46, s[12:13]
	v_cndmask_b32_e64 v86, v86, v48, s[14:15]
	;; [unrolled: 1-line block ×4, first 2 shown]
	s_waitcnt lgkmcnt(0)
	v_mul_f64 v[86:87], v[86:87], v[88:89]
	s_cbranch_execz .LBB73_53
	s_branch .LBB73_54
.LBB73_52:
                                        ; implicit-def: $vgpr86_vgpr87
.LBB73_53:
	ds_read_b64 v[86:87], v91
.LBB73_54:
	s_and_saveexec_b64 s[6:7], s[2:3]
	s_cbranch_execz .LBB73_64
; %bb.55:
	v_add_u32_e32 v88, -6, v0
	v_add_u32_e32 v89, -5, v0
	v_cmp_lt_u32_e32 vcc, 6, v88
	v_mov_b32_e32 v88, 5
	s_and_saveexec_b64 s[2:3], vcc
	s_cbranch_execz .LBB73_59
; %bb.56:
	v_and_b32_e32 v88, -8, v89
	v_sub_u32_e32 v90, 0, v88
	s_mov_b64 s[4:5], 12
	s_movk_i32 s10, 0x78
	s_mov_b64 s[8:9], 0
.LBB73_57:                              ; =>This Inner Loop Header: Depth=1
	s_lshl_b32 s11, s4, 1
	s_add_i32 s12, s11, -13
	v_mov_b32_e32 v106, s10
	s_add_i32 s13, s11, -14
	s_set_gpr_idx_on s12, gpr_idx(SRC0)
	v_mov_b32_e32 v101, v34
	s_set_gpr_idx_off
	s_add_i32 s14, s11, -11
	s_set_gpr_idx_on s13, gpr_idx(SRC0)
	v_mov_b32_e32 v100, v34
	s_set_gpr_idx_off
	ds_read2_b64 v[92:95], v106 offset1:1
	s_add_i32 s15, s11, -12
	s_set_gpr_idx_on s14, gpr_idx(SRC0)
	v_mov_b32_e32 v103, v34
	s_set_gpr_idx_off
	s_add_i32 s16, s11, -9
	s_set_gpr_idx_on s15, gpr_idx(SRC0)
	v_mov_b32_e32 v102, v34
	s_set_gpr_idx_off
	;; [unrolled: 4-line block ×4, first 2 shown]
	ds_read2_b64 v[96:99], v106 offset0:2 offset1:3
	s_add_i32 s19, s11, -8
	s_waitcnt lgkmcnt(1)
	v_fmac_f64_e32 v[86:87], v[100:101], v[92:93]
	s_set_gpr_idx_on s18, gpr_idx(SRC0)
	v_mov_b32_e32 v101, v34
	s_set_gpr_idx_off
	s_add_i32 s24, s11, -5
	v_fmac_f64_e32 v[86:87], v[102:103], v[94:95]
	s_set_gpr_idx_on s19, gpr_idx(SRC0)
	v_mov_b32_e32 v100, v34
	s_set_gpr_idx_off
	s_add_i32 s25, s11, -6
	s_set_gpr_idx_on s24, gpr_idx(SRC0)
	v_mov_b32_e32 v103, v34
	s_set_gpr_idx_off
	s_add_i32 s26, s11, -3
	;; [unrolled: 4-line block ×3, first 2 shown]
	ds_read2_b64 v[92:95], v106 offset0:4 offset1:5
	s_waitcnt lgkmcnt(1)
	v_fmac_f64_e32 v[86:87], v[104:105], v[96:97]
	s_set_gpr_idx_on s26, gpr_idx(SRC0)
	v_mov_b32_e32 v105, v34
	s_set_gpr_idx_off
	s_add_i32 s28, s11, -1
	v_fmac_f64_e32 v[86:87], v[100:101], v[98:99]
	s_set_gpr_idx_on s27, gpr_idx(SRC0)
	v_mov_b32_e32 v104, v34
	s_set_gpr_idx_off
	s_add_i32 s29, s11, -2
	s_set_gpr_idx_on s28, gpr_idx(SRC0)
	v_mov_b32_e32 v101, v34
	s_set_gpr_idx_off
	s_set_gpr_idx_on s29, gpr_idx(SRC0)
	v_mov_b32_e32 v100, v34
	s_set_gpr_idx_off
	ds_read2_b64 v[96:99], v106 offset0:6 offset1:7
	s_add_u32 s4, s4, 8
	s_waitcnt lgkmcnt(1)
	v_fmac_f64_e32 v[86:87], v[102:103], v[92:93]
	s_set_gpr_idx_on s11, gpr_idx(SRC0)
	v_mov_b32_e32 v93, v35
	s_set_gpr_idx_off
	v_add_u32_e32 v88, s4, v90
	v_fmac_f64_e32 v[86:87], v[104:105], v[94:95]
	s_set_gpr_idx_on s11, gpr_idx(SRC0)
	v_mov_b32_e32 v92, v34
	s_set_gpr_idx_off
	s_addc_u32 s5, s5, 0
	s_add_i32 s10, s10, 64
	s_add_i32 s12, s4, -7
	v_cmp_eq_u32_e32 vcc, 12, v88
	s_waitcnt lgkmcnt(0)
	v_fmac_f64_e32 v[86:87], v[100:101], v[96:97]
	v_mov_b32_e32 v88, s12
	s_or_b64 s[8:9], vcc, s[8:9]
	v_fmac_f64_e32 v[86:87], v[92:93], v[98:99]
	s_andn2_b64 exec, exec, s[8:9]
	s_cbranch_execnz .LBB73_57
; %bb.58:
	s_or_b64 exec, exec, s[8:9]
.LBB73_59:
	s_or_b64 exec, exec, s[2:3]
	v_and_b32_e32 v54, 7, v89
	v_cmp_ne_u32_e32 vcc, 0, v54
	s_and_saveexec_b64 s[8:9], vcc
	s_cbranch_execz .LBB73_63
; %bb.60:
	v_mov_b32_e32 v55, 0x50
	v_lshl_add_u32 v55, v88, 3, v55
	v_mov_b32_e32 v89, 0
	s_mov_b64 s[10:11], 0
.LBB73_61:                              ; =>This Inner Loop Header: Depth=1
	v_cmp_eq_u32_e32 vcc, 1, v88
	v_add_u32_e32 v54, -1, v54
	v_cmp_eq_u32_e64 s[2:3], 2, v88
	v_cndmask_b32_e32 v58, v35, v37, vcc
	v_cndmask_b32_e32 v59, v34, v36, vcc
	v_cndmask_b32_e64 v58, v58, v39, s[2:3]
	v_cmp_eq_u32_e32 vcc, 0, v54
	v_cmp_eq_u32_e64 s[4:5], 3, v88
	v_cndmask_b32_e64 v59, v59, v38, s[2:3]
	s_or_b64 s[10:11], vcc, s[10:11]
	v_cndmask_b32_e64 v58, v58, v41, s[4:5]
	v_cmp_eq_u32_e32 vcc, 4, v88
	v_cndmask_b32_e64 v59, v59, v40, s[4:5]
	v_cmp_eq_u32_e64 s[2:3], 5, v88
	v_cndmask_b32_e32 v58, v58, v43, vcc
	v_cndmask_b32_e32 v59, v59, v42, vcc
	v_cndmask_b32_e64 v58, v58, v45, s[2:3]
	v_cmp_eq_u32_e32 vcc, 6, v88
	ds_read_b64 v[56:57], v55
	v_cndmask_b32_e64 v59, v59, v44, s[2:3]
	v_cndmask_b32_e32 v58, v58, v47, vcc
	v_cmp_eq_u32_e64 s[2:3], 7, v88
	v_cndmask_b32_e32 v59, v59, v46, vcc
	v_cmp_eq_u32_e32 vcc, 8, v88
	v_cndmask_b32_e64 v58, v58, v49, s[2:3]
	v_cmp_eq_u32_e64 s[4:5], 9, v88
	v_cndmask_b32_e32 v58, v58, v51, vcc
	v_cndmask_b32_e64 v60, v59, v48, s[2:3]
	v_cndmask_b32_e64 v59, v58, v53, s[4:5]
	v_cndmask_b32_e32 v58, v60, v50, vcc
	v_cndmask_b32_e64 v58, v58, v52, s[4:5]
	v_add_u32_e32 v55, 8, v55
	v_lshl_add_u64 v[88:89], v[88:89], 0, 1
	s_waitcnt lgkmcnt(0)
	v_fmac_f64_e32 v[86:87], v[58:59], v[56:57]
	s_andn2_b64 exec, exec, s[10:11]
	s_cbranch_execnz .LBB73_61
; %bb.62:
	s_or_b64 exec, exec, s[10:11]
.LBB73_63:
	s_or_b64 exec, exec, s[8:9]
.LBB73_64:
	s_or_b64 exec, exec, s[6:7]
	v_mov_b32_e32 v42, 0
	ds_read_b64 v[42:43], v42 offset:32
	s_waitcnt lgkmcnt(0)
	v_mul_f64 v[42:43], v[86:87], v[42:43]
.LBB73_65:
	s_or_b64 exec, exec, s[20:21]
	v_cmp_lt_u32_e64 s[2:3], 3, v0
	ds_write_b64 v91, v[40:41]
	s_waitcnt lgkmcnt(0)
	; wave barrier
	s_and_saveexec_b64 s[20:21], s[2:3]
	s_cbranch_execz .LBB73_81
; %bb.66:
	s_andn2_b64 vcc, exec, s[22:23]
	s_cbranch_vccnz .LBB73_68
; %bb.67:
	v_cmp_eq_u32_e32 vcc, 1, v0
	v_cmp_eq_u32_e64 s[4:5], 2, v0
	v_cmp_eq_u32_e64 s[6:7], 3, v0
	v_cndmask_b32_e32 v86, v35, v37, vcc
	v_cndmask_b32_e64 v86, v86, v39, s[4:5]
	v_cndmask_b32_e64 v86, v86, v41, s[6:7]
	v_cmp_eq_u32_e64 s[8:9], 4, v0
	v_cmp_eq_u32_e64 s[10:11], 5, v0
	;; [unrolled: 1-line block ×3, first 2 shown]
	v_cndmask_b32_e64 v86, v86, v43, s[8:9]
	v_cndmask_b32_e64 v86, v86, v45, s[10:11]
	v_cndmask_b32_e64 v86, v86, v47, s[12:13]
	v_cmp_eq_u32_e64 s[14:15], 7, v0
	v_cmp_eq_u32_e64 s[16:17], 8, v0
	;; [unrolled: 1-line block ×3, first 2 shown]
	v_cndmask_b32_e64 v86, v86, v49, s[14:15]
	v_cndmask_b32_e64 v86, v86, v51, s[16:17]
	;; [unrolled: 1-line block ×3, first 2 shown]
	v_cndmask_b32_e32 v86, v34, v36, vcc
	v_cndmask_b32_e64 v86, v86, v38, s[4:5]
	v_cndmask_b32_e64 v86, v86, v40, s[6:7]
	;; [unrolled: 1-line block ×4, first 2 shown]
	ds_read_b64 v[88:89], v91
	v_cndmask_b32_e64 v86, v86, v46, s[12:13]
	v_cndmask_b32_e64 v86, v86, v48, s[14:15]
	;; [unrolled: 1-line block ×4, first 2 shown]
	s_waitcnt lgkmcnt(0)
	v_mul_f64 v[86:87], v[86:87], v[88:89]
	s_cbranch_execz .LBB73_69
	s_branch .LBB73_70
.LBB73_68:
                                        ; implicit-def: $vgpr86_vgpr87
.LBB73_69:
	ds_read_b64 v[86:87], v91
.LBB73_70:
	s_and_saveexec_b64 s[6:7], s[0:1]
	s_cbranch_execz .LBB73_80
; %bb.71:
	v_add_u32_e32 v88, -5, v0
	v_add_u32_e32 v89, -4, v0
	v_cmp_lt_u32_e32 vcc, 6, v88
	v_mov_b32_e32 v88, 4
	s_and_saveexec_b64 s[0:1], vcc
	s_cbranch_execz .LBB73_75
; %bb.72:
	v_and_b32_e32 v88, -8, v89
	v_sub_u32_e32 v90, 0, v88
	s_mov_b64 s[4:5], 5
	s_movk_i32 s10, 0x70
	s_mov_b64 s[8:9], 0
.LBB73_73:                              ; =>This Inner Loop Header: Depth=1
	s_lshl_b32 s11, s4, 1
	s_add_i32 s12, s11, -1
	s_add_i32 s13, s11, -2
	s_set_gpr_idx_on s12, gpr_idx(SRC0)
	v_mov_b32_e32 v109, v34
	s_set_gpr_idx_off
	v_mov_b32_e32 v88, s10
	s_set_gpr_idx_on s13, gpr_idx(SRC0)
	v_mov_b32_e32 v108, v34
	s_set_gpr_idx_off
	ds_read_b128 v[92:95], v88
	ds_read_b128 v[96:99], v88 offset:16
	ds_read_b128 v[100:103], v88 offset:32
	ds_read_b128 v[104:107], v88 offset:48
	s_set_gpr_idx_on s11, gpr_idx(SRC0)
	v_mov_b32_e32 v111, v35
	s_add_i32 s14, s11, 3
	v_mov_b32_e32 v110, v34
	s_set_gpr_idx_off
	s_add_i32 s15, s11, 2
	s_set_gpr_idx_on s14, gpr_idx(SRC0)
	v_mov_b32_e32 v113, v34
	s_set_gpr_idx_off
	s_add_i32 s16, s11, 5
	s_set_gpr_idx_on s15, gpr_idx(SRC0)
	v_mov_b32_e32 v112, v34
	s_set_gpr_idx_off
	s_add_i32 s17, s11, 4
	s_waitcnt lgkmcnt(3)
	v_fmac_f64_e32 v[86:87], v[108:109], v[92:93]
	s_set_gpr_idx_on s16, gpr_idx(SRC0)
	v_mov_b32_e32 v93, v34
	s_set_gpr_idx_off
	s_add_i32 s18, s11, 7
	v_fmac_f64_e32 v[86:87], v[110:111], v[94:95]
	s_set_gpr_idx_on s17, gpr_idx(SRC0)
	v_mov_b32_e32 v92, v34
	s_set_gpr_idx_off
	s_add_i32 s19, s11, 6
	s_waitcnt lgkmcnt(2)
	v_fmac_f64_e32 v[86:87], v[112:113], v[96:97]
	s_set_gpr_idx_on s18, gpr_idx(SRC0)
	v_mov_b32_e32 v95, v34
	s_set_gpr_idx_off
	s_add_i32 s24, s11, 9
	v_fmac_f64_e32 v[86:87], v[92:93], v[98:99]
	s_set_gpr_idx_on s19, gpr_idx(SRC0)
	v_mov_b32_e32 v94, v34
	s_set_gpr_idx_off
	s_add_i32 s25, s11, 8
	s_waitcnt lgkmcnt(1)
	v_fmac_f64_e32 v[86:87], v[94:95], v[100:101]
	s_set_gpr_idx_on s24, gpr_idx(SRC0)
	v_mov_b32_e32 v93, v34
	s_set_gpr_idx_off
	s_add_i32 s26, s11, 11
	s_set_gpr_idx_on s25, gpr_idx(SRC0)
	v_mov_b32_e32 v92, v34
	s_set_gpr_idx_off
	s_add_i32 s27, s11, 10
	s_add_i32 s28, s11, 13
	;; [unrolled: 1-line block ×3, first 2 shown]
	v_fmac_f64_e32 v[86:87], v[92:93], v[102:103]
	s_set_gpr_idx_on s26, gpr_idx(SRC0)
	v_mov_b32_e32 v93, v34
	s_set_gpr_idx_off
	s_add_u32 s4, s4, 8
	s_set_gpr_idx_on s27, gpr_idx(SRC0)
	v_mov_b32_e32 v92, v34
	s_set_gpr_idx_off
	v_add_u32_e32 v88, s4, v90
	s_waitcnt lgkmcnt(0)
	v_fmac_f64_e32 v[86:87], v[92:93], v[104:105]
	s_set_gpr_idx_on s28, gpr_idx(SRC0)
	v_mov_b32_e32 v93, v34
	s_set_gpr_idx_off
	s_addc_u32 s5, s5, 0
	s_add_i32 s10, s10, 64
	s_add_i32 s12, s4, -1
	v_cmp_eq_u32_e32 vcc, 5, v88
	s_set_gpr_idx_on s29, gpr_idx(SRC0)
	v_mov_b32_e32 v92, v34
	s_set_gpr_idx_off
	v_mov_b32_e32 v88, s12
	s_or_b64 s[8:9], vcc, s[8:9]
	v_fmac_f64_e32 v[86:87], v[92:93], v[106:107]
	s_andn2_b64 exec, exec, s[8:9]
	s_cbranch_execnz .LBB73_73
; %bb.74:
	s_or_b64 exec, exec, s[8:9]
.LBB73_75:
	s_or_b64 exec, exec, s[0:1]
	v_and_b32_e32 v54, 7, v89
	v_cmp_ne_u32_e32 vcc, 0, v54
	s_and_saveexec_b64 s[8:9], vcc
	s_cbranch_execz .LBB73_79
; %bb.76:
	v_mov_b32_e32 v55, 0x50
	v_lshl_add_u32 v55, v88, 3, v55
	v_mov_b32_e32 v89, 0
	s_mov_b64 s[10:11], 0
.LBB73_77:                              ; =>This Inner Loop Header: Depth=1
	v_cmp_eq_u32_e32 vcc, 1, v88
	v_add_u32_e32 v54, -1, v54
	v_cmp_eq_u32_e64 s[0:1], 2, v88
	v_cndmask_b32_e32 v58, v35, v37, vcc
	v_cndmask_b32_e32 v59, v34, v36, vcc
	v_cndmask_b32_e64 v58, v58, v39, s[0:1]
	v_cmp_eq_u32_e32 vcc, 0, v54
	v_cmp_eq_u32_e64 s[4:5], 3, v88
	v_cndmask_b32_e64 v59, v59, v38, s[0:1]
	s_or_b64 s[10:11], vcc, s[10:11]
	v_cndmask_b32_e64 v58, v58, v41, s[4:5]
	v_cmp_eq_u32_e32 vcc, 4, v88
	v_cndmask_b32_e64 v59, v59, v40, s[4:5]
	v_cmp_eq_u32_e64 s[0:1], 5, v88
	v_cndmask_b32_e32 v58, v58, v43, vcc
	v_cndmask_b32_e32 v59, v59, v42, vcc
	v_cndmask_b32_e64 v58, v58, v45, s[0:1]
	v_cmp_eq_u32_e32 vcc, 6, v88
	ds_read_b64 v[56:57], v55
	v_cndmask_b32_e64 v59, v59, v44, s[0:1]
	v_cndmask_b32_e32 v58, v58, v47, vcc
	v_cmp_eq_u32_e64 s[0:1], 7, v88
	v_cndmask_b32_e32 v59, v59, v46, vcc
	v_cmp_eq_u32_e32 vcc, 8, v88
	v_cndmask_b32_e64 v58, v58, v49, s[0:1]
	v_cmp_eq_u32_e64 s[4:5], 9, v88
	v_cndmask_b32_e32 v58, v58, v51, vcc
	v_cndmask_b32_e64 v60, v59, v48, s[0:1]
	v_cndmask_b32_e64 v59, v58, v53, s[4:5]
	v_cndmask_b32_e32 v58, v60, v50, vcc
	v_cndmask_b32_e64 v58, v58, v52, s[4:5]
	v_add_u32_e32 v55, 8, v55
	v_lshl_add_u64 v[88:89], v[88:89], 0, 1
	s_waitcnt lgkmcnt(0)
	v_fmac_f64_e32 v[86:87], v[58:59], v[56:57]
	s_andn2_b64 exec, exec, s[10:11]
	s_cbranch_execnz .LBB73_77
; %bb.78:
	s_or_b64 exec, exec, s[10:11]
.LBB73_79:
	s_or_b64 exec, exec, s[8:9]
.LBB73_80:
	s_or_b64 exec, exec, s[6:7]
	v_mov_b32_e32 v40, 0
	ds_read_b64 v[40:41], v40 offset:24
	s_waitcnt lgkmcnt(0)
	v_mul_f64 v[40:41], v[86:87], v[40:41]
.LBB73_81:
	s_or_b64 exec, exec, s[20:21]
	v_cmp_lt_u32_e64 s[0:1], 2, v0
	ds_write_b64 v91, v[38:39]
	s_waitcnt lgkmcnt(0)
	; wave barrier
	s_and_saveexec_b64 s[20:21], s[0:1]
	s_cbranch_execz .LBB73_97
; %bb.82:
	s_andn2_b64 vcc, exec, s[22:23]
	s_cbranch_vccnz .LBB73_84
; %bb.83:
	v_cmp_eq_u32_e32 vcc, 1, v0
	v_cmp_eq_u32_e64 s[4:5], 2, v0
	v_cmp_eq_u32_e64 s[6:7], 3, v0
	v_cndmask_b32_e32 v86, v35, v37, vcc
	v_cndmask_b32_e64 v86, v86, v39, s[4:5]
	v_cndmask_b32_e64 v86, v86, v41, s[6:7]
	v_cmp_eq_u32_e64 s[8:9], 4, v0
	v_cmp_eq_u32_e64 s[10:11], 5, v0
	;; [unrolled: 1-line block ×3, first 2 shown]
	v_cndmask_b32_e64 v86, v86, v43, s[8:9]
	v_cndmask_b32_e64 v86, v86, v45, s[10:11]
	;; [unrolled: 1-line block ×3, first 2 shown]
	v_cmp_eq_u32_e64 s[14:15], 7, v0
	v_cmp_eq_u32_e64 s[16:17], 8, v0
	;; [unrolled: 1-line block ×3, first 2 shown]
	v_cndmask_b32_e64 v86, v86, v49, s[14:15]
	v_cndmask_b32_e64 v86, v86, v51, s[16:17]
	;; [unrolled: 1-line block ×3, first 2 shown]
	v_cndmask_b32_e32 v86, v34, v36, vcc
	v_cndmask_b32_e64 v86, v86, v38, s[4:5]
	v_cndmask_b32_e64 v86, v86, v40, s[6:7]
	;; [unrolled: 1-line block ×4, first 2 shown]
	ds_read_b64 v[88:89], v91
	v_cndmask_b32_e64 v86, v86, v46, s[12:13]
	v_cndmask_b32_e64 v86, v86, v48, s[14:15]
	v_cndmask_b32_e64 v86, v86, v50, s[16:17]
	v_cndmask_b32_e64 v86, v86, v52, s[18:19]
	s_waitcnt lgkmcnt(0)
	v_mul_f64 v[86:87], v[86:87], v[88:89]
	s_cbranch_execz .LBB73_85
	s_branch .LBB73_86
.LBB73_84:
                                        ; implicit-def: $vgpr86_vgpr87
.LBB73_85:
	ds_read_b64 v[86:87], v91
.LBB73_86:
	s_and_saveexec_b64 s[6:7], s[2:3]
	s_cbranch_execz .LBB73_96
; %bb.87:
	v_add_u32_e32 v88, -4, v0
	v_add_u32_e32 v89, -3, v0
	v_cmp_lt_u32_e32 vcc, 6, v88
	v_mov_b32_e32 v88, 3
	s_and_saveexec_b64 s[2:3], vcc
	s_cbranch_execz .LBB73_91
; %bb.88:
	v_and_b32_e32 v88, -8, v89
	v_sub_u32_e32 v90, 0, v88
	s_mov_b64 s[4:5], 10
	s_movk_i32 s10, 0x68
	s_mov_b64 s[8:9], 0
.LBB73_89:                              ; =>This Inner Loop Header: Depth=1
	s_lshl_b32 s11, s4, 1
	s_add_i32 s12, s11, -13
	v_mov_b32_e32 v106, s10
	s_add_i32 s13, s11, -14
	s_set_gpr_idx_on s12, gpr_idx(SRC0)
	v_mov_b32_e32 v101, v34
	s_set_gpr_idx_off
	s_add_i32 s14, s11, -11
	s_set_gpr_idx_on s13, gpr_idx(SRC0)
	v_mov_b32_e32 v100, v34
	s_set_gpr_idx_off
	ds_read2_b64 v[92:95], v106 offset1:1
	s_add_i32 s15, s11, -12
	s_set_gpr_idx_on s14, gpr_idx(SRC0)
	v_mov_b32_e32 v103, v34
	s_set_gpr_idx_off
	s_add_i32 s16, s11, -9
	s_set_gpr_idx_on s15, gpr_idx(SRC0)
	v_mov_b32_e32 v102, v34
	s_set_gpr_idx_off
	;; [unrolled: 4-line block ×4, first 2 shown]
	ds_read2_b64 v[96:99], v106 offset0:2 offset1:3
	s_add_i32 s19, s11, -8
	s_waitcnt lgkmcnt(1)
	v_fmac_f64_e32 v[86:87], v[100:101], v[92:93]
	s_set_gpr_idx_on s18, gpr_idx(SRC0)
	v_mov_b32_e32 v101, v34
	s_set_gpr_idx_off
	s_add_i32 s24, s11, -5
	v_fmac_f64_e32 v[86:87], v[102:103], v[94:95]
	s_set_gpr_idx_on s19, gpr_idx(SRC0)
	v_mov_b32_e32 v100, v34
	s_set_gpr_idx_off
	s_add_i32 s25, s11, -6
	s_set_gpr_idx_on s24, gpr_idx(SRC0)
	v_mov_b32_e32 v103, v34
	s_set_gpr_idx_off
	s_add_i32 s26, s11, -3
	s_set_gpr_idx_on s25, gpr_idx(SRC0)
	v_mov_b32_e32 v102, v34
	s_set_gpr_idx_off
	s_add_i32 s27, s11, -4
	ds_read2_b64 v[92:95], v106 offset0:4 offset1:5
	s_waitcnt lgkmcnt(1)
	v_fmac_f64_e32 v[86:87], v[104:105], v[96:97]
	s_set_gpr_idx_on s26, gpr_idx(SRC0)
	v_mov_b32_e32 v105, v34
	s_set_gpr_idx_off
	s_add_i32 s28, s11, -1
	v_fmac_f64_e32 v[86:87], v[100:101], v[98:99]
	s_set_gpr_idx_on s27, gpr_idx(SRC0)
	v_mov_b32_e32 v104, v34
	s_set_gpr_idx_off
	s_add_i32 s29, s11, -2
	s_set_gpr_idx_on s28, gpr_idx(SRC0)
	v_mov_b32_e32 v101, v34
	s_set_gpr_idx_off
	s_set_gpr_idx_on s29, gpr_idx(SRC0)
	v_mov_b32_e32 v100, v34
	s_set_gpr_idx_off
	ds_read2_b64 v[96:99], v106 offset0:6 offset1:7
	s_add_u32 s4, s4, 8
	s_waitcnt lgkmcnt(1)
	v_fmac_f64_e32 v[86:87], v[102:103], v[92:93]
	s_set_gpr_idx_on s11, gpr_idx(SRC0)
	v_mov_b32_e32 v93, v35
	s_set_gpr_idx_off
	v_add_u32_e32 v88, s4, v90
	v_fmac_f64_e32 v[86:87], v[104:105], v[94:95]
	s_set_gpr_idx_on s11, gpr_idx(SRC0)
	v_mov_b32_e32 v92, v34
	s_set_gpr_idx_off
	s_addc_u32 s5, s5, 0
	s_add_i32 s10, s10, 64
	s_add_i32 s12, s4, -7
	v_cmp_eq_u32_e32 vcc, 10, v88
	s_waitcnt lgkmcnt(0)
	v_fmac_f64_e32 v[86:87], v[100:101], v[96:97]
	v_mov_b32_e32 v88, s12
	s_or_b64 s[8:9], vcc, s[8:9]
	v_fmac_f64_e32 v[86:87], v[92:93], v[98:99]
	s_andn2_b64 exec, exec, s[8:9]
	s_cbranch_execnz .LBB73_89
; %bb.90:
	s_or_b64 exec, exec, s[8:9]
.LBB73_91:
	s_or_b64 exec, exec, s[2:3]
	v_and_b32_e32 v54, 7, v89
	v_cmp_ne_u32_e32 vcc, 0, v54
	s_and_saveexec_b64 s[8:9], vcc
	s_cbranch_execz .LBB73_95
; %bb.92:
	v_mov_b32_e32 v55, 0x50
	v_lshl_add_u32 v55, v88, 3, v55
	v_mov_b32_e32 v89, 0
	s_mov_b64 s[10:11], 0
.LBB73_93:                              ; =>This Inner Loop Header: Depth=1
	v_cmp_eq_u32_e32 vcc, 1, v88
	v_add_u32_e32 v54, -1, v54
	v_cmp_eq_u32_e64 s[2:3], 2, v88
	v_cndmask_b32_e32 v58, v35, v37, vcc
	v_cndmask_b32_e32 v59, v34, v36, vcc
	v_cndmask_b32_e64 v58, v58, v39, s[2:3]
	v_cmp_eq_u32_e32 vcc, 0, v54
	v_cmp_eq_u32_e64 s[4:5], 3, v88
	v_cndmask_b32_e64 v59, v59, v38, s[2:3]
	s_or_b64 s[10:11], vcc, s[10:11]
	v_cndmask_b32_e64 v58, v58, v41, s[4:5]
	v_cmp_eq_u32_e32 vcc, 4, v88
	v_cndmask_b32_e64 v59, v59, v40, s[4:5]
	v_cmp_eq_u32_e64 s[2:3], 5, v88
	v_cndmask_b32_e32 v58, v58, v43, vcc
	v_cndmask_b32_e32 v59, v59, v42, vcc
	v_cndmask_b32_e64 v58, v58, v45, s[2:3]
	v_cmp_eq_u32_e32 vcc, 6, v88
	ds_read_b64 v[56:57], v55
	v_cndmask_b32_e64 v59, v59, v44, s[2:3]
	v_cndmask_b32_e32 v58, v58, v47, vcc
	v_cmp_eq_u32_e64 s[2:3], 7, v88
	v_cndmask_b32_e32 v59, v59, v46, vcc
	v_cmp_eq_u32_e32 vcc, 8, v88
	v_cndmask_b32_e64 v58, v58, v49, s[2:3]
	v_cmp_eq_u32_e64 s[4:5], 9, v88
	v_cndmask_b32_e32 v58, v58, v51, vcc
	v_cndmask_b32_e64 v60, v59, v48, s[2:3]
	v_cndmask_b32_e64 v59, v58, v53, s[4:5]
	v_cndmask_b32_e32 v58, v60, v50, vcc
	v_cndmask_b32_e64 v58, v58, v52, s[4:5]
	v_add_u32_e32 v55, 8, v55
	v_lshl_add_u64 v[88:89], v[88:89], 0, 1
	s_waitcnt lgkmcnt(0)
	v_fmac_f64_e32 v[86:87], v[58:59], v[56:57]
	s_andn2_b64 exec, exec, s[10:11]
	s_cbranch_execnz .LBB73_93
; %bb.94:
	s_or_b64 exec, exec, s[10:11]
.LBB73_95:
	s_or_b64 exec, exec, s[8:9]
.LBB73_96:
	s_or_b64 exec, exec, s[6:7]
	v_mov_b32_e32 v38, 0
	ds_read_b64 v[38:39], v38 offset:16
	s_waitcnt lgkmcnt(0)
	v_mul_f64 v[38:39], v[86:87], v[38:39]
.LBB73_97:
	s_or_b64 exec, exec, s[20:21]
	v_cmp_lt_u32_e64 s[2:3], 1, v0
	ds_write_b64 v91, v[36:37]
	s_waitcnt lgkmcnt(0)
	; wave barrier
	s_and_saveexec_b64 s[20:21], s[2:3]
	s_cbranch_execz .LBB73_113
; %bb.98:
	s_andn2_b64 vcc, exec, s[22:23]
	s_cbranch_vccnz .LBB73_100
; %bb.99:
	v_cmp_eq_u32_e32 vcc, 1, v0
	v_cmp_eq_u32_e64 s[4:5], 2, v0
	v_cmp_eq_u32_e64 s[6:7], 3, v0
	v_cndmask_b32_e32 v86, v35, v37, vcc
	v_cndmask_b32_e64 v86, v86, v39, s[4:5]
	v_cndmask_b32_e64 v86, v86, v41, s[6:7]
	v_cmp_eq_u32_e64 s[8:9], 4, v0
	v_cmp_eq_u32_e64 s[10:11], 5, v0
	;; [unrolled: 1-line block ×3, first 2 shown]
	v_cndmask_b32_e64 v86, v86, v43, s[8:9]
	v_cndmask_b32_e64 v86, v86, v45, s[10:11]
	;; [unrolled: 1-line block ×3, first 2 shown]
	v_cmp_eq_u32_e64 s[14:15], 7, v0
	v_cmp_eq_u32_e64 s[16:17], 8, v0
	;; [unrolled: 1-line block ×3, first 2 shown]
	v_cndmask_b32_e64 v86, v86, v49, s[14:15]
	v_cndmask_b32_e64 v86, v86, v51, s[16:17]
	;; [unrolled: 1-line block ×3, first 2 shown]
	v_cndmask_b32_e32 v86, v34, v36, vcc
	v_cndmask_b32_e64 v86, v86, v38, s[4:5]
	v_cndmask_b32_e64 v86, v86, v40, s[6:7]
	;; [unrolled: 1-line block ×4, first 2 shown]
	ds_read_b64 v[88:89], v91
	v_cndmask_b32_e64 v86, v86, v46, s[12:13]
	v_cndmask_b32_e64 v86, v86, v48, s[14:15]
	;; [unrolled: 1-line block ×4, first 2 shown]
	s_waitcnt lgkmcnt(0)
	v_mul_f64 v[86:87], v[86:87], v[88:89]
	s_cbranch_execz .LBB73_101
	s_branch .LBB73_102
.LBB73_100:
                                        ; implicit-def: $vgpr86_vgpr87
.LBB73_101:
	ds_read_b64 v[86:87], v91
.LBB73_102:
	s_and_saveexec_b64 s[6:7], s[0:1]
	s_cbranch_execz .LBB73_112
; %bb.103:
	v_add_u32_e32 v88, -3, v0
	v_add_u32_e32 v89, -2, v0
	v_cmp_lt_u32_e32 vcc, 6, v88
	v_mov_b32_e32 v88, 2
	s_and_saveexec_b64 s[0:1], vcc
	s_cbranch_execz .LBB73_107
; %bb.104:
	v_and_b32_e32 v88, -8, v89
	v_sub_u32_e32 v90, 0, v88
	s_mov_b64 s[4:5], 9
	s_movk_i32 s10, 0x60
	s_mov_b64 s[8:9], 0
.LBB73_105:                             ; =>This Inner Loop Header: Depth=1
	s_lshl_b32 s11, s4, 1
	s_add_i32 s12, s11, -13
	s_add_i32 s13, s11, -14
	s_set_gpr_idx_on s12, gpr_idx(SRC0)
	v_mov_b32_e32 v109, v34
	s_set_gpr_idx_off
	v_mov_b32_e32 v88, s10
	s_add_i32 s14, s11, -11
	s_set_gpr_idx_on s13, gpr_idx(SRC0)
	v_mov_b32_e32 v108, v34
	s_set_gpr_idx_off
	s_add_i32 s15, s11, -12
	ds_read_b128 v[92:95], v88
	ds_read_b128 v[96:99], v88 offset:16
	ds_read_b128 v[100:103], v88 offset:32
	ds_read_b128 v[104:107], v88 offset:48
	s_set_gpr_idx_on s14, gpr_idx(SRC0)
	v_mov_b32_e32 v111, v34
	s_set_gpr_idx_off
	s_add_i32 s16, s11, -9
	s_set_gpr_idx_on s15, gpr_idx(SRC0)
	v_mov_b32_e32 v110, v34
	s_set_gpr_idx_off
	s_add_i32 s17, s11, -10
	;; [unrolled: 4-line block ×4, first 2 shown]
	s_waitcnt lgkmcnt(3)
	v_fmac_f64_e32 v[86:87], v[108:109], v[92:93]
	s_set_gpr_idx_on s18, gpr_idx(SRC0)
	v_mov_b32_e32 v93, v34
	s_set_gpr_idx_off
	s_add_i32 s24, s11, -5
	v_fmac_f64_e32 v[86:87], v[110:111], v[94:95]
	s_set_gpr_idx_on s19, gpr_idx(SRC0)
	v_mov_b32_e32 v92, v34
	s_set_gpr_idx_off
	s_add_i32 s25, s11, -6
	s_waitcnt lgkmcnt(2)
	v_fmac_f64_e32 v[86:87], v[112:113], v[96:97]
	s_set_gpr_idx_on s24, gpr_idx(SRC0)
	v_mov_b32_e32 v95, v34
	s_set_gpr_idx_off
	s_add_i32 s26, s11, -3
	v_fmac_f64_e32 v[86:87], v[92:93], v[98:99]
	s_set_gpr_idx_on s25, gpr_idx(SRC0)
	v_mov_b32_e32 v94, v34
	s_set_gpr_idx_off
	s_add_i32 s27, s11, -4
	s_waitcnt lgkmcnt(1)
	v_fmac_f64_e32 v[86:87], v[94:95], v[100:101]
	s_set_gpr_idx_on s26, gpr_idx(SRC0)
	v_mov_b32_e32 v93, v34
	s_set_gpr_idx_off
	s_add_i32 s28, s11, -1
	s_set_gpr_idx_on s27, gpr_idx(SRC0)
	v_mov_b32_e32 v92, v34
	s_set_gpr_idx_off
	s_add_i32 s29, s11, -2
	v_fmac_f64_e32 v[86:87], v[92:93], v[102:103]
	s_set_gpr_idx_on s28, gpr_idx(SRC0)
	v_mov_b32_e32 v93, v34
	s_set_gpr_idx_off
	s_add_u32 s4, s4, 8
	s_set_gpr_idx_on s29, gpr_idx(SRC0)
	v_mov_b32_e32 v92, v34
	s_set_gpr_idx_off
	v_add_u32_e32 v88, s4, v90
	s_waitcnt lgkmcnt(0)
	v_fmac_f64_e32 v[86:87], v[92:93], v[104:105]
	s_set_gpr_idx_on s11, gpr_idx(SRC0)
	v_mov_b32_e32 v93, v35
	s_set_gpr_idx_off
	s_addc_u32 s5, s5, 0
	s_add_i32 s10, s10, 64
	s_add_i32 s12, s4, -7
	v_cmp_eq_u32_e32 vcc, 9, v88
	s_set_gpr_idx_on s11, gpr_idx(SRC0)
	v_mov_b32_e32 v92, v34
	s_set_gpr_idx_off
	v_mov_b32_e32 v88, s12
	s_or_b64 s[8:9], vcc, s[8:9]
	v_fmac_f64_e32 v[86:87], v[92:93], v[106:107]
	s_andn2_b64 exec, exec, s[8:9]
	s_cbranch_execnz .LBB73_105
; %bb.106:
	s_or_b64 exec, exec, s[8:9]
.LBB73_107:
	s_or_b64 exec, exec, s[0:1]
	v_and_b32_e32 v54, 7, v89
	v_cmp_ne_u32_e32 vcc, 0, v54
	s_and_saveexec_b64 s[8:9], vcc
	s_cbranch_execz .LBB73_111
; %bb.108:
	v_mov_b32_e32 v55, 0x50
	v_lshl_add_u32 v55, v88, 3, v55
	v_mov_b32_e32 v89, 0
	s_mov_b64 s[10:11], 0
.LBB73_109:                             ; =>This Inner Loop Header: Depth=1
	v_cmp_eq_u32_e32 vcc, 1, v88
	v_add_u32_e32 v54, -1, v54
	v_cmp_eq_u32_e64 s[0:1], 2, v88
	v_cndmask_b32_e32 v58, v35, v37, vcc
	v_cndmask_b32_e32 v59, v34, v36, vcc
	v_cndmask_b32_e64 v58, v58, v39, s[0:1]
	v_cmp_eq_u32_e32 vcc, 0, v54
	v_cmp_eq_u32_e64 s[4:5], 3, v88
	v_cndmask_b32_e64 v59, v59, v38, s[0:1]
	s_or_b64 s[10:11], vcc, s[10:11]
	v_cndmask_b32_e64 v58, v58, v41, s[4:5]
	v_cmp_eq_u32_e32 vcc, 4, v88
	v_cndmask_b32_e64 v59, v59, v40, s[4:5]
	v_cmp_eq_u32_e64 s[0:1], 5, v88
	v_cndmask_b32_e32 v58, v58, v43, vcc
	v_cndmask_b32_e32 v59, v59, v42, vcc
	v_cndmask_b32_e64 v58, v58, v45, s[0:1]
	v_cmp_eq_u32_e32 vcc, 6, v88
	ds_read_b64 v[56:57], v55
	v_cndmask_b32_e64 v59, v59, v44, s[0:1]
	v_cndmask_b32_e32 v58, v58, v47, vcc
	v_cmp_eq_u32_e64 s[0:1], 7, v88
	v_cndmask_b32_e32 v59, v59, v46, vcc
	v_cmp_eq_u32_e32 vcc, 8, v88
	v_cndmask_b32_e64 v58, v58, v49, s[0:1]
	v_cmp_eq_u32_e64 s[4:5], 9, v88
	v_cndmask_b32_e32 v58, v58, v51, vcc
	v_cndmask_b32_e64 v60, v59, v48, s[0:1]
	v_cndmask_b32_e64 v59, v58, v53, s[4:5]
	v_cndmask_b32_e32 v58, v60, v50, vcc
	v_cndmask_b32_e64 v58, v58, v52, s[4:5]
	v_add_u32_e32 v55, 8, v55
	v_lshl_add_u64 v[88:89], v[88:89], 0, 1
	s_waitcnt lgkmcnt(0)
	v_fmac_f64_e32 v[86:87], v[58:59], v[56:57]
	s_andn2_b64 exec, exec, s[10:11]
	s_cbranch_execnz .LBB73_109
; %bb.110:
	s_or_b64 exec, exec, s[10:11]
.LBB73_111:
	s_or_b64 exec, exec, s[8:9]
.LBB73_112:
	s_or_b64 exec, exec, s[6:7]
	v_mov_b32_e32 v36, 0
	ds_read_b64 v[36:37], v36 offset:8
	s_waitcnt lgkmcnt(0)
	v_mul_f64 v[36:37], v[86:87], v[36:37]
.LBB73_113:
	s_or_b64 exec, exec, s[20:21]
	v_cmp_ne_u32_e32 vcc, 0, v0
	ds_write_b64 v91, v[34:35]
	s_waitcnt lgkmcnt(0)
	; wave barrier
	s_and_saveexec_b64 s[18:19], vcc
	s_cbranch_execz .LBB73_129
; %bb.114:
	s_andn2_b64 vcc, exec, s[22:23]
	s_cbranch_vccnz .LBB73_116
; %bb.115:
	v_cmp_eq_u32_e32 vcc, 1, v0
	v_cmp_eq_u32_e64 s[0:1], 2, v0
	v_cmp_eq_u32_e64 s[4:5], 3, v0
	v_cndmask_b32_e32 v86, v35, v37, vcc
	v_cndmask_b32_e64 v86, v86, v39, s[0:1]
	v_cndmask_b32_e64 v86, v86, v41, s[4:5]
	v_cmp_eq_u32_e64 s[6:7], 4, v0
	v_cmp_eq_u32_e64 s[8:9], 5, v0
	;; [unrolled: 1-line block ×3, first 2 shown]
	v_cndmask_b32_e64 v86, v86, v43, s[6:7]
	v_cndmask_b32_e64 v86, v86, v45, s[8:9]
	;; [unrolled: 1-line block ×3, first 2 shown]
	v_cmp_eq_u32_e64 s[12:13], 7, v0
	v_cmp_eq_u32_e64 s[14:15], 8, v0
	;; [unrolled: 1-line block ×3, first 2 shown]
	v_cndmask_b32_e64 v86, v86, v49, s[12:13]
	v_cndmask_b32_e64 v86, v86, v51, s[14:15]
	v_cndmask_b32_e64 v87, v86, v53, s[16:17]
	v_cndmask_b32_e32 v86, v34, v36, vcc
	v_cndmask_b32_e64 v86, v86, v38, s[0:1]
	v_cndmask_b32_e64 v86, v86, v40, s[4:5]
	;; [unrolled: 1-line block ×4, first 2 shown]
	ds_read_b64 v[88:89], v91
	v_cndmask_b32_e64 v86, v86, v46, s[10:11]
	v_cndmask_b32_e64 v86, v86, v48, s[12:13]
	;; [unrolled: 1-line block ×4, first 2 shown]
	s_waitcnt lgkmcnt(0)
	v_mul_f64 v[86:87], v[86:87], v[88:89]
	s_cbranch_execz .LBB73_117
	s_branch .LBB73_118
.LBB73_116:
                                        ; implicit-def: $vgpr86_vgpr87
.LBB73_117:
	ds_read_b64 v[86:87], v91
.LBB73_118:
	s_and_saveexec_b64 s[4:5], s[2:3]
	s_cbranch_execz .LBB73_128
; %bb.119:
	v_add_u32_e32 v88, -2, v0
	v_add_u32_e32 v89, -1, v0
	v_cmp_lt_u32_e32 vcc, 6, v88
	v_mov_b32_e32 v88, 1
	s_and_saveexec_b64 s[0:1], vcc
	s_cbranch_execz .LBB73_123
; %bb.120:
	v_and_b32_e32 v88, -8, v89
	v_sub_u32_e32 v90, 0, v88
	s_mov_b64 s[2:3], 8
	s_movk_i32 s8, 0x58
	s_mov_b64 s[6:7], 0
.LBB73_121:                             ; =>This Inner Loop Header: Depth=1
	s_lshl_b32 s9, s2, 1
	s_add_i32 s10, s9, -13
	v_mov_b32_e32 v106, s8
	s_add_i32 s11, s9, -14
	s_set_gpr_idx_on s10, gpr_idx(SRC0)
	v_mov_b32_e32 v101, v34
	s_set_gpr_idx_off
	s_add_i32 s12, s9, -11
	s_set_gpr_idx_on s11, gpr_idx(SRC0)
	v_mov_b32_e32 v100, v34
	s_set_gpr_idx_off
	ds_read2_b64 v[92:95], v106 offset1:1
	s_add_i32 s13, s9, -12
	s_set_gpr_idx_on s12, gpr_idx(SRC0)
	v_mov_b32_e32 v103, v34
	s_set_gpr_idx_off
	s_add_i32 s14, s9, -9
	s_set_gpr_idx_on s13, gpr_idx(SRC0)
	v_mov_b32_e32 v102, v34
	s_set_gpr_idx_off
	;; [unrolled: 4-line block ×4, first 2 shown]
	ds_read2_b64 v[96:99], v106 offset0:2 offset1:3
	s_add_i32 s17, s9, -8
	s_waitcnt lgkmcnt(1)
	v_fmac_f64_e32 v[86:87], v[100:101], v[92:93]
	s_set_gpr_idx_on s16, gpr_idx(SRC0)
	v_mov_b32_e32 v101, v34
	s_set_gpr_idx_off
	s_add_i32 s20, s9, -5
	v_fmac_f64_e32 v[86:87], v[102:103], v[94:95]
	s_set_gpr_idx_on s17, gpr_idx(SRC0)
	v_mov_b32_e32 v100, v34
	s_set_gpr_idx_off
	s_add_i32 s21, s9, -6
	s_set_gpr_idx_on s20, gpr_idx(SRC0)
	v_mov_b32_e32 v103, v34
	s_set_gpr_idx_off
	s_add_i32 s24, s9, -3
	;; [unrolled: 4-line block ×3, first 2 shown]
	ds_read2_b64 v[92:95], v106 offset0:4 offset1:5
	s_waitcnt lgkmcnt(1)
	v_fmac_f64_e32 v[86:87], v[104:105], v[96:97]
	s_set_gpr_idx_on s24, gpr_idx(SRC0)
	v_mov_b32_e32 v105, v34
	s_set_gpr_idx_off
	s_add_i32 s26, s9, -1
	v_fmac_f64_e32 v[86:87], v[100:101], v[98:99]
	s_set_gpr_idx_on s25, gpr_idx(SRC0)
	v_mov_b32_e32 v104, v34
	s_set_gpr_idx_off
	s_add_i32 s27, s9, -2
	s_set_gpr_idx_on s26, gpr_idx(SRC0)
	v_mov_b32_e32 v101, v34
	s_set_gpr_idx_off
	s_set_gpr_idx_on s27, gpr_idx(SRC0)
	v_mov_b32_e32 v100, v34
	s_set_gpr_idx_off
	ds_read2_b64 v[96:99], v106 offset0:6 offset1:7
	s_add_u32 s2, s2, 8
	s_waitcnt lgkmcnt(1)
	v_fmac_f64_e32 v[86:87], v[102:103], v[92:93]
	s_set_gpr_idx_on s9, gpr_idx(SRC0)
	v_mov_b32_e32 v93, v35
	s_set_gpr_idx_off
	v_add_u32_e32 v88, s2, v90
	v_fmac_f64_e32 v[86:87], v[104:105], v[94:95]
	s_set_gpr_idx_on s9, gpr_idx(SRC0)
	v_mov_b32_e32 v92, v34
	s_set_gpr_idx_off
	s_addc_u32 s3, s3, 0
	s_add_i32 s8, s8, 64
	s_add_i32 s10, s2, -7
	v_cmp_eq_u32_e32 vcc, 8, v88
	s_waitcnt lgkmcnt(0)
	v_fmac_f64_e32 v[86:87], v[100:101], v[96:97]
	v_mov_b32_e32 v88, s10
	s_or_b64 s[6:7], vcc, s[6:7]
	v_fmac_f64_e32 v[86:87], v[92:93], v[98:99]
	s_andn2_b64 exec, exec, s[6:7]
	s_cbranch_execnz .LBB73_121
; %bb.122:
	s_or_b64 exec, exec, s[6:7]
.LBB73_123:
	s_or_b64 exec, exec, s[0:1]
	v_and_b32_e32 v54, 7, v89
	v_cmp_ne_u32_e32 vcc, 0, v54
	s_and_saveexec_b64 s[6:7], vcc
	s_cbranch_execz .LBB73_127
; %bb.124:
	v_mov_b32_e32 v55, 0x50
	v_lshl_add_u32 v55, v88, 3, v55
	v_mov_b32_e32 v89, 0
	s_mov_b64 s[8:9], 0
.LBB73_125:                             ; =>This Inner Loop Header: Depth=1
	v_cmp_eq_u32_e32 vcc, 1, v88
	v_add_u32_e32 v54, -1, v54
	v_cmp_eq_u32_e64 s[0:1], 2, v88
	v_cndmask_b32_e32 v58, v35, v37, vcc
	v_cndmask_b32_e32 v59, v34, v36, vcc
	v_cndmask_b32_e64 v58, v58, v39, s[0:1]
	v_cmp_eq_u32_e32 vcc, 0, v54
	v_cmp_eq_u32_e64 s[2:3], 3, v88
	v_cndmask_b32_e64 v59, v59, v38, s[0:1]
	s_or_b64 s[8:9], vcc, s[8:9]
	v_cndmask_b32_e64 v58, v58, v41, s[2:3]
	v_cmp_eq_u32_e32 vcc, 4, v88
	v_cndmask_b32_e64 v59, v59, v40, s[2:3]
	v_cmp_eq_u32_e64 s[0:1], 5, v88
	v_cndmask_b32_e32 v58, v58, v43, vcc
	v_cndmask_b32_e32 v59, v59, v42, vcc
	v_cndmask_b32_e64 v58, v58, v45, s[0:1]
	v_cmp_eq_u32_e32 vcc, 6, v88
	ds_read_b64 v[56:57], v55
	v_cndmask_b32_e64 v59, v59, v44, s[0:1]
	v_cndmask_b32_e32 v58, v58, v47, vcc
	v_cmp_eq_u32_e64 s[0:1], 7, v88
	v_cndmask_b32_e32 v59, v59, v46, vcc
	v_cmp_eq_u32_e32 vcc, 8, v88
	v_cndmask_b32_e64 v58, v58, v49, s[0:1]
	v_cmp_eq_u32_e64 s[2:3], 9, v88
	v_cndmask_b32_e32 v58, v58, v51, vcc
	v_cndmask_b32_e64 v60, v59, v48, s[0:1]
	v_cndmask_b32_e64 v59, v58, v53, s[2:3]
	v_cndmask_b32_e32 v58, v60, v50, vcc
	v_cndmask_b32_e64 v58, v58, v52, s[2:3]
	v_add_u32_e32 v55, 8, v55
	v_lshl_add_u64 v[88:89], v[88:89], 0, 1
	s_waitcnt lgkmcnt(0)
	v_fmac_f64_e32 v[86:87], v[58:59], v[56:57]
	s_andn2_b64 exec, exec, s[8:9]
	s_cbranch_execnz .LBB73_125
; %bb.126:
	s_or_b64 exec, exec, s[8:9]
.LBB73_127:
	s_or_b64 exec, exec, s[6:7]
.LBB73_128:
	s_or_b64 exec, exec, s[4:5]
	v_mov_b32_e32 v34, 0
	ds_read_b64 v[34:35], v34
	s_waitcnt lgkmcnt(0)
	v_mul_f64 v[34:35], v[86:87], v[34:35]
.LBB73_129:
	s_or_b64 exec, exec, s[18:19]
	s_branch .LBB73_223
.LBB73_130:
	v_cmp_eq_u32_e64 s[0:1], 0, v0
	s_waitcnt vmcnt(0) lgkmcnt(0)
	ds_write_b64 v91, v[4:5]
	s_waitcnt lgkmcnt(0)
	; wave barrier
	s_and_saveexec_b64 s[18:19], s[0:1]
	s_cbranch_execz .LBB73_136
; %bb.131:
	s_and_b64 vcc, exec, s[22:23]
	s_cbranch_vccz .LBB73_133
; %bb.132:
	v_cmp_eq_u32_e32 vcc, 1, v0
	v_cmp_eq_u32_e64 s[2:3], 2, v0
	v_cmp_eq_u32_e64 s[4:5], 3, v0
	v_cndmask_b32_e32 v5, v3, v5, vcc
	v_cndmask_b32_e32 v4, v2, v4, vcc
	v_cndmask_b32_e64 v5, v5, v7, s[2:3]
	v_cndmask_b32_e64 v4, v4, v6, s[2:3]
	;; [unrolled: 1-line block ×3, first 2 shown]
	v_cmp_eq_u32_e64 s[6:7], 4, v0
	v_cndmask_b32_e64 v4, v4, v8, s[4:5]
	v_cmp_eq_u32_e64 s[8:9], 5, v0
	v_cndmask_b32_e64 v5, v5, v11, s[6:7]
	v_cndmask_b32_e64 v4, v4, v10, s[6:7]
	;; [unrolled: 1-line block ×3, first 2 shown]
	v_cmp_eq_u32_e64 s[10:11], 6, v0
	v_cndmask_b32_e64 v4, v4, v12, s[8:9]
	ds_read_b64 v[22:23], v91
	v_cndmask_b32_e64 v5, v5, v15, s[10:11]
	v_cmp_eq_u32_e64 s[12:13], 7, v0
	v_cndmask_b32_e64 v4, v4, v14, s[10:11]
	v_cmp_eq_u32_e64 s[14:15], 8, v0
	v_cndmask_b32_e64 v5, v5, v17, s[12:13]
	v_cndmask_b32_e64 v4, v4, v16, s[12:13]
	;; [unrolled: 1-line block ×3, first 2 shown]
	v_cmp_eq_u32_e64 s[16:17], 9, v0
	v_cndmask_b32_e64 v4, v4, v18, s[14:15]
	s_nop 0
	v_cndmask_b32_e64 v5, v5, v21, s[16:17]
	v_cndmask_b32_e64 v4, v4, v20, s[16:17]
	s_waitcnt lgkmcnt(0)
	v_mul_f64 v[4:5], v[4:5], v[22:23]
	s_cbranch_execz .LBB73_134
	s_branch .LBB73_135
.LBB73_133:
                                        ; implicit-def: $vgpr4_vgpr5
.LBB73_134:
	ds_read_b64 v[4:5], v91
.LBB73_135:
	v_mov_b32_e32 v22, 0
	ds_read_b64 v[22:23], v22 offset:8
	s_waitcnt lgkmcnt(0)
	v_mul_f64 v[4:5], v[4:5], v[22:23]
.LBB73_136:
	s_or_b64 exec, exec, s[18:19]
	v_cndmask_b32_e64 v34, 0, 1, s[22:23]
	v_cmp_gt_u32_e64 s[2:3], 2, v0
	v_cmp_ne_u32_e64 s[4:5], 1, v34
	ds_write_b64 v91, v[6:7]
	s_waitcnt lgkmcnt(0)
	; wave barrier
	s_and_saveexec_b64 s[22:23], s[2:3]
	s_cbranch_execz .LBB73_142
; %bb.137:
	s_and_b64 vcc, exec, s[4:5]
	s_cbranch_vccnz .LBB73_139
; %bb.138:
	v_cmp_eq_u32_e32 vcc, 1, v0
	v_cmp_eq_u32_e64 s[6:7], 2, v0
	v_cmp_eq_u32_e64 s[8:9], 3, v0
	v_cndmask_b32_e32 v22, v3, v5, vcc
	v_cndmask_b32_e64 v7, v22, v7, s[6:7]
	v_cndmask_b32_e32 v22, v2, v4, vcc
	v_cndmask_b32_e64 v6, v22, v6, s[6:7]
	v_cndmask_b32_e64 v7, v7, v9, s[8:9]
	v_cmp_eq_u32_e64 s[10:11], 4, v0
	v_cndmask_b32_e64 v6, v6, v8, s[8:9]
	v_cmp_eq_u32_e64 s[12:13], 5, v0
	v_cndmask_b32_e64 v7, v7, v11, s[10:11]
	v_cndmask_b32_e64 v6, v6, v10, s[10:11]
	;; [unrolled: 1-line block ×3, first 2 shown]
	v_cmp_eq_u32_e64 s[14:15], 6, v0
	v_cndmask_b32_e64 v6, v6, v12, s[12:13]
	ds_read_b64 v[22:23], v91
	v_cndmask_b32_e64 v7, v7, v15, s[14:15]
	v_cmp_eq_u32_e64 s[16:17], 7, v0
	v_cndmask_b32_e64 v6, v6, v14, s[14:15]
	v_cmp_eq_u32_e64 s[18:19], 8, v0
	v_cndmask_b32_e64 v7, v7, v17, s[16:17]
	v_cndmask_b32_e64 v6, v6, v16, s[16:17]
	;; [unrolled: 1-line block ×3, first 2 shown]
	v_cmp_eq_u32_e64 s[20:21], 9, v0
	v_cndmask_b32_e64 v6, v6, v18, s[18:19]
	s_nop 0
	v_cndmask_b32_e64 v7, v7, v21, s[20:21]
	v_cndmask_b32_e64 v6, v6, v20, s[20:21]
	s_waitcnt lgkmcnt(0)
	v_mul_f64 v[6:7], v[6:7], v[22:23]
	s_cbranch_execz .LBB73_140
	s_branch .LBB73_141
.LBB73_139:
                                        ; implicit-def: $vgpr6_vgpr7
.LBB73_140:
	ds_read_b64 v[6:7], v91
.LBB73_141:
	v_mov_b32_e32 v22, 0
	ds_read2_b64 v[22:25], v22 offset0:2 offset1:11
	s_waitcnt lgkmcnt(0)
	v_fma_f64 v[24:25], v[4:5], v[24:25], v[6:7]
	v_cndmask_b32_e64 v7, v7, v25, s[0:1]
	v_cndmask_b32_e64 v6, v6, v24, s[0:1]
	v_mul_f64 v[6:7], v[6:7], v[22:23]
.LBB73_142:
	s_or_b64 exec, exec, s[22:23]
	v_add_u32_e32 v34, 1, v0
	v_cmp_gt_u32_e32 vcc, 3, v0
	ds_write_b64 v91, v[8:9]
	s_waitcnt lgkmcnt(0)
	; wave barrier
	s_and_saveexec_b64 s[22:23], vcc
	s_cbranch_execz .LBB73_150
; %bb.143:
	s_and_b64 vcc, exec, s[4:5]
	s_cbranch_vccnz .LBB73_145
; %bb.144:
	v_cmp_eq_u32_e32 vcc, 1, v0
	v_cmp_eq_u32_e64 s[6:7], 2, v0
	v_cmp_eq_u32_e64 s[8:9], 3, v0
	v_cndmask_b32_e32 v22, v3, v5, vcc
	v_cndmask_b32_e64 v22, v22, v7, s[6:7]
	v_cndmask_b32_e64 v22, v22, v9, s[8:9]
	v_cmp_eq_u32_e64 s[10:11], 4, v0
	v_cmp_eq_u32_e64 s[12:13], 5, v0
	;; [unrolled: 1-line block ×3, first 2 shown]
	v_cndmask_b32_e64 v22, v22, v11, s[10:11]
	v_cndmask_b32_e64 v22, v22, v13, s[12:13]
	;; [unrolled: 1-line block ×3, first 2 shown]
	v_cmp_eq_u32_e64 s[16:17], 7, v0
	v_cmp_eq_u32_e64 s[18:19], 8, v0
	;; [unrolled: 1-line block ×3, first 2 shown]
	v_cndmask_b32_e64 v22, v22, v17, s[16:17]
	v_cndmask_b32_e64 v22, v22, v19, s[18:19]
	;; [unrolled: 1-line block ×3, first 2 shown]
	v_cndmask_b32_e32 v22, v2, v4, vcc
	v_cndmask_b32_e64 v22, v22, v6, s[6:7]
	v_cndmask_b32_e64 v22, v22, v8, s[8:9]
	;; [unrolled: 1-line block ×4, first 2 shown]
	ds_read_b64 v[24:25], v91
	v_cndmask_b32_e64 v22, v22, v14, s[14:15]
	v_cndmask_b32_e64 v22, v22, v16, s[16:17]
	;; [unrolled: 1-line block ×4, first 2 shown]
	s_waitcnt lgkmcnt(0)
	v_mul_f64 v[22:23], v[22:23], v[24:25]
	s_cbranch_execz .LBB73_146
	s_branch .LBB73_147
.LBB73_145:
                                        ; implicit-def: $vgpr22_vgpr23
.LBB73_146:
	ds_read_b64 v[22:23], v91
.LBB73_147:
	v_cmp_ne_u32_e32 vcc, 2, v0
	s_and_saveexec_b64 s[24:25], vcc
	s_cbranch_execz .LBB73_149
; %bb.148:
	v_cmp_eq_u32_e32 vcc, 1, v34
	v_cmp_eq_u32_e64 s[6:7], 2, v34
	v_cmp_eq_u32_e64 s[8:9], 3, v34
	v_cndmask_b32_e32 v24, v3, v5, vcc
	v_cndmask_b32_e64 v24, v24, v7, s[6:7]
	v_cndmask_b32_e64 v9, v24, v9, s[8:9]
	v_cndmask_b32_e32 v24, v2, v4, vcc
	v_cndmask_b32_e64 v24, v24, v6, s[6:7]
	v_cmp_eq_u32_e64 s[10:11], 4, v34
	v_cndmask_b32_e64 v8, v24, v8, s[8:9]
	v_cmp_eq_u32_e64 s[12:13], 5, v34
	v_cndmask_b32_e64 v9, v9, v11, s[10:11]
	v_cndmask_b32_e64 v8, v8, v10, s[10:11]
	;; [unrolled: 1-line block ×3, first 2 shown]
	v_cmp_eq_u32_e64 s[14:15], 6, v34
	v_cndmask_b32_e64 v8, v8, v12, s[12:13]
	v_mov_b32_e32 v26, 0
	v_cndmask_b32_e64 v9, v9, v15, s[14:15]
	v_cmp_eq_u32_e64 s[16:17], 7, v34
	v_cndmask_b32_e64 v8, v8, v14, s[14:15]
	ds_read_b64 v[24:25], v91 offset:8
	ds_read_b64 v[26:27], v26 offset:96
	v_cndmask_b32_e64 v9, v9, v17, s[16:17]
	v_cmp_eq_u32_e64 s[18:19], 8, v34
	v_cndmask_b32_e64 v8, v8, v16, s[16:17]
	v_cmp_eq_u32_e64 s[20:21], 9, v34
	v_cndmask_b32_e64 v9, v9, v19, s[18:19]
	v_cndmask_b32_e64 v8, v8, v18, s[18:19]
	v_cndmask_b32_e64 v9, v9, v21, s[20:21]
	v_cndmask_b32_e64 v8, v8, v20, s[20:21]
	s_waitcnt lgkmcnt(1)
	v_fmac_f64_e32 v[22:23], v[8:9], v[24:25]
	s_waitcnt lgkmcnt(0)
	v_fma_f64 v[8:9], v[6:7], v[26:27], v[22:23]
	v_cndmask_b32_e64 v23, v23, v9, s[0:1]
	v_cndmask_b32_e64 v22, v22, v8, s[0:1]
.LBB73_149:
	s_or_b64 exec, exec, s[24:25]
	v_mov_b32_e32 v8, 0
	ds_read_b64 v[8:9], v8 offset:24
	s_waitcnt lgkmcnt(0)
	v_mul_f64 v[8:9], v[22:23], v[8:9]
.LBB73_150:
	s_or_b64 exec, exec, s[22:23]
	v_cmp_gt_u32_e64 s[6:7], 4, v0
	ds_write_b64 v91, v[10:11]
	s_waitcnt lgkmcnt(0)
	; wave barrier
	s_and_saveexec_b64 s[24:25], s[6:7]
	s_cbranch_execz .LBB73_160
; %bb.151:
	s_and_b64 vcc, exec, s[4:5]
	s_cbranch_vccnz .LBB73_153
; %bb.152:
	v_cmp_eq_u32_e32 vcc, 1, v0
	v_cmp_eq_u32_e64 s[8:9], 2, v0
	v_cmp_eq_u32_e64 s[10:11], 3, v0
	v_cndmask_b32_e32 v22, v3, v5, vcc
	v_cndmask_b32_e64 v22, v22, v7, s[8:9]
	v_cndmask_b32_e64 v22, v22, v9, s[10:11]
	v_cmp_eq_u32_e64 s[12:13], 4, v0
	v_cmp_eq_u32_e64 s[14:15], 5, v0
	;; [unrolled: 1-line block ×3, first 2 shown]
	v_cndmask_b32_e64 v22, v22, v11, s[12:13]
	v_cndmask_b32_e64 v22, v22, v13, s[14:15]
	;; [unrolled: 1-line block ×3, first 2 shown]
	v_cmp_eq_u32_e64 s[18:19], 7, v0
	v_cmp_eq_u32_e64 s[20:21], 8, v0
	;; [unrolled: 1-line block ×3, first 2 shown]
	v_cndmask_b32_e64 v22, v22, v17, s[18:19]
	v_cndmask_b32_e64 v22, v22, v19, s[20:21]
	;; [unrolled: 1-line block ×3, first 2 shown]
	v_cndmask_b32_e32 v22, v2, v4, vcc
	v_cndmask_b32_e64 v22, v22, v6, s[8:9]
	v_cndmask_b32_e64 v22, v22, v8, s[10:11]
	v_cndmask_b32_e64 v22, v22, v10, s[12:13]
	v_cndmask_b32_e64 v22, v22, v12, s[14:15]
	ds_read_b64 v[24:25], v91
	v_cndmask_b32_e64 v22, v22, v14, s[16:17]
	v_cndmask_b32_e64 v22, v22, v16, s[18:19]
	;; [unrolled: 1-line block ×4, first 2 shown]
	s_waitcnt lgkmcnt(0)
	v_mul_f64 v[22:23], v[22:23], v[24:25]
	s_cbranch_execz .LBB73_154
	s_branch .LBB73_155
.LBB73_153:
                                        ; implicit-def: $vgpr22_vgpr23
.LBB73_154:
	ds_read_b64 v[22:23], v91
.LBB73_155:
	v_cmp_ne_u32_e32 vcc, 3, v0
	s_and_saveexec_b64 s[12:13], vcc
	s_cbranch_execz .LBB73_159
; %bb.156:
	v_mov_b32_e32 v24, 0x58
	v_lshl_add_u32 v26, v0, 3, v24
	s_mov_b64 s[14:15], 0
	v_mov_b64_e32 v[24:25], v[0:1]
.LBB73_157:                             ; =>This Inner Loop Header: Depth=1
	v_lshl_add_u64 v[24:25], v[24:25], 0, 1
	v_cmp_eq_u32_e32 vcc, 1, v24
	v_cmp_eq_u32_e64 s[10:11], 2, v24
	v_cmp_lt_u32_e64 s[8:9], 2, v24
	v_cndmask_b32_e32 v27, v3, v5, vcc
	v_cndmask_b32_e64 v27, v27, v7, s[10:11]
	v_cndmask_b32_e32 v30, v2, v4, vcc
	v_cmp_eq_u32_e32 vcc, 3, v24
	s_or_b64 s[14:15], s[8:9], s[14:15]
	v_cndmask_b32_e64 v30, v30, v6, s[10:11]
	v_cndmask_b32_e32 v27, v27, v9, vcc
	v_cmp_eq_u32_e64 s[8:9], 4, v24
	v_cndmask_b32_e32 v30, v30, v8, vcc
	v_cmp_eq_u32_e32 vcc, 5, v24
	v_cndmask_b32_e64 v27, v27, v11, s[8:9]
	v_cndmask_b32_e64 v30, v30, v10, s[8:9]
	v_cndmask_b32_e32 v27, v27, v13, vcc
	v_cmp_eq_u32_e64 s[8:9], 6, v24
	ds_read_b64 v[28:29], v26
	v_cndmask_b32_e32 v30, v30, v12, vcc
	v_cndmask_b32_e64 v27, v27, v15, s[8:9]
	v_cmp_eq_u32_e32 vcc, 7, v24
	v_cndmask_b32_e64 v30, v30, v14, s[8:9]
	v_cmp_eq_u32_e64 s[8:9], 8, v24
	v_cndmask_b32_e32 v27, v27, v17, vcc
	v_cndmask_b32_e32 v30, v30, v16, vcc
	v_cndmask_b32_e64 v27, v27, v19, s[8:9]
	v_cmp_eq_u32_e32 vcc, 9, v24
	v_add_u32_e32 v26, 8, v26
	s_nop 0
	v_cndmask_b32_e32 v31, v27, v21, vcc
	v_cndmask_b32_e64 v27, v30, v18, s[8:9]
	v_cndmask_b32_e32 v30, v27, v20, vcc
	s_waitcnt lgkmcnt(0)
	v_fmac_f64_e32 v[22:23], v[30:31], v[28:29]
	s_andn2_b64 exec, exec, s[14:15]
	s_cbranch_execnz .LBB73_157
; %bb.158:
	s_or_b64 exec, exec, s[14:15]
.LBB73_159:
	s_or_b64 exec, exec, s[12:13]
	v_mov_b32_e32 v10, 0
	ds_read_b64 v[10:11], v10 offset:32
	s_waitcnt lgkmcnt(0)
	v_mul_f64 v[10:11], v[22:23], v[10:11]
.LBB73_160:
	s_or_b64 exec, exec, s[24:25]
	v_cmp_gt_u32_e32 vcc, 5, v0
	ds_write_b64 v91, v[12:13]
	s_waitcnt lgkmcnt(0)
	; wave barrier
	s_and_saveexec_b64 s[24:25], vcc
	s_cbranch_execz .LBB73_170
; %bb.161:
	s_and_b64 vcc, exec, s[4:5]
	s_cbranch_vccnz .LBB73_163
; %bb.162:
	v_cmp_eq_u32_e32 vcc, 1, v0
	v_cmp_eq_u32_e64 s[8:9], 2, v0
	v_cmp_eq_u32_e64 s[10:11], 3, v0
	v_cndmask_b32_e32 v22, v3, v5, vcc
	v_cndmask_b32_e64 v22, v22, v7, s[8:9]
	v_cndmask_b32_e64 v22, v22, v9, s[10:11]
	v_cmp_eq_u32_e64 s[12:13], 4, v0
	v_cmp_eq_u32_e64 s[14:15], 5, v0
	;; [unrolled: 1-line block ×3, first 2 shown]
	v_cndmask_b32_e64 v22, v22, v11, s[12:13]
	v_cndmask_b32_e64 v22, v22, v13, s[14:15]
	;; [unrolled: 1-line block ×3, first 2 shown]
	v_cmp_eq_u32_e64 s[18:19], 7, v0
	v_cmp_eq_u32_e64 s[20:21], 8, v0
	;; [unrolled: 1-line block ×3, first 2 shown]
	v_cndmask_b32_e64 v22, v22, v17, s[18:19]
	v_cndmask_b32_e64 v22, v22, v19, s[20:21]
	;; [unrolled: 1-line block ×3, first 2 shown]
	v_cndmask_b32_e32 v22, v2, v4, vcc
	v_cndmask_b32_e64 v22, v22, v6, s[8:9]
	v_cndmask_b32_e64 v22, v22, v8, s[10:11]
	;; [unrolled: 1-line block ×4, first 2 shown]
	ds_read_b64 v[24:25], v91
	v_cndmask_b32_e64 v22, v22, v14, s[16:17]
	v_cndmask_b32_e64 v22, v22, v16, s[18:19]
	;; [unrolled: 1-line block ×4, first 2 shown]
	s_waitcnt lgkmcnt(0)
	v_mul_f64 v[22:23], v[22:23], v[24:25]
	s_cbranch_execz .LBB73_164
	s_branch .LBB73_165
.LBB73_163:
                                        ; implicit-def: $vgpr22_vgpr23
.LBB73_164:
	ds_read_b64 v[22:23], v91
.LBB73_165:
	v_cmp_ne_u32_e32 vcc, 4, v0
	s_and_saveexec_b64 s[12:13], vcc
	s_cbranch_execz .LBB73_169
; %bb.166:
	v_mov_b32_e32 v24, 0x58
	v_lshl_add_u32 v26, v0, 3, v24
	s_mov_b64 s[14:15], 0
	v_mov_b64_e32 v[24:25], v[0:1]
.LBB73_167:                             ; =>This Inner Loop Header: Depth=1
	v_lshl_add_u64 v[24:25], v[24:25], 0, 1
	v_cmp_eq_u32_e32 vcc, 1, v24
	v_cmp_eq_u32_e64 s[10:11], 2, v24
	v_cmp_lt_u32_e64 s[8:9], 3, v24
	v_cndmask_b32_e32 v27, v3, v5, vcc
	v_cndmask_b32_e64 v27, v27, v7, s[10:11]
	v_cndmask_b32_e32 v30, v2, v4, vcc
	v_cmp_eq_u32_e32 vcc, 3, v24
	s_or_b64 s[14:15], s[8:9], s[14:15]
	v_cndmask_b32_e64 v30, v30, v6, s[10:11]
	v_cndmask_b32_e32 v27, v27, v9, vcc
	v_cmp_eq_u32_e64 s[8:9], 4, v24
	v_cndmask_b32_e32 v30, v30, v8, vcc
	v_cmp_eq_u32_e32 vcc, 5, v24
	v_cndmask_b32_e64 v27, v27, v11, s[8:9]
	v_cndmask_b32_e64 v30, v30, v10, s[8:9]
	v_cndmask_b32_e32 v27, v27, v13, vcc
	v_cmp_eq_u32_e64 s[8:9], 6, v24
	ds_read_b64 v[28:29], v26
	v_cndmask_b32_e32 v30, v30, v12, vcc
	v_cndmask_b32_e64 v27, v27, v15, s[8:9]
	v_cmp_eq_u32_e32 vcc, 7, v24
	v_cndmask_b32_e64 v30, v30, v14, s[8:9]
	v_cmp_eq_u32_e64 s[8:9], 8, v24
	v_cndmask_b32_e32 v27, v27, v17, vcc
	v_cndmask_b32_e32 v30, v30, v16, vcc
	v_cndmask_b32_e64 v27, v27, v19, s[8:9]
	v_cmp_eq_u32_e32 vcc, 9, v24
	v_add_u32_e32 v26, 8, v26
	s_nop 0
	v_cndmask_b32_e32 v31, v27, v21, vcc
	v_cndmask_b32_e64 v27, v30, v18, s[8:9]
	v_cndmask_b32_e32 v30, v27, v20, vcc
	s_waitcnt lgkmcnt(0)
	v_fmac_f64_e32 v[22:23], v[30:31], v[28:29]
	s_andn2_b64 exec, exec, s[14:15]
	s_cbranch_execnz .LBB73_167
; %bb.168:
	s_or_b64 exec, exec, s[14:15]
.LBB73_169:
	s_or_b64 exec, exec, s[12:13]
	v_mov_b32_e32 v12, 0
	ds_read_b64 v[12:13], v12 offset:40
	s_waitcnt lgkmcnt(0)
	v_mul_f64 v[12:13], v[22:23], v[12:13]
.LBB73_170:
	s_or_b64 exec, exec, s[24:25]
	v_cmp_gt_u32_e64 s[8:9], 6, v0
	ds_write_b64 v91, v[14:15]
	s_waitcnt lgkmcnt(0)
	; wave barrier
	s_and_saveexec_b64 s[26:27], s[8:9]
	s_cbranch_execz .LBB73_180
; %bb.171:
	s_and_b64 vcc, exec, s[4:5]
	s_cbranch_vccnz .LBB73_173
; %bb.172:
	v_cmp_eq_u32_e32 vcc, 1, v0
	v_cmp_eq_u32_e64 s[10:11], 2, v0
	v_cmp_eq_u32_e64 s[12:13], 3, v0
	v_cndmask_b32_e32 v22, v3, v5, vcc
	v_cndmask_b32_e64 v22, v22, v7, s[10:11]
	v_cndmask_b32_e64 v22, v22, v9, s[12:13]
	v_cmp_eq_u32_e64 s[14:15], 4, v0
	v_cmp_eq_u32_e64 s[16:17], 5, v0
	;; [unrolled: 1-line block ×3, first 2 shown]
	v_cndmask_b32_e64 v22, v22, v11, s[14:15]
	v_cndmask_b32_e64 v22, v22, v13, s[16:17]
	;; [unrolled: 1-line block ×3, first 2 shown]
	v_cmp_eq_u32_e64 s[20:21], 7, v0
	v_cmp_eq_u32_e64 s[22:23], 8, v0
	;; [unrolled: 1-line block ×3, first 2 shown]
	v_cndmask_b32_e64 v22, v22, v17, s[20:21]
	v_cndmask_b32_e64 v22, v22, v19, s[22:23]
	;; [unrolled: 1-line block ×3, first 2 shown]
	v_cndmask_b32_e32 v22, v2, v4, vcc
	v_cndmask_b32_e64 v22, v22, v6, s[10:11]
	v_cndmask_b32_e64 v22, v22, v8, s[12:13]
	;; [unrolled: 1-line block ×4, first 2 shown]
	ds_read_b64 v[24:25], v91
	v_cndmask_b32_e64 v22, v22, v14, s[18:19]
	v_cndmask_b32_e64 v22, v22, v16, s[20:21]
	;; [unrolled: 1-line block ×4, first 2 shown]
	s_waitcnt lgkmcnt(0)
	v_mul_f64 v[22:23], v[22:23], v[24:25]
	s_cbranch_execz .LBB73_174
	s_branch .LBB73_175
.LBB73_173:
                                        ; implicit-def: $vgpr22_vgpr23
.LBB73_174:
	ds_read_b64 v[22:23], v91
.LBB73_175:
	v_cmp_ne_u32_e32 vcc, 5, v0
	s_and_saveexec_b64 s[14:15], vcc
	s_cbranch_execz .LBB73_179
; %bb.176:
	v_mov_b32_e32 v24, 0x58
	v_lshl_add_u32 v26, v0, 3, v24
	s_mov_b64 s[16:17], 0
	v_mov_b64_e32 v[24:25], v[0:1]
.LBB73_177:                             ; =>This Inner Loop Header: Depth=1
	v_lshl_add_u64 v[24:25], v[24:25], 0, 1
	v_cmp_eq_u32_e32 vcc, 1, v24
	v_cmp_eq_u32_e64 s[12:13], 2, v24
	v_cmp_lt_u32_e64 s[10:11], 4, v24
	v_cndmask_b32_e32 v27, v3, v5, vcc
	v_cndmask_b32_e64 v27, v27, v7, s[12:13]
	v_cndmask_b32_e32 v30, v2, v4, vcc
	v_cmp_eq_u32_e32 vcc, 3, v24
	s_or_b64 s[16:17], s[10:11], s[16:17]
	v_cndmask_b32_e64 v30, v30, v6, s[12:13]
	v_cndmask_b32_e32 v27, v27, v9, vcc
	v_cmp_eq_u32_e64 s[10:11], 4, v24
	v_cndmask_b32_e32 v30, v30, v8, vcc
	v_cmp_eq_u32_e32 vcc, 5, v24
	v_cndmask_b32_e64 v27, v27, v11, s[10:11]
	v_cndmask_b32_e64 v30, v30, v10, s[10:11]
	v_cndmask_b32_e32 v27, v27, v13, vcc
	v_cmp_eq_u32_e64 s[10:11], 6, v24
	ds_read_b64 v[28:29], v26
	v_cndmask_b32_e32 v30, v30, v12, vcc
	v_cndmask_b32_e64 v27, v27, v15, s[10:11]
	v_cmp_eq_u32_e32 vcc, 7, v24
	v_cndmask_b32_e64 v30, v30, v14, s[10:11]
	v_cmp_eq_u32_e64 s[10:11], 8, v24
	v_cndmask_b32_e32 v27, v27, v17, vcc
	v_cndmask_b32_e32 v30, v30, v16, vcc
	v_cndmask_b32_e64 v27, v27, v19, s[10:11]
	v_cmp_eq_u32_e32 vcc, 9, v24
	v_add_u32_e32 v26, 8, v26
	s_nop 0
	v_cndmask_b32_e32 v31, v27, v21, vcc
	v_cndmask_b32_e64 v27, v30, v18, s[10:11]
	v_cndmask_b32_e32 v30, v27, v20, vcc
	s_waitcnt lgkmcnt(0)
	v_fmac_f64_e32 v[22:23], v[30:31], v[28:29]
	s_andn2_b64 exec, exec, s[16:17]
	s_cbranch_execnz .LBB73_177
; %bb.178:
	s_or_b64 exec, exec, s[16:17]
.LBB73_179:
	s_or_b64 exec, exec, s[14:15]
	v_mov_b32_e32 v14, 0
	ds_read_b64 v[14:15], v14 offset:48
	s_waitcnt lgkmcnt(0)
	v_mul_f64 v[14:15], v[22:23], v[14:15]
.LBB73_180:
	s_or_b64 exec, exec, s[26:27]
	v_cmp_gt_u32_e32 vcc, 7, v0
	ds_write_b64 v91, v[16:17]
	s_waitcnt lgkmcnt(0)
	; wave barrier
	s_and_saveexec_b64 s[26:27], vcc
	s_cbranch_execz .LBB73_190
; %bb.181:
	s_and_b64 vcc, exec, s[4:5]
	s_cbranch_vccnz .LBB73_183
; %bb.182:
	v_cmp_eq_u32_e32 vcc, 1, v0
	v_cmp_eq_u32_e64 s[10:11], 2, v0
	v_cmp_eq_u32_e64 s[12:13], 3, v0
	v_cndmask_b32_e32 v22, v3, v5, vcc
	v_cndmask_b32_e64 v22, v22, v7, s[10:11]
	v_cndmask_b32_e64 v22, v22, v9, s[12:13]
	v_cmp_eq_u32_e64 s[14:15], 4, v0
	v_cmp_eq_u32_e64 s[16:17], 5, v0
	;; [unrolled: 1-line block ×3, first 2 shown]
	v_cndmask_b32_e64 v22, v22, v11, s[14:15]
	v_cndmask_b32_e64 v22, v22, v13, s[16:17]
	;; [unrolled: 1-line block ×3, first 2 shown]
	v_cmp_eq_u32_e64 s[20:21], 7, v0
	v_cmp_eq_u32_e64 s[22:23], 8, v0
	;; [unrolled: 1-line block ×3, first 2 shown]
	v_cndmask_b32_e64 v22, v22, v17, s[20:21]
	v_cndmask_b32_e64 v22, v22, v19, s[22:23]
	v_cndmask_b32_e64 v23, v22, v21, s[24:25]
	v_cndmask_b32_e32 v22, v2, v4, vcc
	v_cndmask_b32_e64 v22, v22, v6, s[10:11]
	v_cndmask_b32_e64 v22, v22, v8, s[12:13]
	;; [unrolled: 1-line block ×4, first 2 shown]
	ds_read_b64 v[24:25], v91
	v_cndmask_b32_e64 v22, v22, v14, s[18:19]
	v_cndmask_b32_e64 v22, v22, v16, s[20:21]
	v_cndmask_b32_e64 v22, v22, v18, s[22:23]
	v_cndmask_b32_e64 v22, v22, v20, s[24:25]
	s_waitcnt lgkmcnt(0)
	v_mul_f64 v[22:23], v[22:23], v[24:25]
	s_cbranch_execz .LBB73_184
	s_branch .LBB73_185
.LBB73_183:
                                        ; implicit-def: $vgpr22_vgpr23
.LBB73_184:
	ds_read_b64 v[22:23], v91
.LBB73_185:
	v_cmp_ne_u32_e32 vcc, 6, v0
	s_and_saveexec_b64 s[14:15], vcc
	s_cbranch_execz .LBB73_189
; %bb.186:
	v_mov_b32_e32 v24, 0x58
	v_lshl_add_u32 v26, v0, 3, v24
	s_mov_b64 s[16:17], 0
	v_mov_b64_e32 v[24:25], v[0:1]
.LBB73_187:                             ; =>This Inner Loop Header: Depth=1
	v_lshl_add_u64 v[24:25], v[24:25], 0, 1
	v_cmp_eq_u32_e32 vcc, 1, v24
	v_cmp_eq_u32_e64 s[12:13], 2, v24
	v_cmp_lt_u32_e64 s[10:11], 5, v24
	v_cndmask_b32_e32 v27, v3, v5, vcc
	v_cndmask_b32_e64 v27, v27, v7, s[12:13]
	v_cndmask_b32_e32 v30, v2, v4, vcc
	v_cmp_eq_u32_e32 vcc, 3, v24
	s_or_b64 s[16:17], s[10:11], s[16:17]
	v_cndmask_b32_e64 v30, v30, v6, s[12:13]
	v_cndmask_b32_e32 v27, v27, v9, vcc
	v_cmp_eq_u32_e64 s[10:11], 4, v24
	v_cndmask_b32_e32 v30, v30, v8, vcc
	v_cmp_eq_u32_e32 vcc, 5, v24
	v_cndmask_b32_e64 v27, v27, v11, s[10:11]
	v_cndmask_b32_e64 v30, v30, v10, s[10:11]
	v_cndmask_b32_e32 v27, v27, v13, vcc
	v_cmp_eq_u32_e64 s[10:11], 6, v24
	ds_read_b64 v[28:29], v26
	v_cndmask_b32_e32 v30, v30, v12, vcc
	v_cndmask_b32_e64 v27, v27, v15, s[10:11]
	v_cmp_eq_u32_e32 vcc, 7, v24
	v_cndmask_b32_e64 v30, v30, v14, s[10:11]
	v_cmp_eq_u32_e64 s[10:11], 8, v24
	v_cndmask_b32_e32 v27, v27, v17, vcc
	v_cndmask_b32_e32 v30, v30, v16, vcc
	v_cndmask_b32_e64 v27, v27, v19, s[10:11]
	v_cmp_eq_u32_e32 vcc, 9, v24
	v_add_u32_e32 v26, 8, v26
	s_nop 0
	v_cndmask_b32_e32 v31, v27, v21, vcc
	v_cndmask_b32_e64 v27, v30, v18, s[10:11]
	v_cndmask_b32_e32 v30, v27, v20, vcc
	s_waitcnt lgkmcnt(0)
	v_fmac_f64_e32 v[22:23], v[30:31], v[28:29]
	s_andn2_b64 exec, exec, s[16:17]
	s_cbranch_execnz .LBB73_187
; %bb.188:
	s_or_b64 exec, exec, s[16:17]
.LBB73_189:
	s_or_b64 exec, exec, s[14:15]
	v_mov_b32_e32 v16, 0
	ds_read_b64 v[16:17], v16 offset:56
	s_waitcnt lgkmcnt(0)
	v_mul_f64 v[16:17], v[22:23], v[16:17]
.LBB73_190:
	s_or_b64 exec, exec, s[26:27]
	v_cmp_gt_u32_e64 s[10:11], 8, v0
	ds_write_b64 v91, v[18:19]
	s_waitcnt lgkmcnt(0)
	; wave barrier
	s_and_saveexec_b64 s[28:29], s[10:11]
	s_cbranch_execz .LBB73_200
; %bb.191:
	s_and_b64 vcc, exec, s[4:5]
	s_cbranch_vccnz .LBB73_193
; %bb.192:
	v_cmp_eq_u32_e32 vcc, 1, v0
	v_cmp_eq_u32_e64 s[12:13], 2, v0
	v_cmp_eq_u32_e64 s[14:15], 3, v0
	v_cndmask_b32_e32 v22, v3, v5, vcc
	v_cndmask_b32_e64 v22, v22, v7, s[12:13]
	v_cndmask_b32_e64 v22, v22, v9, s[14:15]
	v_cmp_eq_u32_e64 s[16:17], 4, v0
	v_cmp_eq_u32_e64 s[18:19], 5, v0
	;; [unrolled: 1-line block ×3, first 2 shown]
	v_cndmask_b32_e64 v22, v22, v11, s[16:17]
	v_cndmask_b32_e64 v22, v22, v13, s[18:19]
	;; [unrolled: 1-line block ×3, first 2 shown]
	v_cmp_eq_u32_e64 s[22:23], 7, v0
	v_cmp_eq_u32_e64 s[24:25], 8, v0
	;; [unrolled: 1-line block ×3, first 2 shown]
	v_cndmask_b32_e64 v22, v22, v17, s[22:23]
	v_cndmask_b32_e64 v22, v22, v19, s[24:25]
	;; [unrolled: 1-line block ×3, first 2 shown]
	v_cndmask_b32_e32 v22, v2, v4, vcc
	v_cndmask_b32_e64 v22, v22, v6, s[12:13]
	v_cndmask_b32_e64 v22, v22, v8, s[14:15]
	;; [unrolled: 1-line block ×4, first 2 shown]
	ds_read_b64 v[24:25], v91
	v_cndmask_b32_e64 v22, v22, v14, s[20:21]
	v_cndmask_b32_e64 v22, v22, v16, s[22:23]
	;; [unrolled: 1-line block ×4, first 2 shown]
	s_waitcnt lgkmcnt(0)
	v_mul_f64 v[22:23], v[22:23], v[24:25]
	s_cbranch_execz .LBB73_194
	s_branch .LBB73_195
.LBB73_193:
                                        ; implicit-def: $vgpr22_vgpr23
.LBB73_194:
	ds_read_b64 v[22:23], v91
.LBB73_195:
	v_cmp_ne_u32_e32 vcc, 7, v0
	s_and_saveexec_b64 s[16:17], vcc
	s_cbranch_execz .LBB73_199
; %bb.196:
	v_mov_b32_e32 v24, 0x58
	v_lshl_add_u32 v26, v0, 3, v24
	s_mov_b64 s[18:19], 0
	v_mov_b64_e32 v[24:25], v[0:1]
.LBB73_197:                             ; =>This Inner Loop Header: Depth=1
	v_lshl_add_u64 v[24:25], v[24:25], 0, 1
	v_cmp_eq_u32_e32 vcc, 1, v24
	v_cmp_eq_u32_e64 s[14:15], 2, v24
	v_cmp_lt_u32_e64 s[12:13], 6, v24
	v_cndmask_b32_e32 v1, v3, v5, vcc
	v_cndmask_b32_e64 v1, v1, v7, s[14:15]
	v_cndmask_b32_e32 v27, v2, v4, vcc
	v_cmp_eq_u32_e32 vcc, 3, v24
	s_or_b64 s[18:19], s[12:13], s[18:19]
	v_cndmask_b32_e64 v27, v27, v6, s[14:15]
	v_cndmask_b32_e32 v1, v1, v9, vcc
	v_cmp_eq_u32_e64 s[12:13], 4, v24
	v_cndmask_b32_e32 v27, v27, v8, vcc
	v_cmp_eq_u32_e32 vcc, 5, v24
	v_cndmask_b32_e64 v1, v1, v11, s[12:13]
	v_cndmask_b32_e64 v27, v27, v10, s[12:13]
	v_cndmask_b32_e32 v1, v1, v13, vcc
	v_cmp_eq_u32_e64 s[12:13], 6, v24
	ds_read_b64 v[28:29], v26
	v_cndmask_b32_e32 v27, v27, v12, vcc
	v_cndmask_b32_e64 v1, v1, v15, s[12:13]
	v_cmp_eq_u32_e32 vcc, 7, v24
	v_cndmask_b32_e64 v27, v27, v14, s[12:13]
	v_cmp_eq_u32_e64 s[12:13], 8, v24
	v_cndmask_b32_e32 v1, v1, v17, vcc
	v_cndmask_b32_e32 v27, v27, v16, vcc
	v_cndmask_b32_e64 v1, v1, v19, s[12:13]
	v_cmp_eq_u32_e32 vcc, 9, v24
	v_add_u32_e32 v26, 8, v26
	s_nop 0
	v_cndmask_b32_e32 v31, v1, v21, vcc
	v_cndmask_b32_e64 v1, v27, v18, s[12:13]
	v_cndmask_b32_e32 v30, v1, v20, vcc
	s_waitcnt lgkmcnt(0)
	v_fmac_f64_e32 v[22:23], v[30:31], v[28:29]
	s_andn2_b64 exec, exec, s[18:19]
	s_cbranch_execnz .LBB73_197
; %bb.198:
	s_or_b64 exec, exec, s[18:19]
.LBB73_199:
	s_or_b64 exec, exec, s[16:17]
	v_mov_b32_e32 v1, 0
	ds_read_b64 v[18:19], v1 offset:64
	s_waitcnt lgkmcnt(0)
	v_mul_f64 v[18:19], v[22:23], v[18:19]
.LBB73_200:
	s_or_b64 exec, exec, s[28:29]
	v_cmp_ne_u32_e32 vcc, 9, v0
	ds_write_b64 v91, v[20:21]
	s_waitcnt lgkmcnt(0)
	; wave barrier
	s_and_saveexec_b64 s[26:27], vcc
	s_cbranch_execz .LBB73_222
; %bb.201:
	s_and_b64 vcc, exec, s[4:5]
	s_cbranch_vccnz .LBB73_203
; %bb.202:
	v_cmp_eq_u32_e32 vcc, 1, v0
	v_cmp_eq_u32_e64 s[4:5], 2, v0
	v_cmp_eq_u32_e64 s[12:13], 3, v0
	v_cndmask_b32_e32 v1, v3, v5, vcc
	v_cndmask_b32_e64 v1, v1, v7, s[4:5]
	v_cndmask_b32_e64 v1, v1, v9, s[12:13]
	v_cmp_eq_u32_e64 s[14:15], 4, v0
	v_cmp_eq_u32_e64 s[16:17], 5, v0
	;; [unrolled: 1-line block ×3, first 2 shown]
	v_cndmask_b32_e64 v1, v1, v11, s[14:15]
	v_cndmask_b32_e64 v1, v1, v13, s[16:17]
	;; [unrolled: 1-line block ×3, first 2 shown]
	v_cmp_eq_u32_e64 s[20:21], 7, v0
	v_cmp_eq_u32_e64 s[22:23], 8, v0
	;; [unrolled: 1-line block ×3, first 2 shown]
	v_cndmask_b32_e64 v1, v1, v17, s[20:21]
	v_cndmask_b32_e64 v1, v1, v19, s[22:23]
	;; [unrolled: 1-line block ×3, first 2 shown]
	v_cndmask_b32_e32 v1, v2, v4, vcc
	v_cndmask_b32_e64 v1, v1, v6, s[4:5]
	v_cndmask_b32_e64 v1, v1, v8, s[12:13]
	;; [unrolled: 1-line block ×4, first 2 shown]
	ds_read_b64 v[24:25], v91
	v_cndmask_b32_e64 v1, v1, v14, s[18:19]
	v_cndmask_b32_e64 v1, v1, v16, s[20:21]
	;; [unrolled: 1-line block ×4, first 2 shown]
	s_waitcnt lgkmcnt(0)
	v_mul_f64 v[22:23], v[22:23], v[24:25]
	s_cbranch_execz .LBB73_204
	s_branch .LBB73_205
.LBB73_203:
                                        ; implicit-def: $vgpr22_vgpr23
.LBB73_204:
	ds_read_b64 v[22:23], v91
.LBB73_205:
	s_and_saveexec_b64 s[24:25], s[10:11]
	s_cbranch_execz .LBB73_221
; %bb.206:
	v_cmp_eq_u32_e32 vcc, 1, v34
	v_cmp_eq_u32_e64 s[4:5], 2, v34
	v_cmp_eq_u32_e64 s[10:11], 3, v34
	v_cndmask_b32_e32 v1, v3, v5, vcc
	v_cndmask_b32_e64 v1, v1, v7, s[4:5]
	v_cndmask_b32_e64 v1, v1, v9, s[10:11]
	v_cmp_eq_u32_e64 s[12:13], 4, v34
	v_cmp_eq_u32_e64 s[14:15], 5, v34
	;; [unrolled: 1-line block ×3, first 2 shown]
	v_cndmask_b32_e64 v1, v1, v11, s[12:13]
	v_cndmask_b32_e64 v1, v1, v13, s[14:15]
	;; [unrolled: 1-line block ×3, first 2 shown]
	v_cmp_eq_u32_e64 s[18:19], 7, v34
	v_cmp_eq_u32_e64 s[20:21], 8, v34
	;; [unrolled: 1-line block ×3, first 2 shown]
	v_cndmask_b32_e64 v1, v1, v17, s[18:19]
	v_cndmask_b32_e64 v1, v1, v19, s[20:21]
	;; [unrolled: 1-line block ×3, first 2 shown]
	v_cndmask_b32_e32 v1, v2, v4, vcc
	v_cndmask_b32_e64 v1, v1, v6, s[4:5]
	v_cndmask_b32_e64 v1, v1, v8, s[10:11]
	;; [unrolled: 1-line block ×4, first 2 shown]
	ds_read_b64 v[26:27], v91 offset:8
	v_cndmask_b32_e64 v1, v1, v14, s[16:17]
	v_cndmask_b32_e64 v1, v1, v16, s[18:19]
	;; [unrolled: 1-line block ×4, first 2 shown]
	s_waitcnt lgkmcnt(0)
	v_fmac_f64_e32 v[22:23], v[24:25], v[26:27]
	v_cmp_ne_u32_e32 vcc, 7, v0
	s_and_saveexec_b64 s[28:29], vcc
	s_cbranch_execz .LBB73_220
; %bb.207:
	v_add_u32_e32 v1, 2, v0
	v_cmp_eq_u32_e32 vcc, 1, v1
	v_cmp_eq_u32_e64 s[4:5], 2, v1
	v_cmp_eq_u32_e64 s[10:11], 3, v1
	v_cndmask_b32_e32 v24, v3, v5, vcc
	v_cmp_eq_u32_e64 s[12:13], 4, v1
	v_cmp_eq_u32_e64 s[14:15], 5, v1
	;; [unrolled: 1-line block ×6, first 2 shown]
	v_cndmask_b32_e32 v1, v2, v4, vcc
	v_cndmask_b32_e64 v24, v24, v7, s[4:5]
	v_cndmask_b32_e64 v1, v1, v6, s[4:5]
	;; [unrolled: 1-line block ×8, first 2 shown]
	ds_read_b64 v[26:27], v91 offset:16
	v_cndmask_b32_e64 v24, v24, v15, s[16:17]
	v_cndmask_b32_e64 v1, v1, v14, s[16:17]
	;; [unrolled: 1-line block ×8, first 2 shown]
	s_waitcnt lgkmcnt(0)
	v_fmac_f64_e32 v[22:23], v[24:25], v[26:27]
	s_and_saveexec_b64 s[22:23], s[8:9]
	s_cbranch_execz .LBB73_219
; %bb.208:
	v_add_u32_e32 v1, 3, v0
	v_cmp_eq_u32_e32 vcc, 1, v1
	v_cmp_eq_u32_e64 s[4:5], 2, v1
	v_cmp_eq_u32_e64 s[8:9], 3, v1
	v_cndmask_b32_e32 v24, v3, v5, vcc
	v_cmp_eq_u32_e64 s[10:11], 4, v1
	v_cmp_eq_u32_e64 s[12:13], 5, v1
	;; [unrolled: 1-line block ×6, first 2 shown]
	v_cndmask_b32_e32 v1, v2, v4, vcc
	v_cndmask_b32_e64 v24, v24, v7, s[4:5]
	v_cndmask_b32_e64 v1, v1, v6, s[4:5]
	;; [unrolled: 1-line block ×8, first 2 shown]
	ds_read_b64 v[26:27], v91 offset:24
	v_cndmask_b32_e64 v24, v24, v15, s[14:15]
	v_cndmask_b32_e64 v1, v1, v14, s[14:15]
	;; [unrolled: 1-line block ×8, first 2 shown]
	s_waitcnt lgkmcnt(0)
	v_fmac_f64_e32 v[22:23], v[24:25], v[26:27]
	v_cmp_ne_u32_e32 vcc, 5, v0
	s_and_saveexec_b64 s[30:31], vcc
	s_cbranch_execz .LBB73_218
; %bb.209:
	v_add_u32_e32 v1, 4, v0
	v_cmp_eq_u32_e32 vcc, 1, v1
	v_cmp_eq_u32_e64 s[4:5], 2, v1
	v_cmp_eq_u32_e64 s[8:9], 3, v1
	v_cndmask_b32_e32 v24, v3, v5, vcc
	v_cmp_eq_u32_e64 s[10:11], 4, v1
	v_cmp_eq_u32_e64 s[12:13], 5, v1
	;; [unrolled: 1-line block ×6, first 2 shown]
	v_cndmask_b32_e32 v1, v2, v4, vcc
	v_cndmask_b32_e64 v24, v24, v7, s[4:5]
	v_cndmask_b32_e64 v1, v1, v6, s[4:5]
	v_cndmask_b32_e64 v24, v24, v9, s[8:9]
	v_cndmask_b32_e64 v1, v1, v8, s[8:9]
	v_cndmask_b32_e64 v24, v24, v11, s[10:11]
	v_cndmask_b32_e64 v1, v1, v10, s[10:11]
	v_cndmask_b32_e64 v24, v24, v13, s[12:13]
	v_cndmask_b32_e64 v1, v1, v12, s[12:13]
	ds_read_b64 v[26:27], v91 offset:32
	v_cndmask_b32_e64 v24, v24, v15, s[14:15]
	v_cndmask_b32_e64 v1, v1, v14, s[14:15]
	v_cndmask_b32_e64 v24, v24, v17, s[16:17]
	v_cndmask_b32_e64 v1, v1, v16, s[16:17]
	v_cndmask_b32_e64 v24, v24, v19, s[18:19]
	v_cndmask_b32_e64 v1, v1, v18, s[18:19]
	v_cndmask_b32_e64 v25, v24, v21, s[20:21]
	v_cndmask_b32_e64 v24, v1, v20, s[20:21]
	s_waitcnt lgkmcnt(0)
	v_fmac_f64_e32 v[22:23], v[24:25], v[26:27]
	s_and_saveexec_b64 s[20:21], s[6:7]
	s_cbranch_execz .LBB73_217
; %bb.210:
	v_add_u32_e32 v1, 5, v0
	v_cmp_eq_u32_e32 vcc, 1, v1
	v_cmp_eq_u32_e64 s[4:5], 2, v1
	v_cmp_eq_u32_e64 s[6:7], 3, v1
	v_cndmask_b32_e32 v24, v3, v5, vcc
	v_cmp_eq_u32_e64 s[8:9], 4, v1
	v_cmp_eq_u32_e64 s[10:11], 5, v1
	;; [unrolled: 1-line block ×6, first 2 shown]
	v_cndmask_b32_e32 v1, v2, v4, vcc
	v_cndmask_b32_e64 v24, v24, v7, s[4:5]
	v_cndmask_b32_e64 v1, v1, v6, s[4:5]
	;; [unrolled: 1-line block ×8, first 2 shown]
	ds_read_b64 v[26:27], v91 offset:40
	v_cndmask_b32_e64 v24, v24, v15, s[12:13]
	v_cndmask_b32_e64 v1, v1, v14, s[12:13]
	;; [unrolled: 1-line block ×8, first 2 shown]
	s_waitcnt lgkmcnt(0)
	v_fmac_f64_e32 v[22:23], v[24:25], v[26:27]
	v_cmp_ne_u32_e32 vcc, 3, v0
	s_and_saveexec_b64 s[34:35], vcc
	s_cbranch_execz .LBB73_216
; %bb.211:
	v_add_u32_e32 v1, 6, v0
	v_cmp_eq_u32_e32 vcc, 1, v1
	v_cmp_eq_u32_e64 s[4:5], 2, v1
	v_cmp_eq_u32_e64 s[6:7], 3, v1
	v_cndmask_b32_e32 v24, v3, v5, vcc
	v_cmp_eq_u32_e64 s[8:9], 4, v1
	v_cmp_eq_u32_e64 s[10:11], 5, v1
	;; [unrolled: 1-line block ×6, first 2 shown]
	v_cndmask_b32_e32 v1, v2, v4, vcc
	v_cndmask_b32_e64 v24, v24, v7, s[4:5]
	v_cndmask_b32_e64 v1, v1, v6, s[4:5]
	;; [unrolled: 1-line block ×8, first 2 shown]
	ds_read_b64 v[26:27], v91 offset:48
	v_cndmask_b32_e64 v24, v24, v15, s[12:13]
	v_cndmask_b32_e64 v1, v1, v14, s[12:13]
	;; [unrolled: 1-line block ×8, first 2 shown]
	s_waitcnt lgkmcnt(0)
	v_fmac_f64_e32 v[22:23], v[24:25], v[26:27]
	s_and_saveexec_b64 s[18:19], s[2:3]
	s_cbranch_execz .LBB73_215
; %bb.212:
	v_add_u32_e32 v0, 7, v0
	v_cmp_eq_u32_e32 vcc, 1, v0
	v_cmp_eq_u32_e64 s[2:3], 2, v0
	v_cmp_eq_u32_e64 s[4:5], 3, v0
	v_cndmask_b32_e32 v1, v3, v5, vcc
	v_cmp_eq_u32_e64 s[6:7], 4, v0
	v_cmp_eq_u32_e64 s[8:9], 5, v0
	;; [unrolled: 1-line block ×6, first 2 shown]
	v_cndmask_b32_e32 v0, v2, v4, vcc
	v_cndmask_b32_e64 v1, v1, v7, s[2:3]
	v_cndmask_b32_e64 v0, v0, v6, s[2:3]
	;; [unrolled: 1-line block ×8, first 2 shown]
	ds_read_b64 v[24:25], v91 offset:56
	v_cndmask_b32_e64 v1, v1, v15, s[10:11]
	v_cndmask_b32_e64 v0, v0, v14, s[10:11]
	v_cndmask_b32_e64 v1, v1, v17, s[12:13]
	v_cndmask_b32_e64 v0, v0, v16, s[12:13]
	v_cndmask_b32_e64 v1, v1, v19, s[14:15]
	v_cndmask_b32_e64 v0, v0, v18, s[14:15]
	v_cndmask_b32_e64 v1, v1, v21, s[16:17]
	v_cndmask_b32_e64 v0, v0, v20, s[16:17]
	s_waitcnt lgkmcnt(0)
	v_fmac_f64_e32 v[22:23], v[0:1], v[24:25]
	s_and_saveexec_b64 s[2:3], s[0:1]
	s_cbranch_execz .LBB73_214
; %bb.213:
	ds_read_b64 v[0:1], v91 offset:64
	s_waitcnt lgkmcnt(0)
	v_fmac_f64_e32 v[22:23], v[18:19], v[0:1]
.LBB73_214:
	s_or_b64 exec, exec, s[2:3]
.LBB73_215:
	s_or_b64 exec, exec, s[18:19]
.LBB73_216:
	s_or_b64 exec, exec, s[34:35]
.LBB73_217:
	s_or_b64 exec, exec, s[20:21]
.LBB73_218:
	s_or_b64 exec, exec, s[30:31]
.LBB73_219:
	s_or_b64 exec, exec, s[22:23]
.LBB73_220:
	s_or_b64 exec, exec, s[28:29]
.LBB73_221:
	s_or_b64 exec, exec, s[24:25]
	v_mov_b32_e32 v0, 0
	ds_read_b64 v[0:1], v0 offset:72
	s_waitcnt lgkmcnt(0)
	v_mul_f64 v[20:21], v[22:23], v[0:1]
.LBB73_222:
	s_or_b64 exec, exec, s[26:27]
	v_mov_b64_e32 v[64:65], v[32:33]
	v_mov_b64_e32 v[62:63], v[30:31]
	;; [unrolled: 1-line block ×16, first 2 shown]
.LBB73_223:
	flat_store_dwordx2 v[66:67], v[34:35]
	flat_store_dwordx2 v[68:69], v[36:37]
	;; [unrolled: 1-line block ×10, first 2 shown]
.LBB73_224:
	s_endpgm
	.section	.rodata,"a",@progbits
	.p2align	6, 0x0
	.amdhsa_kernel _ZN9rocsolver6v33100L18trti2_kernel_smallILi10EdPKPdEEv13rocblas_fill_17rocblas_diagonal_T1_iil
		.amdhsa_group_segment_fixed_size 160
		.amdhsa_private_segment_fixed_size 0
		.amdhsa_kernarg_size 32
		.amdhsa_user_sgpr_count 2
		.amdhsa_user_sgpr_dispatch_ptr 0
		.amdhsa_user_sgpr_queue_ptr 0
		.amdhsa_user_sgpr_kernarg_segment_ptr 1
		.amdhsa_user_sgpr_dispatch_id 0
		.amdhsa_user_sgpr_kernarg_preload_length 0
		.amdhsa_user_sgpr_kernarg_preload_offset 0
		.amdhsa_user_sgpr_private_segment_size 0
		.amdhsa_uses_dynamic_stack 0
		.amdhsa_enable_private_segment 0
		.amdhsa_system_sgpr_workgroup_id_x 1
		.amdhsa_system_sgpr_workgroup_id_y 0
		.amdhsa_system_sgpr_workgroup_id_z 0
		.amdhsa_system_sgpr_workgroup_info 0
		.amdhsa_system_vgpr_workitem_id 0
		.amdhsa_next_free_vgpr 114
		.amdhsa_next_free_sgpr 36
		.amdhsa_accum_offset 116
		.amdhsa_reserve_vcc 1
		.amdhsa_float_round_mode_32 0
		.amdhsa_float_round_mode_16_64 0
		.amdhsa_float_denorm_mode_32 3
		.amdhsa_float_denorm_mode_16_64 3
		.amdhsa_dx10_clamp 1
		.amdhsa_ieee_mode 1
		.amdhsa_fp16_overflow 0
		.amdhsa_tg_split 0
		.amdhsa_exception_fp_ieee_invalid_op 0
		.amdhsa_exception_fp_denorm_src 0
		.amdhsa_exception_fp_ieee_div_zero 0
		.amdhsa_exception_fp_ieee_overflow 0
		.amdhsa_exception_fp_ieee_underflow 0
		.amdhsa_exception_fp_ieee_inexact 0
		.amdhsa_exception_int_div_zero 0
	.end_amdhsa_kernel
	.section	.text._ZN9rocsolver6v33100L18trti2_kernel_smallILi10EdPKPdEEv13rocblas_fill_17rocblas_diagonal_T1_iil,"axG",@progbits,_ZN9rocsolver6v33100L18trti2_kernel_smallILi10EdPKPdEEv13rocblas_fill_17rocblas_diagonal_T1_iil,comdat
.Lfunc_end73:
	.size	_ZN9rocsolver6v33100L18trti2_kernel_smallILi10EdPKPdEEv13rocblas_fill_17rocblas_diagonal_T1_iil, .Lfunc_end73-_ZN9rocsolver6v33100L18trti2_kernel_smallILi10EdPKPdEEv13rocblas_fill_17rocblas_diagonal_T1_iil
                                        ; -- End function
	.set _ZN9rocsolver6v33100L18trti2_kernel_smallILi10EdPKPdEEv13rocblas_fill_17rocblas_diagonal_T1_iil.num_vgpr, 114
	.set _ZN9rocsolver6v33100L18trti2_kernel_smallILi10EdPKPdEEv13rocblas_fill_17rocblas_diagonal_T1_iil.num_agpr, 0
	.set _ZN9rocsolver6v33100L18trti2_kernel_smallILi10EdPKPdEEv13rocblas_fill_17rocblas_diagonal_T1_iil.numbered_sgpr, 36
	.set _ZN9rocsolver6v33100L18trti2_kernel_smallILi10EdPKPdEEv13rocblas_fill_17rocblas_diagonal_T1_iil.num_named_barrier, 0
	.set _ZN9rocsolver6v33100L18trti2_kernel_smallILi10EdPKPdEEv13rocblas_fill_17rocblas_diagonal_T1_iil.private_seg_size, 0
	.set _ZN9rocsolver6v33100L18trti2_kernel_smallILi10EdPKPdEEv13rocblas_fill_17rocblas_diagonal_T1_iil.uses_vcc, 1
	.set _ZN9rocsolver6v33100L18trti2_kernel_smallILi10EdPKPdEEv13rocblas_fill_17rocblas_diagonal_T1_iil.uses_flat_scratch, 0
	.set _ZN9rocsolver6v33100L18trti2_kernel_smallILi10EdPKPdEEv13rocblas_fill_17rocblas_diagonal_T1_iil.has_dyn_sized_stack, 0
	.set _ZN9rocsolver6v33100L18trti2_kernel_smallILi10EdPKPdEEv13rocblas_fill_17rocblas_diagonal_T1_iil.has_recursion, 0
	.set _ZN9rocsolver6v33100L18trti2_kernel_smallILi10EdPKPdEEv13rocblas_fill_17rocblas_diagonal_T1_iil.has_indirect_call, 0
	.section	.AMDGPU.csdata,"",@progbits
; Kernel info:
; codeLenInByte = 14816
; TotalNumSgprs: 42
; NumVgprs: 114
; NumAgprs: 0
; TotalNumVgprs: 114
; ScratchSize: 0
; MemoryBound: 0
; FloatMode: 240
; IeeeMode: 1
; LDSByteSize: 160 bytes/workgroup (compile time only)
; SGPRBlocks: 5
; VGPRBlocks: 14
; NumSGPRsForWavesPerEU: 42
; NumVGPRsForWavesPerEU: 114
; AccumOffset: 116
; Occupancy: 4
; WaveLimiterHint : 1
; COMPUTE_PGM_RSRC2:SCRATCH_EN: 0
; COMPUTE_PGM_RSRC2:USER_SGPR: 2
; COMPUTE_PGM_RSRC2:TRAP_HANDLER: 0
; COMPUTE_PGM_RSRC2:TGID_X_EN: 1
; COMPUTE_PGM_RSRC2:TGID_Y_EN: 0
; COMPUTE_PGM_RSRC2:TGID_Z_EN: 0
; COMPUTE_PGM_RSRC2:TIDIG_COMP_CNT: 0
; COMPUTE_PGM_RSRC3_GFX90A:ACCUM_OFFSET: 28
; COMPUTE_PGM_RSRC3_GFX90A:TG_SPLIT: 0
	.section	.text._ZN9rocsolver6v33100L18trti2_kernel_smallILi11EdPKPdEEv13rocblas_fill_17rocblas_diagonal_T1_iil,"axG",@progbits,_ZN9rocsolver6v33100L18trti2_kernel_smallILi11EdPKPdEEv13rocblas_fill_17rocblas_diagonal_T1_iil,comdat
	.globl	_ZN9rocsolver6v33100L18trti2_kernel_smallILi11EdPKPdEEv13rocblas_fill_17rocblas_diagonal_T1_iil ; -- Begin function _ZN9rocsolver6v33100L18trti2_kernel_smallILi11EdPKPdEEv13rocblas_fill_17rocblas_diagonal_T1_iil
	.p2align	8
	.type	_ZN9rocsolver6v33100L18trti2_kernel_smallILi11EdPKPdEEv13rocblas_fill_17rocblas_diagonal_T1_iil,@function
_ZN9rocsolver6v33100L18trti2_kernel_smallILi11EdPKPdEEv13rocblas_fill_17rocblas_diagonal_T1_iil: ; @_ZN9rocsolver6v33100L18trti2_kernel_smallILi11EdPKPdEEv13rocblas_fill_17rocblas_diagonal_T1_iil
; %bb.0:
	v_cmp_gt_u32_e32 vcc, 11, v0
	s_and_saveexec_b64 s[4:5], vcc
	s_cbranch_execz .LBB74_250
; %bb.1:
	s_load_dwordx2 s[4:5], s[0:1], 0x10
	s_load_dwordx4 s[20:23], s[0:1], 0x0
	s_ashr_i32 s3, s2, 31
	s_lshl_b64 s[0:1], s[2:3], 3
	v_mov_b32_e32 v1, 0
	s_waitcnt lgkmcnt(0)
	s_ashr_i32 s3, s4, 31
	s_add_u32 s0, s22, s0
	s_addc_u32 s1, s23, s1
	s_load_dwordx2 s[0:1], s[0:1], 0x0
	s_mov_b32 s2, s4
	s_lshl_b64 s[2:3], s[2:3], 3
	v_lshlrev_b32_e32 v34, 3, v0
	v_mov_b32_e32 v35, v1
	s_waitcnt lgkmcnt(0)
	s_add_u32 s0, s0, s2
	s_addc_u32 s1, s1, s3
	v_lshl_add_u64 v[66:67], s[0:1], 0, v[34:35]
	s_ashr_i32 s3, s5, 31
	s_mov_b32 s2, s5
	v_lshl_add_u64 v[68:69], s[2:3], 3, v[66:67]
	s_add_i32 s2, s5, s5
	v_add_u32_e32 v2, s2, v0
	v_add_u32_e32 v10, s5, v2
	v_ashrrev_i32_e32 v11, 31, v10
	v_lshl_add_u64 v[72:73], v[10:11], 3, s[0:1]
	v_add_u32_e32 v10, s5, v10
	v_ashrrev_i32_e32 v11, 31, v10
	v_lshl_add_u64 v[74:75], v[10:11], 3, s[0:1]
	;; [unrolled: 3-line block ×3, first 2 shown]
	v_add_u32_e32 v10, s5, v10
	v_add_u32_e32 v18, s5, v10
	v_ashrrev_i32_e32 v19, 31, v18
	v_lshl_add_u64 v[80:81], v[18:19], 3, s[0:1]
	v_add_u32_e32 v18, s5, v18
	v_ashrrev_i32_e32 v19, 31, v18
	v_lshl_add_u64 v[82:83], v[18:19], 3, s[0:1]
	v_add_u32_e32 v18, s5, v18
	v_ashrrev_i32_e32 v19, 31, v18
	v_ashrrev_i32_e32 v3, 31, v2
	;; [unrolled: 1-line block ×3, first 2 shown]
	v_lshl_add_u64 v[84:85], v[18:19], 3, s[0:1]
	v_add_u32_e32 v18, s5, v18
	v_lshl_add_u64 v[70:71], v[2:3], 3, s[0:1]
	flat_load_dwordx2 v[2:3], v[66:67]
	flat_load_dwordx2 v[4:5], v[68:69]
	;; [unrolled: 1-line block ×4, first 2 shown]
	v_lshl_add_u64 v[78:79], v[10:11], 3, s[0:1]
	flat_load_dwordx2 v[10:11], v[74:75]
	flat_load_dwordx2 v[12:13], v[76:77]
	flat_load_dwordx2 v[14:15], v[78:79]
	flat_load_dwordx2 v[16:17], v[80:81]
	v_ashrrev_i32_e32 v19, 31, v18
	v_lshl_add_u64 v[86:87], v[18:19], 3, s[0:1]
	flat_load_dwordx2 v[18:19], v[82:83]
	flat_load_dwordx2 v[20:21], v[84:85]
	flat_load_dwordx2 v[22:23], v[86:87]
	s_cmpk_lg_i32 s21, 0x84
	s_cselect_b64 s[22:23], -1, 0
	s_cmpk_eq_i32 s21, 0x84
	v_mov_b64_e32 v[36:37], -1.0
	s_cbranch_scc1 .LBB74_3
; %bb.2:
	v_cmp_eq_u32_e64 s[0:1], 1, v0
	v_cmp_eq_u32_e64 s[2:3], 2, v0
	;; [unrolled: 1-line block ×3, first 2 shown]
	s_waitcnt vmcnt(0) lgkmcnt(0)
	v_cndmask_b32_e64 v24, v3, v5, s[0:1]
	v_cndmask_b32_e64 v24, v24, v7, s[2:3]
	;; [unrolled: 1-line block ×3, first 2 shown]
	v_cmp_eq_u32_e64 s[6:7], 4, v0
	v_cmp_eq_u32_e64 s[8:9], 5, v0
	;; [unrolled: 1-line block ×3, first 2 shown]
	v_cndmask_b32_e64 v24, v24, v11, s[6:7]
	v_cndmask_b32_e64 v24, v24, v13, s[8:9]
	;; [unrolled: 1-line block ×3, first 2 shown]
	v_cmp_eq_u32_e64 s[12:13], 7, v0
	v_cmp_eq_u32_e64 s[14:15], 8, v0
	;; [unrolled: 1-line block ×3, first 2 shown]
	v_cndmask_b32_e64 v24, v24, v17, s[12:13]
	v_cndmask_b32_e64 v24, v24, v19, s[14:15]
	;; [unrolled: 1-line block ×3, first 2 shown]
	v_cmp_eq_u32_e64 s[18:19], 10, v0
	s_nop 1
	v_cndmask_b32_e64 v25, v24, v23, s[18:19]
	v_cndmask_b32_e64 v24, v2, v4, s[0:1]
	;; [unrolled: 1-line block ×11, first 2 shown]
	v_div_scale_f64 v[26:27], s[24:25], v[24:25], v[24:25], 1.0
	v_rcp_f64_e32 v[28:29], v[26:27]
	s_nop 0
	v_fma_f64 v[30:31], -v[26:27], v[28:29], 1.0
	v_fmac_f64_e32 v[28:29], v[28:29], v[30:31]
	v_fma_f64 v[30:31], -v[26:27], v[28:29], 1.0
	v_fmac_f64_e32 v[28:29], v[28:29], v[30:31]
	v_div_scale_f64 v[30:31], vcc, 1.0, v[24:25], 1.0
	v_mul_f64 v[32:33], v[30:31], v[28:29]
	v_fma_f64 v[26:27], -v[26:27], v[32:33], v[30:31]
	s_nop 1
	v_div_fmas_f64 v[26:27], v[26:27], v[28:29], v[32:33]
	v_div_fixup_f64 v[36:37], v[26:27], v[24:25], 1.0
	v_cmp_eq_u32_e32 vcc, 0, v0
	v_cndmask_b32_e64 v23, v23, v37, s[18:19]
	v_cndmask_b32_e64 v22, v22, v36, s[18:19]
	;; [unrolled: 1-line block ×20, first 2 shown]
	v_cndmask_b32_e32 v3, v3, v37, vcc
	v_cndmask_b32_e32 v2, v2, v36, vcc
	v_xor_b32_e32 v37, 0x80000000, v37
.LBB74_3:
	s_cmpk_eq_i32 s20, 0x79
	v_add_u32_e32 v93, 0x60, v34
	ds_write_b64 v34, v[36:37]
	s_cbranch_scc1 .LBB74_7
; %bb.4:
	s_waitcnt vmcnt(0) lgkmcnt(0)
	v_mov_b64_e32 v[64:65], v[32:33]
	v_cmp_eq_u32_e64 s[2:3], 10, v0
	v_mov_b64_e32 v[62:63], v[30:31]
	v_mov_b64_e32 v[60:61], v[28:29]
	v_mov_b64_e32 v[58:59], v[26:27]
	v_mov_b64_e32 v[56:57], v[24:25]
	v_mov_b64_e32 v[54:55], v[22:23]
	v_mov_b64_e32 v[52:53], v[20:21]
	v_mov_b64_e32 v[50:51], v[18:19]
	v_mov_b64_e32 v[48:49], v[16:17]
	v_mov_b64_e32 v[46:47], v[14:15]
	v_mov_b64_e32 v[44:45], v[12:13]
	v_mov_b64_e32 v[42:43], v[10:11]
	v_mov_b64_e32 v[40:41], v[8:9]
	v_mov_b64_e32 v[38:39], v[6:7]
	v_mov_b64_e32 v[36:37], v[4:5]
	v_mov_b64_e32 v[34:35], v[2:3]
	ds_write_b64 v93, v[20:21]
	s_waitcnt lgkmcnt(0)
	; wave barrier
	s_and_saveexec_b64 s[20:21], s[2:3]
	s_cbranch_execz .LBB74_11
; %bb.5:
	s_and_b64 vcc, exec, s[22:23]
	s_cbranch_vccz .LBB74_8
; %bb.6:
	v_cmp_eq_u32_e32 vcc, 1, v0
	v_cmp_eq_u32_e64 s[0:1], 2, v0
	v_cmp_eq_u32_e64 s[4:5], 3, v0
	v_cndmask_b32_e32 v34, v3, v5, vcc
	v_cndmask_b32_e64 v34, v34, v7, s[0:1]
	v_cndmask_b32_e64 v34, v34, v9, s[4:5]
	v_cmp_eq_u32_e64 s[6:7], 4, v0
	v_cmp_eq_u32_e64 s[8:9], 5, v0
	;; [unrolled: 1-line block ×3, first 2 shown]
	v_cndmask_b32_e64 v34, v34, v11, s[6:7]
	v_cndmask_b32_e64 v34, v34, v13, s[8:9]
	;; [unrolled: 1-line block ×3, first 2 shown]
	v_cmp_eq_u32_e64 s[12:13], 7, v0
	v_cmp_eq_u32_e64 s[14:15], 8, v0
	;; [unrolled: 1-line block ×3, first 2 shown]
	v_cndmask_b32_e64 v34, v34, v17, s[12:13]
	v_cndmask_b32_e64 v34, v34, v19, s[14:15]
	;; [unrolled: 1-line block ×3, first 2 shown]
	v_cmp_eq_u32_e64 s[18:19], 10, v0
	ds_read_b64 v[36:37], v93
	s_nop 0
	v_cndmask_b32_e64 v35, v34, v23, s[18:19]
	v_cndmask_b32_e32 v34, v2, v4, vcc
	v_cndmask_b32_e64 v34, v34, v6, s[0:1]
	v_cndmask_b32_e64 v34, v34, v8, s[4:5]
	v_cndmask_b32_e64 v34, v34, v10, s[6:7]
	v_cndmask_b32_e64 v34, v34, v12, s[8:9]
	v_cndmask_b32_e64 v34, v34, v14, s[10:11]
	v_cndmask_b32_e64 v34, v34, v16, s[12:13]
	v_cndmask_b32_e64 v34, v34, v18, s[14:15]
	v_cndmask_b32_e64 v34, v34, v20, s[16:17]
	v_cndmask_b32_e64 v34, v34, v22, s[18:19]
	s_waitcnt lgkmcnt(0)
	v_mul_f64 v[38:39], v[34:35], v[36:37]
	s_cbranch_execz .LBB74_9
	s_branch .LBB74_10
.LBB74_7:
                                        ; implicit-def: $vgpr34_vgpr35_vgpr36_vgpr37_vgpr38_vgpr39_vgpr40_vgpr41_vgpr42_vgpr43_vgpr44_vgpr45_vgpr46_vgpr47_vgpr48_vgpr49_vgpr50_vgpr51_vgpr52_vgpr53_vgpr54_vgpr55_vgpr56_vgpr57_vgpr58_vgpr59_vgpr60_vgpr61_vgpr62_vgpr63_vgpr64_vgpr65
	s_cbranch_execnz .LBB74_146
	s_branch .LBB74_249
.LBB74_8:
                                        ; implicit-def: $vgpr38_vgpr39
.LBB74_9:
	ds_read_b64 v[38:39], v93
.LBB74_10:
	v_mov_b32_e32 v34, 0
	ds_read_b64 v[40:41], v34 offset:72
	v_mov_b32_e32 v34, v2
	v_mov_b32_e32 v35, v3
	v_mov_b32_e32 v36, v4
	v_mov_b32_e32 v37, v5
	s_waitcnt lgkmcnt(0)
	v_mul_f64 v[52:53], v[38:39], v[40:41]
	v_mov_b32_e32 v38, v6
	v_mov_b32_e32 v39, v7
	v_mov_b32_e32 v40, v8
	v_mov_b32_e32 v41, v9
	v_mov_b32_e32 v42, v10
	v_mov_b32_e32 v43, v11
	v_mov_b32_e32 v44, v12
	v_mov_b32_e32 v45, v13
	v_mov_b32_e32 v46, v14
	v_mov_b32_e32 v47, v15
	v_mov_b32_e32 v48, v16
	v_mov_b32_e32 v49, v17
	v_mov_b32_e32 v50, v18
	v_mov_b32_e32 v51, v19
	v_mov_b32_e32 v54, v22
	v_mov_b32_e32 v55, v23
.LBB74_11:
	s_or_b64 exec, exec, s[20:21]
	v_cmp_lt_u32_e64 s[0:1], 8, v0
	ds_write_b64 v93, v[50:51]
	s_waitcnt lgkmcnt(0)
	; wave barrier
	s_and_saveexec_b64 s[24:25], s[0:1]
	s_cbranch_execz .LBB74_17
; %bb.12:
	s_andn2_b64 vcc, exec, s[22:23]
	s_cbranch_vccnz .LBB74_14
; %bb.13:
	v_cmp_eq_u32_e32 vcc, 1, v0
	v_cmp_eq_u32_e64 s[4:5], 2, v0
	v_cmp_eq_u32_e64 s[6:7], 3, v0
	v_cndmask_b32_e32 v56, v35, v37, vcc
	v_cndmask_b32_e64 v56, v56, v39, s[4:5]
	v_cndmask_b32_e64 v56, v56, v41, s[6:7]
	v_cmp_eq_u32_e64 s[8:9], 4, v0
	v_cmp_eq_u32_e64 s[10:11], 5, v0
	;; [unrolled: 1-line block ×3, first 2 shown]
	v_cndmask_b32_e64 v56, v56, v43, s[8:9]
	v_cndmask_b32_e64 v56, v56, v45, s[10:11]
	;; [unrolled: 1-line block ×3, first 2 shown]
	v_cmp_eq_u32_e64 s[14:15], 7, v0
	v_cmp_eq_u32_e64 s[16:17], 8, v0
	;; [unrolled: 1-line block ×3, first 2 shown]
	v_cndmask_b32_e64 v56, v56, v49, s[14:15]
	v_cndmask_b32_e64 v51, v56, v51, s[16:17]
	v_cndmask_b32_e32 v56, v34, v36, vcc
	v_cndmask_b32_e64 v56, v56, v38, s[4:5]
	v_cndmask_b32_e64 v56, v56, v40, s[6:7]
	;; [unrolled: 1-line block ×5, first 2 shown]
	ds_read_b64 v[56:57], v93
	v_cndmask_b32_e64 v58, v58, v48, s[14:15]
	v_cndmask_b32_e64 v50, v58, v50, s[16:17]
	v_cndmask_b32_e64 v51, v51, v53, s[18:19]
	v_cmp_eq_u32_e64 s[20:21], 10, v0
	v_cndmask_b32_e64 v50, v50, v52, s[18:19]
	s_nop 0
	v_cndmask_b32_e64 v51, v51, v55, s[20:21]
	v_cndmask_b32_e64 v50, v50, v54, s[20:21]
	s_waitcnt lgkmcnt(0)
	v_mul_f64 v[50:51], v[50:51], v[56:57]
	s_cbranch_execz .LBB74_15
	s_branch .LBB74_16
.LBB74_14:
                                        ; implicit-def: $vgpr50_vgpr51
.LBB74_15:
	ds_read_b64 v[50:51], v93
.LBB74_16:
	v_mov_b32_e32 v56, 0
	ds_read2_b64 v[56:59], v56 offset0:8 offset1:21
	s_waitcnt lgkmcnt(0)
	v_fma_f64 v[58:59], v[52:53], v[58:59], v[50:51]
	v_cndmask_b32_e64 v51, v51, v59, s[2:3]
	v_cndmask_b32_e64 v50, v50, v58, s[2:3]
	v_mul_f64 v[50:51], v[50:51], v[56:57]
.LBB74_17:
	s_or_b64 exec, exec, s[24:25]
	v_cmp_lt_u32_e64 s[2:3], 7, v0
	ds_write_b64 v93, v[48:49]
	s_waitcnt lgkmcnt(0)
	; wave barrier
	s_and_saveexec_b64 s[24:25], s[2:3]
	s_cbranch_execz .LBB74_33
; %bb.18:
	s_andn2_b64 vcc, exec, s[22:23]
	s_cbranch_vccnz .LBB74_20
; %bb.19:
	v_cmp_eq_u32_e32 vcc, 1, v0
	v_cmp_eq_u32_e64 s[4:5], 2, v0
	v_cmp_eq_u32_e64 s[6:7], 3, v0
	v_cndmask_b32_e32 v88, v35, v37, vcc
	v_cndmask_b32_e64 v88, v88, v39, s[4:5]
	v_cndmask_b32_e64 v88, v88, v41, s[6:7]
	v_cmp_eq_u32_e64 s[8:9], 4, v0
	v_cmp_eq_u32_e64 s[10:11], 5, v0
	;; [unrolled: 1-line block ×3, first 2 shown]
	v_cndmask_b32_e64 v88, v88, v43, s[8:9]
	v_cndmask_b32_e64 v88, v88, v45, s[10:11]
	;; [unrolled: 1-line block ×3, first 2 shown]
	v_cmp_eq_u32_e64 s[14:15], 7, v0
	v_cmp_eq_u32_e64 s[16:17], 8, v0
	;; [unrolled: 1-line block ×3, first 2 shown]
	v_cndmask_b32_e64 v88, v88, v49, s[14:15]
	v_cndmask_b32_e64 v88, v88, v51, s[16:17]
	;; [unrolled: 1-line block ×3, first 2 shown]
	v_cmp_eq_u32_e64 s[20:21], 10, v0
	ds_read_b64 v[90:91], v93
	s_nop 0
	v_cndmask_b32_e64 v89, v88, v55, s[20:21]
	v_cndmask_b32_e32 v88, v34, v36, vcc
	v_cndmask_b32_e64 v88, v88, v38, s[4:5]
	v_cndmask_b32_e64 v88, v88, v40, s[6:7]
	;; [unrolled: 1-line block ×9, first 2 shown]
	s_waitcnt lgkmcnt(0)
	v_mul_f64 v[88:89], v[88:89], v[90:91]
	s_cbranch_execz .LBB74_21
	s_branch .LBB74_22
.LBB74_20:
                                        ; implicit-def: $vgpr88_vgpr89
.LBB74_21:
	ds_read_b64 v[88:89], v93
.LBB74_22:
	s_and_saveexec_b64 s[6:7], s[0:1]
	s_cbranch_execz .LBB74_32
; %bb.23:
	v_add_u32_e32 v90, -9, v0
	v_cmp_lt_u32_e32 vcc, 6, v90
	v_mov_b32_e32 v90, 8
	s_and_saveexec_b64 s[0:1], vcc
	s_cbranch_execz .LBB74_27
; %bb.24:
	v_and_b32_e32 v90, 8, v0
	v_sub_u32_e32 v92, 0, v90
	s_mov_b64 s[4:5], 15
	s_movk_i32 s10, 0xa0
	s_mov_b64 s[8:9], 0
.LBB74_25:                              ; =>This Inner Loop Header: Depth=1
	s_lshl_b32 s11, s4, 1
	s_add_i32 s12, s11, -13
	s_add_i32 s13, s11, -14
	s_set_gpr_idx_on s12, gpr_idx(SRC0)
	v_mov_b32_e32 v111, v34
	s_set_gpr_idx_off
	v_mov_b32_e32 v90, s10
	s_add_i32 s14, s11, -11
	s_set_gpr_idx_on s13, gpr_idx(SRC0)
	v_mov_b32_e32 v110, v34
	s_set_gpr_idx_off
	s_add_i32 s15, s11, -12
	ds_read_b128 v[94:97], v90
	ds_read_b128 v[98:101], v90 offset:16
	ds_read_b128 v[102:105], v90 offset:32
	ds_read_b128 v[106:109], v90 offset:48
	s_set_gpr_idx_on s14, gpr_idx(SRC0)
	v_mov_b32_e32 v113, v34
	s_set_gpr_idx_off
	s_add_i32 s16, s11, -9
	s_set_gpr_idx_on s15, gpr_idx(SRC0)
	v_mov_b32_e32 v112, v34
	s_set_gpr_idx_off
	s_add_i32 s17, s11, -10
	;; [unrolled: 4-line block ×4, first 2 shown]
	s_waitcnt lgkmcnt(3)
	v_fmac_f64_e32 v[88:89], v[110:111], v[94:95]
	s_set_gpr_idx_on s18, gpr_idx(SRC0)
	v_mov_b32_e32 v95, v34
	s_set_gpr_idx_off
	s_add_i32 s20, s11, -5
	v_fmac_f64_e32 v[88:89], v[112:113], v[96:97]
	s_set_gpr_idx_on s19, gpr_idx(SRC0)
	v_mov_b32_e32 v94, v34
	s_set_gpr_idx_off
	s_add_i32 s21, s11, -6
	s_waitcnt lgkmcnt(2)
	v_fmac_f64_e32 v[88:89], v[114:115], v[98:99]
	s_set_gpr_idx_on s20, gpr_idx(SRC0)
	v_mov_b32_e32 v97, v34
	s_set_gpr_idx_off
	s_add_i32 s26, s11, -3
	v_fmac_f64_e32 v[88:89], v[94:95], v[100:101]
	s_set_gpr_idx_on s21, gpr_idx(SRC0)
	v_mov_b32_e32 v96, v34
	s_set_gpr_idx_off
	s_add_i32 s27, s11, -4
	s_waitcnt lgkmcnt(1)
	v_fmac_f64_e32 v[88:89], v[96:97], v[102:103]
	s_set_gpr_idx_on s26, gpr_idx(SRC0)
	v_mov_b32_e32 v95, v34
	s_set_gpr_idx_off
	s_add_i32 s28, s11, -1
	s_set_gpr_idx_on s27, gpr_idx(SRC0)
	v_mov_b32_e32 v94, v34
	s_set_gpr_idx_off
	s_add_i32 s29, s11, -2
	v_fmac_f64_e32 v[88:89], v[94:95], v[104:105]
	s_set_gpr_idx_on s28, gpr_idx(SRC0)
	v_mov_b32_e32 v95, v34
	s_set_gpr_idx_off
	s_add_u32 s4, s4, 8
	s_set_gpr_idx_on s29, gpr_idx(SRC0)
	v_mov_b32_e32 v94, v34
	s_set_gpr_idx_off
	v_add_u32_e32 v90, s4, v92
	s_waitcnt lgkmcnt(0)
	v_fmac_f64_e32 v[88:89], v[94:95], v[106:107]
	s_set_gpr_idx_on s11, gpr_idx(SRC0)
	v_mov_b32_e32 v95, v35
	s_set_gpr_idx_off
	s_addc_u32 s5, s5, 0
	s_add_i32 s10, s10, 64
	s_add_i32 s12, s4, -7
	v_cmp_eq_u32_e32 vcc, 7, v90
	s_set_gpr_idx_on s11, gpr_idx(SRC0)
	v_mov_b32_e32 v94, v34
	s_set_gpr_idx_off
	v_mov_b32_e32 v90, s12
	s_or_b64 s[8:9], vcc, s[8:9]
	v_fmac_f64_e32 v[88:89], v[94:95], v[108:109]
	s_andn2_b64 exec, exec, s[8:9]
	s_cbranch_execnz .LBB74_25
; %bb.26:
	s_or_b64 exec, exec, s[8:9]
.LBB74_27:
	s_or_b64 exec, exec, s[0:1]
	v_and_b32_e32 v56, 7, v0
	v_cmp_ne_u32_e32 vcc, 0, v56
	s_and_saveexec_b64 s[8:9], vcc
	s_cbranch_execz .LBB74_31
; %bb.28:
	v_mov_b32_e32 v57, 0x60
	v_lshl_add_u32 v57, v90, 3, v57
	v_mov_b32_e32 v91, 0
	s_mov_b64 s[10:11], 0
.LBB74_29:                              ; =>This Inner Loop Header: Depth=1
	v_cmp_eq_u32_e32 vcc, 1, v90
	v_add_u32_e32 v56, -1, v56
	v_cmp_eq_u32_e64 s[0:1], 2, v90
	v_cndmask_b32_e32 v60, v35, v37, vcc
	v_cndmask_b32_e32 v61, v34, v36, vcc
	v_cndmask_b32_e64 v60, v60, v39, s[0:1]
	v_cmp_eq_u32_e32 vcc, 0, v56
	v_cmp_eq_u32_e64 s[4:5], 3, v90
	v_cndmask_b32_e64 v61, v61, v38, s[0:1]
	s_or_b64 s[10:11], vcc, s[10:11]
	v_cndmask_b32_e64 v60, v60, v41, s[4:5]
	v_cmp_eq_u32_e32 vcc, 4, v90
	v_cndmask_b32_e64 v61, v61, v40, s[4:5]
	v_cmp_eq_u32_e64 s[0:1], 5, v90
	v_cndmask_b32_e32 v60, v60, v43, vcc
	v_cndmask_b32_e32 v61, v61, v42, vcc
	v_cndmask_b32_e64 v60, v60, v45, s[0:1]
	v_cmp_eq_u32_e32 vcc, 6, v90
	v_cndmask_b32_e64 v61, v61, v44, s[0:1]
	v_cmp_eq_u32_e64 s[0:1], 7, v90
	v_cndmask_b32_e32 v60, v60, v47, vcc
	ds_read_b64 v[58:59], v57
	v_cndmask_b32_e64 v60, v60, v49, s[0:1]
	v_cndmask_b32_e32 v61, v61, v46, vcc
	v_cmp_eq_u32_e32 vcc, 8, v90
	v_cndmask_b32_e64 v61, v61, v48, s[0:1]
	v_cmp_eq_u32_e64 s[0:1], 9, v90
	v_cndmask_b32_e32 v60, v60, v51, vcc
	v_cmp_eq_u32_e64 s[4:5], 10, v90
	v_cndmask_b32_e64 v60, v60, v53, s[0:1]
	v_cndmask_b32_e32 v62, v61, v50, vcc
	v_cndmask_b32_e64 v61, v60, v55, s[4:5]
	v_cndmask_b32_e64 v60, v62, v52, s[0:1]
	;; [unrolled: 1-line block ×3, first 2 shown]
	v_add_u32_e32 v57, 8, v57
	v_lshl_add_u64 v[90:91], v[90:91], 0, 1
	s_waitcnt lgkmcnt(0)
	v_fmac_f64_e32 v[88:89], v[60:61], v[58:59]
	s_andn2_b64 exec, exec, s[10:11]
	s_cbranch_execnz .LBB74_29
; %bb.30:
	s_or_b64 exec, exec, s[10:11]
.LBB74_31:
	s_or_b64 exec, exec, s[8:9]
.LBB74_32:
	s_or_b64 exec, exec, s[6:7]
	v_mov_b32_e32 v48, 0
	ds_read_b64 v[48:49], v48 offset:56
	s_waitcnt lgkmcnt(0)
	v_mul_f64 v[48:49], v[88:89], v[48:49]
.LBB74_33:
	s_or_b64 exec, exec, s[24:25]
	v_cmp_lt_u32_e64 s[0:1], 6, v0
	ds_write_b64 v93, v[46:47]
	s_waitcnt lgkmcnt(0)
	; wave barrier
	s_and_saveexec_b64 s[24:25], s[0:1]
	s_cbranch_execz .LBB74_49
; %bb.34:
	s_andn2_b64 vcc, exec, s[22:23]
	s_cbranch_vccnz .LBB74_36
; %bb.35:
	v_cmp_eq_u32_e32 vcc, 1, v0
	v_cmp_eq_u32_e64 s[4:5], 2, v0
	v_cmp_eq_u32_e64 s[6:7], 3, v0
	v_cndmask_b32_e32 v88, v35, v37, vcc
	v_cndmask_b32_e64 v88, v88, v39, s[4:5]
	v_cndmask_b32_e64 v88, v88, v41, s[6:7]
	v_cmp_eq_u32_e64 s[8:9], 4, v0
	v_cmp_eq_u32_e64 s[10:11], 5, v0
	v_cmp_eq_u32_e64 s[12:13], 6, v0
	v_cndmask_b32_e64 v88, v88, v43, s[8:9]
	v_cndmask_b32_e64 v88, v88, v45, s[10:11]
	;; [unrolled: 1-line block ×3, first 2 shown]
	v_cmp_eq_u32_e64 s[14:15], 7, v0
	v_cmp_eq_u32_e64 s[16:17], 8, v0
	;; [unrolled: 1-line block ×3, first 2 shown]
	v_cndmask_b32_e64 v88, v88, v49, s[14:15]
	v_cndmask_b32_e64 v88, v88, v51, s[16:17]
	;; [unrolled: 1-line block ×3, first 2 shown]
	v_cmp_eq_u32_e64 s[20:21], 10, v0
	ds_read_b64 v[90:91], v93
	s_nop 0
	v_cndmask_b32_e64 v89, v88, v55, s[20:21]
	v_cndmask_b32_e32 v88, v34, v36, vcc
	v_cndmask_b32_e64 v88, v88, v38, s[4:5]
	v_cndmask_b32_e64 v88, v88, v40, s[6:7]
	v_cndmask_b32_e64 v88, v88, v42, s[8:9]
	v_cndmask_b32_e64 v88, v88, v44, s[10:11]
	v_cndmask_b32_e64 v88, v88, v46, s[12:13]
	v_cndmask_b32_e64 v88, v88, v48, s[14:15]
	v_cndmask_b32_e64 v88, v88, v50, s[16:17]
	v_cndmask_b32_e64 v88, v88, v52, s[18:19]
	v_cndmask_b32_e64 v88, v88, v54, s[20:21]
	s_waitcnt lgkmcnt(0)
	v_mul_f64 v[88:89], v[88:89], v[90:91]
	s_cbranch_execz .LBB74_37
	s_branch .LBB74_38
.LBB74_36:
                                        ; implicit-def: $vgpr88_vgpr89
.LBB74_37:
	ds_read_b64 v[88:89], v93
.LBB74_38:
	s_and_saveexec_b64 s[6:7], s[2:3]
	s_cbranch_execz .LBB74_48
; %bb.39:
	v_add_u32_e32 v90, -8, v0
	v_add_u32_e32 v91, -7, v0
	v_cmp_lt_u32_e32 vcc, 6, v90
	v_mov_b32_e32 v90, 7
	s_and_saveexec_b64 s[2:3], vcc
	s_cbranch_execz .LBB74_43
; %bb.40:
	v_and_b32_e32 v90, -8, v91
	v_sub_u32_e32 v92, 0, v90
	s_mov_b64 s[4:5], 14
	s_movk_i32 s10, 0x98
	s_mov_b64 s[8:9], 0
.LBB74_41:                              ; =>This Inner Loop Header: Depth=1
	s_lshl_b32 s11, s4, 1
	s_add_i32 s12, s11, -13
	v_mov_b32_e32 v108, s10
	s_add_i32 s13, s11, -14
	s_set_gpr_idx_on s12, gpr_idx(SRC0)
	v_mov_b32_e32 v103, v34
	s_set_gpr_idx_off
	s_add_i32 s14, s11, -11
	s_set_gpr_idx_on s13, gpr_idx(SRC0)
	v_mov_b32_e32 v102, v34
	s_set_gpr_idx_off
	ds_read2_b64 v[94:97], v108 offset1:1
	s_add_i32 s15, s11, -12
	s_set_gpr_idx_on s14, gpr_idx(SRC0)
	v_mov_b32_e32 v105, v34
	s_set_gpr_idx_off
	s_add_i32 s16, s11, -9
	s_set_gpr_idx_on s15, gpr_idx(SRC0)
	v_mov_b32_e32 v104, v34
	s_set_gpr_idx_off
	s_add_i32 s17, s11, -10
	s_set_gpr_idx_on s16, gpr_idx(SRC0)
	v_mov_b32_e32 v107, v34
	s_set_gpr_idx_off
	s_add_i32 s18, s11, -7
	s_set_gpr_idx_on s17, gpr_idx(SRC0)
	v_mov_b32_e32 v106, v34
	s_set_gpr_idx_off
	ds_read2_b64 v[98:101], v108 offset0:2 offset1:3
	s_add_i32 s19, s11, -8
	s_waitcnt lgkmcnt(1)
	v_fmac_f64_e32 v[88:89], v[102:103], v[94:95]
	s_set_gpr_idx_on s18, gpr_idx(SRC0)
	v_mov_b32_e32 v103, v34
	s_set_gpr_idx_off
	s_add_i32 s20, s11, -5
	v_fmac_f64_e32 v[88:89], v[104:105], v[96:97]
	s_set_gpr_idx_on s19, gpr_idx(SRC0)
	v_mov_b32_e32 v102, v34
	s_set_gpr_idx_off
	s_add_i32 s21, s11, -6
	s_set_gpr_idx_on s20, gpr_idx(SRC0)
	v_mov_b32_e32 v105, v34
	s_set_gpr_idx_off
	s_add_i32 s26, s11, -3
	;; [unrolled: 4-line block ×3, first 2 shown]
	ds_read2_b64 v[94:97], v108 offset0:4 offset1:5
	s_waitcnt lgkmcnt(1)
	v_fmac_f64_e32 v[88:89], v[106:107], v[98:99]
	s_set_gpr_idx_on s26, gpr_idx(SRC0)
	v_mov_b32_e32 v107, v34
	s_set_gpr_idx_off
	s_add_i32 s28, s11, -1
	v_fmac_f64_e32 v[88:89], v[102:103], v[100:101]
	s_set_gpr_idx_on s27, gpr_idx(SRC0)
	v_mov_b32_e32 v106, v34
	s_set_gpr_idx_off
	s_add_i32 s29, s11, -2
	s_set_gpr_idx_on s28, gpr_idx(SRC0)
	v_mov_b32_e32 v103, v34
	s_set_gpr_idx_off
	s_set_gpr_idx_on s29, gpr_idx(SRC0)
	v_mov_b32_e32 v102, v34
	s_set_gpr_idx_off
	ds_read2_b64 v[98:101], v108 offset0:6 offset1:7
	s_add_u32 s4, s4, 8
	s_waitcnt lgkmcnt(1)
	v_fmac_f64_e32 v[88:89], v[104:105], v[94:95]
	s_set_gpr_idx_on s11, gpr_idx(SRC0)
	v_mov_b32_e32 v95, v35
	s_set_gpr_idx_off
	v_add_u32_e32 v90, s4, v92
	v_fmac_f64_e32 v[88:89], v[106:107], v[96:97]
	s_set_gpr_idx_on s11, gpr_idx(SRC0)
	v_mov_b32_e32 v94, v34
	s_set_gpr_idx_off
	s_addc_u32 s5, s5, 0
	s_add_i32 s10, s10, 64
	s_add_i32 s12, s4, -7
	v_cmp_eq_u32_e32 vcc, 14, v90
	s_waitcnt lgkmcnt(0)
	v_fmac_f64_e32 v[88:89], v[102:103], v[98:99]
	v_mov_b32_e32 v90, s12
	s_or_b64 s[8:9], vcc, s[8:9]
	v_fmac_f64_e32 v[88:89], v[94:95], v[100:101]
	s_andn2_b64 exec, exec, s[8:9]
	s_cbranch_execnz .LBB74_41
; %bb.42:
	s_or_b64 exec, exec, s[8:9]
.LBB74_43:
	s_or_b64 exec, exec, s[2:3]
	v_and_b32_e32 v56, 7, v91
	v_cmp_ne_u32_e32 vcc, 0, v56
	s_and_saveexec_b64 s[8:9], vcc
	s_cbranch_execz .LBB74_47
; %bb.44:
	v_mov_b32_e32 v57, 0x60
	v_lshl_add_u32 v57, v90, 3, v57
	v_mov_b32_e32 v91, 0
	s_mov_b64 s[10:11], 0
.LBB74_45:                              ; =>This Inner Loop Header: Depth=1
	v_cmp_eq_u32_e32 vcc, 1, v90
	v_add_u32_e32 v56, -1, v56
	v_cmp_eq_u32_e64 s[2:3], 2, v90
	v_cndmask_b32_e32 v60, v35, v37, vcc
	v_cndmask_b32_e32 v61, v34, v36, vcc
	v_cndmask_b32_e64 v60, v60, v39, s[2:3]
	v_cmp_eq_u32_e32 vcc, 0, v56
	v_cmp_eq_u32_e64 s[4:5], 3, v90
	v_cndmask_b32_e64 v61, v61, v38, s[2:3]
	s_or_b64 s[10:11], vcc, s[10:11]
	v_cndmask_b32_e64 v60, v60, v41, s[4:5]
	v_cmp_eq_u32_e32 vcc, 4, v90
	v_cndmask_b32_e64 v61, v61, v40, s[4:5]
	v_cmp_eq_u32_e64 s[2:3], 5, v90
	v_cndmask_b32_e32 v60, v60, v43, vcc
	v_cndmask_b32_e32 v61, v61, v42, vcc
	v_cndmask_b32_e64 v60, v60, v45, s[2:3]
	v_cmp_eq_u32_e32 vcc, 6, v90
	v_cndmask_b32_e64 v61, v61, v44, s[2:3]
	v_cmp_eq_u32_e64 s[2:3], 7, v90
	v_cndmask_b32_e32 v60, v60, v47, vcc
	ds_read_b64 v[58:59], v57
	v_cndmask_b32_e64 v60, v60, v49, s[2:3]
	v_cndmask_b32_e32 v61, v61, v46, vcc
	v_cmp_eq_u32_e32 vcc, 8, v90
	v_cndmask_b32_e64 v61, v61, v48, s[2:3]
	v_cmp_eq_u32_e64 s[2:3], 9, v90
	v_cndmask_b32_e32 v60, v60, v51, vcc
	v_cmp_eq_u32_e64 s[4:5], 10, v90
	v_cndmask_b32_e64 v60, v60, v53, s[2:3]
	v_cndmask_b32_e32 v62, v61, v50, vcc
	v_cndmask_b32_e64 v61, v60, v55, s[4:5]
	v_cndmask_b32_e64 v60, v62, v52, s[2:3]
	;; [unrolled: 1-line block ×3, first 2 shown]
	v_add_u32_e32 v57, 8, v57
	v_lshl_add_u64 v[90:91], v[90:91], 0, 1
	s_waitcnt lgkmcnt(0)
	v_fmac_f64_e32 v[88:89], v[60:61], v[58:59]
	s_andn2_b64 exec, exec, s[10:11]
	s_cbranch_execnz .LBB74_45
; %bb.46:
	s_or_b64 exec, exec, s[10:11]
.LBB74_47:
	s_or_b64 exec, exec, s[8:9]
.LBB74_48:
	s_or_b64 exec, exec, s[6:7]
	v_mov_b32_e32 v46, 0
	ds_read_b64 v[46:47], v46 offset:48
	s_waitcnt lgkmcnt(0)
	v_mul_f64 v[46:47], v[88:89], v[46:47]
.LBB74_49:
	s_or_b64 exec, exec, s[24:25]
	v_cmp_lt_u32_e64 s[2:3], 5, v0
	ds_write_b64 v93, v[44:45]
	s_waitcnt lgkmcnt(0)
	; wave barrier
	s_and_saveexec_b64 s[24:25], s[2:3]
	s_cbranch_execz .LBB74_65
; %bb.50:
	s_andn2_b64 vcc, exec, s[22:23]
	s_cbranch_vccnz .LBB74_52
; %bb.51:
	v_cmp_eq_u32_e32 vcc, 1, v0
	v_cmp_eq_u32_e64 s[4:5], 2, v0
	v_cmp_eq_u32_e64 s[6:7], 3, v0
	v_cndmask_b32_e32 v88, v35, v37, vcc
	v_cndmask_b32_e64 v88, v88, v39, s[4:5]
	v_cndmask_b32_e64 v88, v88, v41, s[6:7]
	v_cmp_eq_u32_e64 s[8:9], 4, v0
	v_cmp_eq_u32_e64 s[10:11], 5, v0
	;; [unrolled: 1-line block ×3, first 2 shown]
	v_cndmask_b32_e64 v88, v88, v43, s[8:9]
	v_cndmask_b32_e64 v88, v88, v45, s[10:11]
	;; [unrolled: 1-line block ×3, first 2 shown]
	v_cmp_eq_u32_e64 s[14:15], 7, v0
	v_cmp_eq_u32_e64 s[16:17], 8, v0
	;; [unrolled: 1-line block ×3, first 2 shown]
	v_cndmask_b32_e64 v88, v88, v49, s[14:15]
	v_cndmask_b32_e64 v88, v88, v51, s[16:17]
	;; [unrolled: 1-line block ×3, first 2 shown]
	v_cmp_eq_u32_e64 s[20:21], 10, v0
	ds_read_b64 v[90:91], v93
	s_nop 0
	v_cndmask_b32_e64 v89, v88, v55, s[20:21]
	v_cndmask_b32_e32 v88, v34, v36, vcc
	v_cndmask_b32_e64 v88, v88, v38, s[4:5]
	v_cndmask_b32_e64 v88, v88, v40, s[6:7]
	;; [unrolled: 1-line block ×9, first 2 shown]
	s_waitcnt lgkmcnt(0)
	v_mul_f64 v[88:89], v[88:89], v[90:91]
	s_cbranch_execz .LBB74_53
	s_branch .LBB74_54
.LBB74_52:
                                        ; implicit-def: $vgpr88_vgpr89
.LBB74_53:
	ds_read_b64 v[88:89], v93
.LBB74_54:
	s_and_saveexec_b64 s[6:7], s[0:1]
	s_cbranch_execz .LBB74_64
; %bb.55:
	v_add_u32_e32 v92, -7, v0
	v_add_u32_e32 v91, -6, v0
	v_mov_b32_e32 v90, 6
	v_cmp_lt_u32_e32 vcc, 6, v92
	s_and_saveexec_b64 s[0:1], vcc
	s_cbranch_execz .LBB74_59
; %bb.56:
	v_and_b32_e32 v90, -8, v91
	v_sub_u32_e32 v92, 0, v90
	s_mov_b64 s[4:5], 13
	s_movk_i32 s10, 0x90
	s_mov_b64 s[8:9], 0
.LBB74_57:                              ; =>This Inner Loop Header: Depth=1
	s_lshl_b32 s11, s4, 1
	s_add_i32 s12, s11, -13
	s_add_i32 s13, s11, -14
	s_set_gpr_idx_on s12, gpr_idx(SRC0)
	v_mov_b32_e32 v111, v34
	s_set_gpr_idx_off
	v_mov_b32_e32 v90, s10
	s_add_i32 s14, s11, -11
	s_set_gpr_idx_on s13, gpr_idx(SRC0)
	v_mov_b32_e32 v110, v34
	s_set_gpr_idx_off
	s_add_i32 s15, s11, -12
	ds_read_b128 v[94:97], v90
	ds_read_b128 v[98:101], v90 offset:16
	ds_read_b128 v[102:105], v90 offset:32
	ds_read_b128 v[106:109], v90 offset:48
	s_set_gpr_idx_on s14, gpr_idx(SRC0)
	v_mov_b32_e32 v113, v34
	s_set_gpr_idx_off
	s_add_i32 s16, s11, -9
	s_set_gpr_idx_on s15, gpr_idx(SRC0)
	v_mov_b32_e32 v112, v34
	s_set_gpr_idx_off
	s_add_i32 s17, s11, -10
	;; [unrolled: 4-line block ×4, first 2 shown]
	s_waitcnt lgkmcnt(3)
	v_fmac_f64_e32 v[88:89], v[110:111], v[94:95]
	s_set_gpr_idx_on s18, gpr_idx(SRC0)
	v_mov_b32_e32 v95, v34
	s_set_gpr_idx_off
	s_add_i32 s20, s11, -5
	v_fmac_f64_e32 v[88:89], v[112:113], v[96:97]
	s_set_gpr_idx_on s19, gpr_idx(SRC0)
	v_mov_b32_e32 v94, v34
	s_set_gpr_idx_off
	s_add_i32 s21, s11, -6
	s_waitcnt lgkmcnt(2)
	v_fmac_f64_e32 v[88:89], v[114:115], v[98:99]
	s_set_gpr_idx_on s20, gpr_idx(SRC0)
	v_mov_b32_e32 v97, v34
	s_set_gpr_idx_off
	s_add_i32 s26, s11, -3
	v_fmac_f64_e32 v[88:89], v[94:95], v[100:101]
	s_set_gpr_idx_on s21, gpr_idx(SRC0)
	v_mov_b32_e32 v96, v34
	s_set_gpr_idx_off
	s_add_i32 s27, s11, -4
	s_waitcnt lgkmcnt(1)
	v_fmac_f64_e32 v[88:89], v[96:97], v[102:103]
	s_set_gpr_idx_on s26, gpr_idx(SRC0)
	v_mov_b32_e32 v95, v34
	s_set_gpr_idx_off
	s_add_i32 s28, s11, -1
	s_set_gpr_idx_on s27, gpr_idx(SRC0)
	v_mov_b32_e32 v94, v34
	s_set_gpr_idx_off
	s_add_i32 s29, s11, -2
	v_fmac_f64_e32 v[88:89], v[94:95], v[104:105]
	s_set_gpr_idx_on s28, gpr_idx(SRC0)
	v_mov_b32_e32 v95, v34
	s_set_gpr_idx_off
	s_add_u32 s4, s4, 8
	s_set_gpr_idx_on s29, gpr_idx(SRC0)
	v_mov_b32_e32 v94, v34
	s_set_gpr_idx_off
	v_add_u32_e32 v90, s4, v92
	s_waitcnt lgkmcnt(0)
	v_fmac_f64_e32 v[88:89], v[94:95], v[106:107]
	s_set_gpr_idx_on s11, gpr_idx(SRC0)
	v_mov_b32_e32 v95, v35
	s_set_gpr_idx_off
	s_addc_u32 s5, s5, 0
	s_add_i32 s10, s10, 64
	s_add_i32 s12, s4, -7
	v_cmp_eq_u32_e32 vcc, 13, v90
	s_set_gpr_idx_on s11, gpr_idx(SRC0)
	v_mov_b32_e32 v94, v34
	s_set_gpr_idx_off
	v_mov_b32_e32 v90, s12
	s_or_b64 s[8:9], vcc, s[8:9]
	v_fmac_f64_e32 v[88:89], v[94:95], v[108:109]
	s_andn2_b64 exec, exec, s[8:9]
	s_cbranch_execnz .LBB74_57
; %bb.58:
	s_or_b64 exec, exec, s[8:9]
.LBB74_59:
	s_or_b64 exec, exec, s[0:1]
	v_and_b32_e32 v56, 7, v91
	v_cmp_ne_u32_e32 vcc, 0, v56
	s_and_saveexec_b64 s[8:9], vcc
	s_cbranch_execz .LBB74_63
; %bb.60:
	v_mov_b32_e32 v57, 0x60
	v_lshl_add_u32 v57, v90, 3, v57
	v_mov_b32_e32 v91, 0
	s_mov_b64 s[10:11], 0
.LBB74_61:                              ; =>This Inner Loop Header: Depth=1
	v_cmp_eq_u32_e32 vcc, 1, v90
	v_add_u32_e32 v56, -1, v56
	v_cmp_eq_u32_e64 s[0:1], 2, v90
	v_cndmask_b32_e32 v60, v35, v37, vcc
	v_cndmask_b32_e32 v61, v34, v36, vcc
	v_cndmask_b32_e64 v60, v60, v39, s[0:1]
	v_cmp_eq_u32_e32 vcc, 0, v56
	v_cmp_eq_u32_e64 s[4:5], 3, v90
	v_cndmask_b32_e64 v61, v61, v38, s[0:1]
	s_or_b64 s[10:11], vcc, s[10:11]
	v_cndmask_b32_e64 v60, v60, v41, s[4:5]
	v_cmp_eq_u32_e32 vcc, 4, v90
	v_cndmask_b32_e64 v61, v61, v40, s[4:5]
	v_cmp_eq_u32_e64 s[0:1], 5, v90
	v_cndmask_b32_e32 v60, v60, v43, vcc
	v_cndmask_b32_e32 v61, v61, v42, vcc
	v_cndmask_b32_e64 v60, v60, v45, s[0:1]
	v_cmp_eq_u32_e32 vcc, 6, v90
	v_cndmask_b32_e64 v61, v61, v44, s[0:1]
	v_cmp_eq_u32_e64 s[0:1], 7, v90
	v_cndmask_b32_e32 v60, v60, v47, vcc
	ds_read_b64 v[58:59], v57
	v_cndmask_b32_e64 v60, v60, v49, s[0:1]
	v_cndmask_b32_e32 v61, v61, v46, vcc
	v_cmp_eq_u32_e32 vcc, 8, v90
	v_cndmask_b32_e64 v61, v61, v48, s[0:1]
	v_cmp_eq_u32_e64 s[0:1], 9, v90
	v_cndmask_b32_e32 v60, v60, v51, vcc
	v_cmp_eq_u32_e64 s[4:5], 10, v90
	v_cndmask_b32_e64 v60, v60, v53, s[0:1]
	v_cndmask_b32_e32 v62, v61, v50, vcc
	v_cndmask_b32_e64 v61, v60, v55, s[4:5]
	v_cndmask_b32_e64 v60, v62, v52, s[0:1]
	;; [unrolled: 1-line block ×3, first 2 shown]
	v_add_u32_e32 v57, 8, v57
	v_lshl_add_u64 v[90:91], v[90:91], 0, 1
	s_waitcnt lgkmcnt(0)
	v_fmac_f64_e32 v[88:89], v[60:61], v[58:59]
	s_andn2_b64 exec, exec, s[10:11]
	s_cbranch_execnz .LBB74_61
; %bb.62:
	s_or_b64 exec, exec, s[10:11]
.LBB74_63:
	s_or_b64 exec, exec, s[8:9]
.LBB74_64:
	s_or_b64 exec, exec, s[6:7]
	v_mov_b32_e32 v44, 0
	ds_read_b64 v[44:45], v44 offset:40
	s_waitcnt lgkmcnt(0)
	v_mul_f64 v[44:45], v[88:89], v[44:45]
.LBB74_65:
	s_or_b64 exec, exec, s[24:25]
	v_cmp_lt_u32_e64 s[0:1], 4, v0
	ds_write_b64 v93, v[42:43]
	s_waitcnt lgkmcnt(0)
	; wave barrier
	s_and_saveexec_b64 s[24:25], s[0:1]
	s_cbranch_execz .LBB74_81
; %bb.66:
	s_andn2_b64 vcc, exec, s[22:23]
	s_cbranch_vccnz .LBB74_68
; %bb.67:
	v_cmp_eq_u32_e32 vcc, 1, v0
	v_cmp_eq_u32_e64 s[4:5], 2, v0
	v_cmp_eq_u32_e64 s[6:7], 3, v0
	v_cndmask_b32_e32 v88, v35, v37, vcc
	v_cndmask_b32_e64 v88, v88, v39, s[4:5]
	v_cndmask_b32_e64 v88, v88, v41, s[6:7]
	v_cmp_eq_u32_e64 s[8:9], 4, v0
	v_cmp_eq_u32_e64 s[10:11], 5, v0
	;; [unrolled: 1-line block ×3, first 2 shown]
	v_cndmask_b32_e64 v88, v88, v43, s[8:9]
	v_cndmask_b32_e64 v88, v88, v45, s[10:11]
	;; [unrolled: 1-line block ×3, first 2 shown]
	v_cmp_eq_u32_e64 s[14:15], 7, v0
	v_cmp_eq_u32_e64 s[16:17], 8, v0
	;; [unrolled: 1-line block ×3, first 2 shown]
	v_cndmask_b32_e64 v88, v88, v49, s[14:15]
	v_cndmask_b32_e64 v88, v88, v51, s[16:17]
	;; [unrolled: 1-line block ×3, first 2 shown]
	v_cmp_eq_u32_e64 s[20:21], 10, v0
	ds_read_b64 v[90:91], v93
	s_nop 0
	v_cndmask_b32_e64 v89, v88, v55, s[20:21]
	v_cndmask_b32_e32 v88, v34, v36, vcc
	v_cndmask_b32_e64 v88, v88, v38, s[4:5]
	v_cndmask_b32_e64 v88, v88, v40, s[6:7]
	;; [unrolled: 1-line block ×9, first 2 shown]
	s_waitcnt lgkmcnt(0)
	v_mul_f64 v[88:89], v[88:89], v[90:91]
	s_cbranch_execz .LBB74_69
	s_branch .LBB74_70
.LBB74_68:
                                        ; implicit-def: $vgpr88_vgpr89
.LBB74_69:
	ds_read_b64 v[88:89], v93
.LBB74_70:
	s_and_saveexec_b64 s[6:7], s[2:3]
	s_cbranch_execz .LBB74_80
; %bb.71:
	v_add_u32_e32 v90, -6, v0
	v_add_u32_e32 v91, -5, v0
	v_cmp_lt_u32_e32 vcc, 6, v90
	v_mov_b32_e32 v90, 5
	s_and_saveexec_b64 s[2:3], vcc
	s_cbranch_execz .LBB74_75
; %bb.72:
	v_and_b32_e32 v90, -8, v91
	v_sub_u32_e32 v92, 0, v90
	s_mov_b64 s[4:5], 12
	s_movk_i32 s10, 0x88
	s_mov_b64 s[8:9], 0
.LBB74_73:                              ; =>This Inner Loop Header: Depth=1
	s_lshl_b32 s11, s4, 1
	s_add_i32 s12, s11, -13
	v_mov_b32_e32 v108, s10
	s_add_i32 s13, s11, -14
	s_set_gpr_idx_on s12, gpr_idx(SRC0)
	v_mov_b32_e32 v103, v34
	s_set_gpr_idx_off
	s_add_i32 s14, s11, -11
	s_set_gpr_idx_on s13, gpr_idx(SRC0)
	v_mov_b32_e32 v102, v34
	s_set_gpr_idx_off
	ds_read2_b64 v[94:97], v108 offset1:1
	s_add_i32 s15, s11, -12
	s_set_gpr_idx_on s14, gpr_idx(SRC0)
	v_mov_b32_e32 v105, v34
	s_set_gpr_idx_off
	s_add_i32 s16, s11, -9
	s_set_gpr_idx_on s15, gpr_idx(SRC0)
	v_mov_b32_e32 v104, v34
	s_set_gpr_idx_off
	;; [unrolled: 4-line block ×4, first 2 shown]
	ds_read2_b64 v[98:101], v108 offset0:2 offset1:3
	s_add_i32 s19, s11, -8
	s_waitcnt lgkmcnt(1)
	v_fmac_f64_e32 v[88:89], v[102:103], v[94:95]
	s_set_gpr_idx_on s18, gpr_idx(SRC0)
	v_mov_b32_e32 v103, v34
	s_set_gpr_idx_off
	s_add_i32 s20, s11, -5
	v_fmac_f64_e32 v[88:89], v[104:105], v[96:97]
	s_set_gpr_idx_on s19, gpr_idx(SRC0)
	v_mov_b32_e32 v102, v34
	s_set_gpr_idx_off
	s_add_i32 s21, s11, -6
	s_set_gpr_idx_on s20, gpr_idx(SRC0)
	v_mov_b32_e32 v105, v34
	s_set_gpr_idx_off
	s_add_i32 s26, s11, -3
	;; [unrolled: 4-line block ×3, first 2 shown]
	ds_read2_b64 v[94:97], v108 offset0:4 offset1:5
	s_waitcnt lgkmcnt(1)
	v_fmac_f64_e32 v[88:89], v[106:107], v[98:99]
	s_set_gpr_idx_on s26, gpr_idx(SRC0)
	v_mov_b32_e32 v107, v34
	s_set_gpr_idx_off
	s_add_i32 s28, s11, -1
	v_fmac_f64_e32 v[88:89], v[102:103], v[100:101]
	s_set_gpr_idx_on s27, gpr_idx(SRC0)
	v_mov_b32_e32 v106, v34
	s_set_gpr_idx_off
	s_add_i32 s29, s11, -2
	s_set_gpr_idx_on s28, gpr_idx(SRC0)
	v_mov_b32_e32 v103, v34
	s_set_gpr_idx_off
	s_set_gpr_idx_on s29, gpr_idx(SRC0)
	v_mov_b32_e32 v102, v34
	s_set_gpr_idx_off
	ds_read2_b64 v[98:101], v108 offset0:6 offset1:7
	s_add_u32 s4, s4, 8
	s_waitcnt lgkmcnt(1)
	v_fmac_f64_e32 v[88:89], v[104:105], v[94:95]
	s_set_gpr_idx_on s11, gpr_idx(SRC0)
	v_mov_b32_e32 v95, v35
	s_set_gpr_idx_off
	v_add_u32_e32 v90, s4, v92
	v_fmac_f64_e32 v[88:89], v[106:107], v[96:97]
	s_set_gpr_idx_on s11, gpr_idx(SRC0)
	v_mov_b32_e32 v94, v34
	s_set_gpr_idx_off
	s_addc_u32 s5, s5, 0
	s_add_i32 s10, s10, 64
	s_add_i32 s12, s4, -7
	v_cmp_eq_u32_e32 vcc, 12, v90
	s_waitcnt lgkmcnt(0)
	v_fmac_f64_e32 v[88:89], v[102:103], v[98:99]
	v_mov_b32_e32 v90, s12
	s_or_b64 s[8:9], vcc, s[8:9]
	v_fmac_f64_e32 v[88:89], v[94:95], v[100:101]
	s_andn2_b64 exec, exec, s[8:9]
	s_cbranch_execnz .LBB74_73
; %bb.74:
	s_or_b64 exec, exec, s[8:9]
.LBB74_75:
	s_or_b64 exec, exec, s[2:3]
	v_and_b32_e32 v56, 7, v91
	v_cmp_ne_u32_e32 vcc, 0, v56
	s_and_saveexec_b64 s[8:9], vcc
	s_cbranch_execz .LBB74_79
; %bb.76:
	v_mov_b32_e32 v57, 0x60
	v_lshl_add_u32 v57, v90, 3, v57
	v_mov_b32_e32 v91, 0
	s_mov_b64 s[10:11], 0
.LBB74_77:                              ; =>This Inner Loop Header: Depth=1
	v_cmp_eq_u32_e32 vcc, 1, v90
	v_add_u32_e32 v56, -1, v56
	v_cmp_eq_u32_e64 s[2:3], 2, v90
	v_cndmask_b32_e32 v60, v35, v37, vcc
	v_cndmask_b32_e32 v61, v34, v36, vcc
	v_cndmask_b32_e64 v60, v60, v39, s[2:3]
	v_cmp_eq_u32_e32 vcc, 0, v56
	v_cmp_eq_u32_e64 s[4:5], 3, v90
	v_cndmask_b32_e64 v61, v61, v38, s[2:3]
	s_or_b64 s[10:11], vcc, s[10:11]
	v_cndmask_b32_e64 v60, v60, v41, s[4:5]
	v_cmp_eq_u32_e32 vcc, 4, v90
	v_cndmask_b32_e64 v61, v61, v40, s[4:5]
	v_cmp_eq_u32_e64 s[2:3], 5, v90
	v_cndmask_b32_e32 v60, v60, v43, vcc
	v_cndmask_b32_e32 v61, v61, v42, vcc
	v_cndmask_b32_e64 v60, v60, v45, s[2:3]
	v_cmp_eq_u32_e32 vcc, 6, v90
	v_cndmask_b32_e64 v61, v61, v44, s[2:3]
	v_cmp_eq_u32_e64 s[2:3], 7, v90
	v_cndmask_b32_e32 v60, v60, v47, vcc
	ds_read_b64 v[58:59], v57
	v_cndmask_b32_e64 v60, v60, v49, s[2:3]
	v_cndmask_b32_e32 v61, v61, v46, vcc
	v_cmp_eq_u32_e32 vcc, 8, v90
	v_cndmask_b32_e64 v61, v61, v48, s[2:3]
	v_cmp_eq_u32_e64 s[2:3], 9, v90
	v_cndmask_b32_e32 v60, v60, v51, vcc
	v_cmp_eq_u32_e64 s[4:5], 10, v90
	v_cndmask_b32_e64 v60, v60, v53, s[2:3]
	v_cndmask_b32_e32 v62, v61, v50, vcc
	v_cndmask_b32_e64 v61, v60, v55, s[4:5]
	v_cndmask_b32_e64 v60, v62, v52, s[2:3]
	;; [unrolled: 1-line block ×3, first 2 shown]
	v_add_u32_e32 v57, 8, v57
	v_lshl_add_u64 v[90:91], v[90:91], 0, 1
	s_waitcnt lgkmcnt(0)
	v_fmac_f64_e32 v[88:89], v[60:61], v[58:59]
	s_andn2_b64 exec, exec, s[10:11]
	s_cbranch_execnz .LBB74_77
; %bb.78:
	s_or_b64 exec, exec, s[10:11]
.LBB74_79:
	s_or_b64 exec, exec, s[8:9]
.LBB74_80:
	s_or_b64 exec, exec, s[6:7]
	v_mov_b32_e32 v42, 0
	ds_read_b64 v[42:43], v42 offset:32
	s_waitcnt lgkmcnt(0)
	v_mul_f64 v[42:43], v[88:89], v[42:43]
.LBB74_81:
	s_or_b64 exec, exec, s[24:25]
	v_cmp_lt_u32_e64 s[2:3], 3, v0
	ds_write_b64 v93, v[40:41]
	s_waitcnt lgkmcnt(0)
	; wave barrier
	s_and_saveexec_b64 s[24:25], s[2:3]
	s_cbranch_execz .LBB74_97
; %bb.82:
	s_andn2_b64 vcc, exec, s[22:23]
	s_cbranch_vccnz .LBB74_84
; %bb.83:
	v_cmp_eq_u32_e32 vcc, 1, v0
	v_cmp_eq_u32_e64 s[4:5], 2, v0
	v_cmp_eq_u32_e64 s[6:7], 3, v0
	v_cndmask_b32_e32 v88, v35, v37, vcc
	v_cndmask_b32_e64 v88, v88, v39, s[4:5]
	v_cndmask_b32_e64 v88, v88, v41, s[6:7]
	v_cmp_eq_u32_e64 s[8:9], 4, v0
	v_cmp_eq_u32_e64 s[10:11], 5, v0
	;; [unrolled: 1-line block ×3, first 2 shown]
	v_cndmask_b32_e64 v88, v88, v43, s[8:9]
	v_cndmask_b32_e64 v88, v88, v45, s[10:11]
	;; [unrolled: 1-line block ×3, first 2 shown]
	v_cmp_eq_u32_e64 s[14:15], 7, v0
	v_cmp_eq_u32_e64 s[16:17], 8, v0
	;; [unrolled: 1-line block ×3, first 2 shown]
	v_cndmask_b32_e64 v88, v88, v49, s[14:15]
	v_cndmask_b32_e64 v88, v88, v51, s[16:17]
	;; [unrolled: 1-line block ×3, first 2 shown]
	v_cmp_eq_u32_e64 s[20:21], 10, v0
	ds_read_b64 v[90:91], v93
	s_nop 0
	v_cndmask_b32_e64 v89, v88, v55, s[20:21]
	v_cndmask_b32_e32 v88, v34, v36, vcc
	v_cndmask_b32_e64 v88, v88, v38, s[4:5]
	v_cndmask_b32_e64 v88, v88, v40, s[6:7]
	;; [unrolled: 1-line block ×9, first 2 shown]
	s_waitcnt lgkmcnt(0)
	v_mul_f64 v[88:89], v[88:89], v[90:91]
	s_cbranch_execz .LBB74_85
	s_branch .LBB74_86
.LBB74_84:
                                        ; implicit-def: $vgpr88_vgpr89
.LBB74_85:
	ds_read_b64 v[88:89], v93
.LBB74_86:
	s_and_saveexec_b64 s[6:7], s[0:1]
	s_cbranch_execz .LBB74_96
; %bb.87:
	v_add_u32_e32 v90, -5, v0
	v_add_u32_e32 v91, -4, v0
	v_cmp_lt_u32_e32 vcc, 6, v90
	v_mov_b32_e32 v90, 4
	s_and_saveexec_b64 s[0:1], vcc
	s_cbranch_execz .LBB74_91
; %bb.88:
	v_and_b32_e32 v90, -8, v91
	v_sub_u32_e32 v92, 0, v90
	s_mov_b64 s[4:5], 5
	s_movk_i32 s10, 0x80
	s_mov_b64 s[8:9], 0
.LBB74_89:                              ; =>This Inner Loop Header: Depth=1
	s_lshl_b32 s11, s4, 1
	s_add_i32 s12, s11, -1
	s_add_i32 s13, s11, -2
	s_set_gpr_idx_on s12, gpr_idx(SRC0)
	v_mov_b32_e32 v111, v34
	s_set_gpr_idx_off
	v_mov_b32_e32 v90, s10
	s_set_gpr_idx_on s13, gpr_idx(SRC0)
	v_mov_b32_e32 v110, v34
	s_set_gpr_idx_off
	ds_read_b128 v[94:97], v90
	ds_read_b128 v[98:101], v90 offset:16
	ds_read_b128 v[102:105], v90 offset:32
	;; [unrolled: 1-line block ×3, first 2 shown]
	s_set_gpr_idx_on s11, gpr_idx(SRC0)
	v_mov_b32_e32 v113, v35
	s_add_i32 s14, s11, 3
	v_mov_b32_e32 v112, v34
	s_set_gpr_idx_off
	s_add_i32 s15, s11, 2
	s_set_gpr_idx_on s14, gpr_idx(SRC0)
	v_mov_b32_e32 v115, v34
	s_set_gpr_idx_off
	s_add_i32 s16, s11, 5
	s_set_gpr_idx_on s15, gpr_idx(SRC0)
	v_mov_b32_e32 v114, v34
	s_set_gpr_idx_off
	s_add_i32 s17, s11, 4
	s_waitcnt lgkmcnt(3)
	v_fmac_f64_e32 v[88:89], v[110:111], v[94:95]
	s_set_gpr_idx_on s16, gpr_idx(SRC0)
	v_mov_b32_e32 v95, v34
	s_set_gpr_idx_off
	s_add_i32 s18, s11, 7
	v_fmac_f64_e32 v[88:89], v[112:113], v[96:97]
	s_set_gpr_idx_on s17, gpr_idx(SRC0)
	v_mov_b32_e32 v94, v34
	s_set_gpr_idx_off
	s_add_i32 s19, s11, 6
	s_waitcnt lgkmcnt(2)
	v_fmac_f64_e32 v[88:89], v[114:115], v[98:99]
	s_set_gpr_idx_on s18, gpr_idx(SRC0)
	v_mov_b32_e32 v97, v34
	s_set_gpr_idx_off
	s_add_i32 s20, s11, 9
	v_fmac_f64_e32 v[88:89], v[94:95], v[100:101]
	s_set_gpr_idx_on s19, gpr_idx(SRC0)
	v_mov_b32_e32 v96, v34
	s_set_gpr_idx_off
	s_add_i32 s21, s11, 8
	s_waitcnt lgkmcnt(1)
	v_fmac_f64_e32 v[88:89], v[96:97], v[102:103]
	s_set_gpr_idx_on s20, gpr_idx(SRC0)
	v_mov_b32_e32 v95, v34
	s_set_gpr_idx_off
	s_add_i32 s26, s11, 11
	s_set_gpr_idx_on s21, gpr_idx(SRC0)
	v_mov_b32_e32 v94, v34
	s_set_gpr_idx_off
	s_add_i32 s27, s11, 10
	s_add_i32 s28, s11, 13
	;; [unrolled: 1-line block ×3, first 2 shown]
	v_fmac_f64_e32 v[88:89], v[94:95], v[104:105]
	s_set_gpr_idx_on s26, gpr_idx(SRC0)
	v_mov_b32_e32 v95, v34
	s_set_gpr_idx_off
	s_add_u32 s4, s4, 8
	s_set_gpr_idx_on s27, gpr_idx(SRC0)
	v_mov_b32_e32 v94, v34
	s_set_gpr_idx_off
	v_add_u32_e32 v90, s4, v92
	s_waitcnt lgkmcnt(0)
	v_fmac_f64_e32 v[88:89], v[94:95], v[106:107]
	s_set_gpr_idx_on s28, gpr_idx(SRC0)
	v_mov_b32_e32 v95, v34
	s_set_gpr_idx_off
	s_addc_u32 s5, s5, 0
	s_add_i32 s10, s10, 64
	s_add_i32 s12, s4, -1
	v_cmp_eq_u32_e32 vcc, 5, v90
	s_set_gpr_idx_on s29, gpr_idx(SRC0)
	v_mov_b32_e32 v94, v34
	s_set_gpr_idx_off
	v_mov_b32_e32 v90, s12
	s_or_b64 s[8:9], vcc, s[8:9]
	v_fmac_f64_e32 v[88:89], v[94:95], v[108:109]
	s_andn2_b64 exec, exec, s[8:9]
	s_cbranch_execnz .LBB74_89
; %bb.90:
	s_or_b64 exec, exec, s[8:9]
.LBB74_91:
	s_or_b64 exec, exec, s[0:1]
	v_and_b32_e32 v56, 7, v91
	v_cmp_ne_u32_e32 vcc, 0, v56
	s_and_saveexec_b64 s[8:9], vcc
	s_cbranch_execz .LBB74_95
; %bb.92:
	v_mov_b32_e32 v57, 0x60
	v_lshl_add_u32 v57, v90, 3, v57
	v_mov_b32_e32 v91, 0
	s_mov_b64 s[10:11], 0
.LBB74_93:                              ; =>This Inner Loop Header: Depth=1
	v_cmp_eq_u32_e32 vcc, 1, v90
	v_add_u32_e32 v56, -1, v56
	v_cmp_eq_u32_e64 s[0:1], 2, v90
	v_cndmask_b32_e32 v60, v35, v37, vcc
	v_cndmask_b32_e32 v61, v34, v36, vcc
	v_cndmask_b32_e64 v60, v60, v39, s[0:1]
	v_cmp_eq_u32_e32 vcc, 0, v56
	v_cmp_eq_u32_e64 s[4:5], 3, v90
	v_cndmask_b32_e64 v61, v61, v38, s[0:1]
	s_or_b64 s[10:11], vcc, s[10:11]
	v_cndmask_b32_e64 v60, v60, v41, s[4:5]
	v_cmp_eq_u32_e32 vcc, 4, v90
	v_cndmask_b32_e64 v61, v61, v40, s[4:5]
	v_cmp_eq_u32_e64 s[0:1], 5, v90
	v_cndmask_b32_e32 v60, v60, v43, vcc
	v_cndmask_b32_e32 v61, v61, v42, vcc
	v_cndmask_b32_e64 v60, v60, v45, s[0:1]
	v_cmp_eq_u32_e32 vcc, 6, v90
	v_cndmask_b32_e64 v61, v61, v44, s[0:1]
	v_cmp_eq_u32_e64 s[0:1], 7, v90
	v_cndmask_b32_e32 v60, v60, v47, vcc
	ds_read_b64 v[58:59], v57
	v_cndmask_b32_e64 v60, v60, v49, s[0:1]
	v_cndmask_b32_e32 v61, v61, v46, vcc
	v_cmp_eq_u32_e32 vcc, 8, v90
	v_cndmask_b32_e64 v61, v61, v48, s[0:1]
	v_cmp_eq_u32_e64 s[0:1], 9, v90
	v_cndmask_b32_e32 v60, v60, v51, vcc
	v_cmp_eq_u32_e64 s[4:5], 10, v90
	v_cndmask_b32_e64 v60, v60, v53, s[0:1]
	v_cndmask_b32_e32 v62, v61, v50, vcc
	v_cndmask_b32_e64 v61, v60, v55, s[4:5]
	v_cndmask_b32_e64 v60, v62, v52, s[0:1]
	;; [unrolled: 1-line block ×3, first 2 shown]
	v_add_u32_e32 v57, 8, v57
	v_lshl_add_u64 v[90:91], v[90:91], 0, 1
	s_waitcnt lgkmcnt(0)
	v_fmac_f64_e32 v[88:89], v[60:61], v[58:59]
	s_andn2_b64 exec, exec, s[10:11]
	s_cbranch_execnz .LBB74_93
; %bb.94:
	s_or_b64 exec, exec, s[10:11]
.LBB74_95:
	s_or_b64 exec, exec, s[8:9]
.LBB74_96:
	s_or_b64 exec, exec, s[6:7]
	v_mov_b32_e32 v40, 0
	ds_read_b64 v[40:41], v40 offset:24
	s_waitcnt lgkmcnt(0)
	v_mul_f64 v[40:41], v[88:89], v[40:41]
.LBB74_97:
	s_or_b64 exec, exec, s[24:25]
	v_cmp_lt_u32_e64 s[0:1], 2, v0
	ds_write_b64 v93, v[38:39]
	s_waitcnt lgkmcnt(0)
	; wave barrier
	s_and_saveexec_b64 s[24:25], s[0:1]
	s_cbranch_execz .LBB74_113
; %bb.98:
	s_andn2_b64 vcc, exec, s[22:23]
	s_cbranch_vccnz .LBB74_100
; %bb.99:
	v_cmp_eq_u32_e32 vcc, 1, v0
	v_cmp_eq_u32_e64 s[4:5], 2, v0
	v_cmp_eq_u32_e64 s[6:7], 3, v0
	v_cndmask_b32_e32 v88, v35, v37, vcc
	v_cndmask_b32_e64 v88, v88, v39, s[4:5]
	v_cndmask_b32_e64 v88, v88, v41, s[6:7]
	v_cmp_eq_u32_e64 s[8:9], 4, v0
	v_cmp_eq_u32_e64 s[10:11], 5, v0
	;; [unrolled: 1-line block ×3, first 2 shown]
	v_cndmask_b32_e64 v88, v88, v43, s[8:9]
	v_cndmask_b32_e64 v88, v88, v45, s[10:11]
	;; [unrolled: 1-line block ×3, first 2 shown]
	v_cmp_eq_u32_e64 s[14:15], 7, v0
	v_cmp_eq_u32_e64 s[16:17], 8, v0
	;; [unrolled: 1-line block ×3, first 2 shown]
	v_cndmask_b32_e64 v88, v88, v49, s[14:15]
	v_cndmask_b32_e64 v88, v88, v51, s[16:17]
	;; [unrolled: 1-line block ×3, first 2 shown]
	v_cmp_eq_u32_e64 s[20:21], 10, v0
	ds_read_b64 v[90:91], v93
	s_nop 0
	v_cndmask_b32_e64 v89, v88, v55, s[20:21]
	v_cndmask_b32_e32 v88, v34, v36, vcc
	v_cndmask_b32_e64 v88, v88, v38, s[4:5]
	v_cndmask_b32_e64 v88, v88, v40, s[6:7]
	;; [unrolled: 1-line block ×9, first 2 shown]
	s_waitcnt lgkmcnt(0)
	v_mul_f64 v[88:89], v[88:89], v[90:91]
	s_cbranch_execz .LBB74_101
	s_branch .LBB74_102
.LBB74_100:
                                        ; implicit-def: $vgpr88_vgpr89
.LBB74_101:
	ds_read_b64 v[88:89], v93
.LBB74_102:
	s_and_saveexec_b64 s[6:7], s[2:3]
	s_cbranch_execz .LBB74_112
; %bb.103:
	v_add_u32_e32 v90, -4, v0
	v_add_u32_e32 v91, -3, v0
	v_cmp_lt_u32_e32 vcc, 6, v90
	v_mov_b32_e32 v90, 3
	s_and_saveexec_b64 s[2:3], vcc
	s_cbranch_execz .LBB74_107
; %bb.104:
	v_and_b32_e32 v90, -8, v91
	v_sub_u32_e32 v92, 0, v90
	s_mov_b64 s[4:5], 10
	s_movk_i32 s10, 0x78
	s_mov_b64 s[8:9], 0
.LBB74_105:                             ; =>This Inner Loop Header: Depth=1
	s_lshl_b32 s11, s4, 1
	s_add_i32 s12, s11, -13
	v_mov_b32_e32 v108, s10
	s_add_i32 s13, s11, -14
	s_set_gpr_idx_on s12, gpr_idx(SRC0)
	v_mov_b32_e32 v103, v34
	s_set_gpr_idx_off
	s_add_i32 s14, s11, -11
	s_set_gpr_idx_on s13, gpr_idx(SRC0)
	v_mov_b32_e32 v102, v34
	s_set_gpr_idx_off
	ds_read2_b64 v[94:97], v108 offset1:1
	s_add_i32 s15, s11, -12
	s_set_gpr_idx_on s14, gpr_idx(SRC0)
	v_mov_b32_e32 v105, v34
	s_set_gpr_idx_off
	s_add_i32 s16, s11, -9
	s_set_gpr_idx_on s15, gpr_idx(SRC0)
	v_mov_b32_e32 v104, v34
	s_set_gpr_idx_off
	s_add_i32 s17, s11, -10
	s_set_gpr_idx_on s16, gpr_idx(SRC0)
	v_mov_b32_e32 v107, v34
	s_set_gpr_idx_off
	s_add_i32 s18, s11, -7
	s_set_gpr_idx_on s17, gpr_idx(SRC0)
	v_mov_b32_e32 v106, v34
	s_set_gpr_idx_off
	ds_read2_b64 v[98:101], v108 offset0:2 offset1:3
	s_add_i32 s19, s11, -8
	s_waitcnt lgkmcnt(1)
	v_fmac_f64_e32 v[88:89], v[102:103], v[94:95]
	s_set_gpr_idx_on s18, gpr_idx(SRC0)
	v_mov_b32_e32 v103, v34
	s_set_gpr_idx_off
	s_add_i32 s20, s11, -5
	v_fmac_f64_e32 v[88:89], v[104:105], v[96:97]
	s_set_gpr_idx_on s19, gpr_idx(SRC0)
	v_mov_b32_e32 v102, v34
	s_set_gpr_idx_off
	s_add_i32 s21, s11, -6
	s_set_gpr_idx_on s20, gpr_idx(SRC0)
	v_mov_b32_e32 v105, v34
	s_set_gpr_idx_off
	s_add_i32 s26, s11, -3
	s_set_gpr_idx_on s21, gpr_idx(SRC0)
	v_mov_b32_e32 v104, v34
	s_set_gpr_idx_off
	s_add_i32 s27, s11, -4
	ds_read2_b64 v[94:97], v108 offset0:4 offset1:5
	s_waitcnt lgkmcnt(1)
	v_fmac_f64_e32 v[88:89], v[106:107], v[98:99]
	s_set_gpr_idx_on s26, gpr_idx(SRC0)
	v_mov_b32_e32 v107, v34
	s_set_gpr_idx_off
	s_add_i32 s28, s11, -1
	v_fmac_f64_e32 v[88:89], v[102:103], v[100:101]
	s_set_gpr_idx_on s27, gpr_idx(SRC0)
	v_mov_b32_e32 v106, v34
	s_set_gpr_idx_off
	s_add_i32 s29, s11, -2
	s_set_gpr_idx_on s28, gpr_idx(SRC0)
	v_mov_b32_e32 v103, v34
	s_set_gpr_idx_off
	s_set_gpr_idx_on s29, gpr_idx(SRC0)
	v_mov_b32_e32 v102, v34
	s_set_gpr_idx_off
	ds_read2_b64 v[98:101], v108 offset0:6 offset1:7
	s_add_u32 s4, s4, 8
	s_waitcnt lgkmcnt(1)
	v_fmac_f64_e32 v[88:89], v[104:105], v[94:95]
	s_set_gpr_idx_on s11, gpr_idx(SRC0)
	v_mov_b32_e32 v95, v35
	s_set_gpr_idx_off
	v_add_u32_e32 v90, s4, v92
	v_fmac_f64_e32 v[88:89], v[106:107], v[96:97]
	s_set_gpr_idx_on s11, gpr_idx(SRC0)
	v_mov_b32_e32 v94, v34
	s_set_gpr_idx_off
	s_addc_u32 s5, s5, 0
	s_add_i32 s10, s10, 64
	s_add_i32 s12, s4, -7
	v_cmp_eq_u32_e32 vcc, 10, v90
	s_waitcnt lgkmcnt(0)
	v_fmac_f64_e32 v[88:89], v[102:103], v[98:99]
	v_mov_b32_e32 v90, s12
	s_or_b64 s[8:9], vcc, s[8:9]
	v_fmac_f64_e32 v[88:89], v[94:95], v[100:101]
	s_andn2_b64 exec, exec, s[8:9]
	s_cbranch_execnz .LBB74_105
; %bb.106:
	s_or_b64 exec, exec, s[8:9]
.LBB74_107:
	s_or_b64 exec, exec, s[2:3]
	v_and_b32_e32 v56, 7, v91
	v_cmp_ne_u32_e32 vcc, 0, v56
	s_and_saveexec_b64 s[8:9], vcc
	s_cbranch_execz .LBB74_111
; %bb.108:
	v_mov_b32_e32 v57, 0x60
	v_lshl_add_u32 v57, v90, 3, v57
	v_mov_b32_e32 v91, 0
	s_mov_b64 s[10:11], 0
.LBB74_109:                             ; =>This Inner Loop Header: Depth=1
	v_cmp_eq_u32_e32 vcc, 1, v90
	v_add_u32_e32 v56, -1, v56
	v_cmp_eq_u32_e64 s[2:3], 2, v90
	v_cndmask_b32_e32 v60, v35, v37, vcc
	v_cndmask_b32_e32 v61, v34, v36, vcc
	v_cndmask_b32_e64 v60, v60, v39, s[2:3]
	v_cmp_eq_u32_e32 vcc, 0, v56
	v_cmp_eq_u32_e64 s[4:5], 3, v90
	v_cndmask_b32_e64 v61, v61, v38, s[2:3]
	s_or_b64 s[10:11], vcc, s[10:11]
	v_cndmask_b32_e64 v60, v60, v41, s[4:5]
	v_cmp_eq_u32_e32 vcc, 4, v90
	v_cndmask_b32_e64 v61, v61, v40, s[4:5]
	v_cmp_eq_u32_e64 s[2:3], 5, v90
	v_cndmask_b32_e32 v60, v60, v43, vcc
	v_cndmask_b32_e32 v61, v61, v42, vcc
	v_cndmask_b32_e64 v60, v60, v45, s[2:3]
	v_cmp_eq_u32_e32 vcc, 6, v90
	v_cndmask_b32_e64 v61, v61, v44, s[2:3]
	v_cmp_eq_u32_e64 s[2:3], 7, v90
	v_cndmask_b32_e32 v60, v60, v47, vcc
	ds_read_b64 v[58:59], v57
	v_cndmask_b32_e64 v60, v60, v49, s[2:3]
	v_cndmask_b32_e32 v61, v61, v46, vcc
	v_cmp_eq_u32_e32 vcc, 8, v90
	v_cndmask_b32_e64 v61, v61, v48, s[2:3]
	v_cmp_eq_u32_e64 s[2:3], 9, v90
	v_cndmask_b32_e32 v60, v60, v51, vcc
	v_cmp_eq_u32_e64 s[4:5], 10, v90
	v_cndmask_b32_e64 v60, v60, v53, s[2:3]
	v_cndmask_b32_e32 v62, v61, v50, vcc
	v_cndmask_b32_e64 v61, v60, v55, s[4:5]
	v_cndmask_b32_e64 v60, v62, v52, s[2:3]
	;; [unrolled: 1-line block ×3, first 2 shown]
	v_add_u32_e32 v57, 8, v57
	v_lshl_add_u64 v[90:91], v[90:91], 0, 1
	s_waitcnt lgkmcnt(0)
	v_fmac_f64_e32 v[88:89], v[60:61], v[58:59]
	s_andn2_b64 exec, exec, s[10:11]
	s_cbranch_execnz .LBB74_109
; %bb.110:
	s_or_b64 exec, exec, s[10:11]
.LBB74_111:
	s_or_b64 exec, exec, s[8:9]
.LBB74_112:
	s_or_b64 exec, exec, s[6:7]
	v_mov_b32_e32 v38, 0
	ds_read_b64 v[38:39], v38 offset:16
	s_waitcnt lgkmcnt(0)
	v_mul_f64 v[38:39], v[88:89], v[38:39]
.LBB74_113:
	s_or_b64 exec, exec, s[24:25]
	v_cmp_lt_u32_e64 s[2:3], 1, v0
	ds_write_b64 v93, v[36:37]
	s_waitcnt lgkmcnt(0)
	; wave barrier
	s_and_saveexec_b64 s[24:25], s[2:3]
	s_cbranch_execz .LBB74_129
; %bb.114:
	s_andn2_b64 vcc, exec, s[22:23]
	s_cbranch_vccnz .LBB74_116
; %bb.115:
	v_cmp_eq_u32_e32 vcc, 1, v0
	v_cmp_eq_u32_e64 s[4:5], 2, v0
	v_cmp_eq_u32_e64 s[6:7], 3, v0
	v_cndmask_b32_e32 v88, v35, v37, vcc
	v_cndmask_b32_e64 v88, v88, v39, s[4:5]
	v_cndmask_b32_e64 v88, v88, v41, s[6:7]
	v_cmp_eq_u32_e64 s[8:9], 4, v0
	v_cmp_eq_u32_e64 s[10:11], 5, v0
	;; [unrolled: 1-line block ×3, first 2 shown]
	v_cndmask_b32_e64 v88, v88, v43, s[8:9]
	v_cndmask_b32_e64 v88, v88, v45, s[10:11]
	;; [unrolled: 1-line block ×3, first 2 shown]
	v_cmp_eq_u32_e64 s[14:15], 7, v0
	v_cmp_eq_u32_e64 s[16:17], 8, v0
	v_cmp_eq_u32_e64 s[18:19], 9, v0
	v_cndmask_b32_e64 v88, v88, v49, s[14:15]
	v_cndmask_b32_e64 v88, v88, v51, s[16:17]
	;; [unrolled: 1-line block ×3, first 2 shown]
	v_cmp_eq_u32_e64 s[20:21], 10, v0
	ds_read_b64 v[90:91], v93
	s_nop 0
	v_cndmask_b32_e64 v89, v88, v55, s[20:21]
	v_cndmask_b32_e32 v88, v34, v36, vcc
	v_cndmask_b32_e64 v88, v88, v38, s[4:5]
	v_cndmask_b32_e64 v88, v88, v40, s[6:7]
	;; [unrolled: 1-line block ×9, first 2 shown]
	s_waitcnt lgkmcnt(0)
	v_mul_f64 v[88:89], v[88:89], v[90:91]
	s_cbranch_execz .LBB74_117
	s_branch .LBB74_118
.LBB74_116:
                                        ; implicit-def: $vgpr88_vgpr89
.LBB74_117:
	ds_read_b64 v[88:89], v93
.LBB74_118:
	s_and_saveexec_b64 s[6:7], s[0:1]
	s_cbranch_execz .LBB74_128
; %bb.119:
	v_add_u32_e32 v90, -3, v0
	v_add_u32_e32 v91, -2, v0
	v_cmp_lt_u32_e32 vcc, 6, v90
	v_mov_b32_e32 v90, 2
	s_and_saveexec_b64 s[0:1], vcc
	s_cbranch_execz .LBB74_123
; %bb.120:
	v_and_b32_e32 v90, -8, v91
	v_sub_u32_e32 v92, 0, v90
	s_mov_b64 s[4:5], 9
	s_movk_i32 s10, 0x70
	s_mov_b64 s[8:9], 0
.LBB74_121:                             ; =>This Inner Loop Header: Depth=1
	s_lshl_b32 s11, s4, 1
	s_add_i32 s12, s11, -13
	s_add_i32 s13, s11, -14
	s_set_gpr_idx_on s12, gpr_idx(SRC0)
	v_mov_b32_e32 v111, v34
	s_set_gpr_idx_off
	v_mov_b32_e32 v90, s10
	s_add_i32 s14, s11, -11
	s_set_gpr_idx_on s13, gpr_idx(SRC0)
	v_mov_b32_e32 v110, v34
	s_set_gpr_idx_off
	s_add_i32 s15, s11, -12
	ds_read_b128 v[94:97], v90
	ds_read_b128 v[98:101], v90 offset:16
	ds_read_b128 v[102:105], v90 offset:32
	;; [unrolled: 1-line block ×3, first 2 shown]
	s_set_gpr_idx_on s14, gpr_idx(SRC0)
	v_mov_b32_e32 v113, v34
	s_set_gpr_idx_off
	s_add_i32 s16, s11, -9
	s_set_gpr_idx_on s15, gpr_idx(SRC0)
	v_mov_b32_e32 v112, v34
	s_set_gpr_idx_off
	s_add_i32 s17, s11, -10
	;; [unrolled: 4-line block ×4, first 2 shown]
	s_waitcnt lgkmcnt(3)
	v_fmac_f64_e32 v[88:89], v[110:111], v[94:95]
	s_set_gpr_idx_on s18, gpr_idx(SRC0)
	v_mov_b32_e32 v95, v34
	s_set_gpr_idx_off
	s_add_i32 s20, s11, -5
	v_fmac_f64_e32 v[88:89], v[112:113], v[96:97]
	s_set_gpr_idx_on s19, gpr_idx(SRC0)
	v_mov_b32_e32 v94, v34
	s_set_gpr_idx_off
	s_add_i32 s21, s11, -6
	s_waitcnt lgkmcnt(2)
	v_fmac_f64_e32 v[88:89], v[114:115], v[98:99]
	s_set_gpr_idx_on s20, gpr_idx(SRC0)
	v_mov_b32_e32 v97, v34
	s_set_gpr_idx_off
	s_add_i32 s26, s11, -3
	v_fmac_f64_e32 v[88:89], v[94:95], v[100:101]
	s_set_gpr_idx_on s21, gpr_idx(SRC0)
	v_mov_b32_e32 v96, v34
	s_set_gpr_idx_off
	s_add_i32 s27, s11, -4
	s_waitcnt lgkmcnt(1)
	v_fmac_f64_e32 v[88:89], v[96:97], v[102:103]
	s_set_gpr_idx_on s26, gpr_idx(SRC0)
	v_mov_b32_e32 v95, v34
	s_set_gpr_idx_off
	s_add_i32 s28, s11, -1
	s_set_gpr_idx_on s27, gpr_idx(SRC0)
	v_mov_b32_e32 v94, v34
	s_set_gpr_idx_off
	s_add_i32 s29, s11, -2
	v_fmac_f64_e32 v[88:89], v[94:95], v[104:105]
	s_set_gpr_idx_on s28, gpr_idx(SRC0)
	v_mov_b32_e32 v95, v34
	s_set_gpr_idx_off
	s_add_u32 s4, s4, 8
	s_set_gpr_idx_on s29, gpr_idx(SRC0)
	v_mov_b32_e32 v94, v34
	s_set_gpr_idx_off
	v_add_u32_e32 v90, s4, v92
	s_waitcnt lgkmcnt(0)
	v_fmac_f64_e32 v[88:89], v[94:95], v[106:107]
	s_set_gpr_idx_on s11, gpr_idx(SRC0)
	v_mov_b32_e32 v95, v35
	s_set_gpr_idx_off
	s_addc_u32 s5, s5, 0
	s_add_i32 s10, s10, 64
	s_add_i32 s12, s4, -7
	v_cmp_eq_u32_e32 vcc, 9, v90
	s_set_gpr_idx_on s11, gpr_idx(SRC0)
	v_mov_b32_e32 v94, v34
	s_set_gpr_idx_off
	v_mov_b32_e32 v90, s12
	s_or_b64 s[8:9], vcc, s[8:9]
	v_fmac_f64_e32 v[88:89], v[94:95], v[108:109]
	s_andn2_b64 exec, exec, s[8:9]
	s_cbranch_execnz .LBB74_121
; %bb.122:
	s_or_b64 exec, exec, s[8:9]
.LBB74_123:
	s_or_b64 exec, exec, s[0:1]
	v_and_b32_e32 v56, 7, v91
	v_cmp_ne_u32_e32 vcc, 0, v56
	s_and_saveexec_b64 s[8:9], vcc
	s_cbranch_execz .LBB74_127
; %bb.124:
	v_mov_b32_e32 v57, 0x60
	v_lshl_add_u32 v57, v90, 3, v57
	v_mov_b32_e32 v91, 0
	s_mov_b64 s[10:11], 0
.LBB74_125:                             ; =>This Inner Loop Header: Depth=1
	v_cmp_eq_u32_e32 vcc, 1, v90
	v_add_u32_e32 v56, -1, v56
	v_cmp_eq_u32_e64 s[0:1], 2, v90
	v_cndmask_b32_e32 v60, v35, v37, vcc
	v_cndmask_b32_e32 v61, v34, v36, vcc
	v_cndmask_b32_e64 v60, v60, v39, s[0:1]
	v_cmp_eq_u32_e32 vcc, 0, v56
	v_cmp_eq_u32_e64 s[4:5], 3, v90
	v_cndmask_b32_e64 v61, v61, v38, s[0:1]
	s_or_b64 s[10:11], vcc, s[10:11]
	v_cndmask_b32_e64 v60, v60, v41, s[4:5]
	v_cmp_eq_u32_e32 vcc, 4, v90
	v_cndmask_b32_e64 v61, v61, v40, s[4:5]
	v_cmp_eq_u32_e64 s[0:1], 5, v90
	v_cndmask_b32_e32 v60, v60, v43, vcc
	v_cndmask_b32_e32 v61, v61, v42, vcc
	v_cndmask_b32_e64 v60, v60, v45, s[0:1]
	v_cmp_eq_u32_e32 vcc, 6, v90
	v_cndmask_b32_e64 v61, v61, v44, s[0:1]
	v_cmp_eq_u32_e64 s[0:1], 7, v90
	v_cndmask_b32_e32 v60, v60, v47, vcc
	ds_read_b64 v[58:59], v57
	v_cndmask_b32_e64 v60, v60, v49, s[0:1]
	v_cndmask_b32_e32 v61, v61, v46, vcc
	v_cmp_eq_u32_e32 vcc, 8, v90
	v_cndmask_b32_e64 v61, v61, v48, s[0:1]
	v_cmp_eq_u32_e64 s[0:1], 9, v90
	v_cndmask_b32_e32 v60, v60, v51, vcc
	v_cmp_eq_u32_e64 s[4:5], 10, v90
	v_cndmask_b32_e64 v60, v60, v53, s[0:1]
	v_cndmask_b32_e32 v62, v61, v50, vcc
	v_cndmask_b32_e64 v61, v60, v55, s[4:5]
	v_cndmask_b32_e64 v60, v62, v52, s[0:1]
	;; [unrolled: 1-line block ×3, first 2 shown]
	v_add_u32_e32 v57, 8, v57
	v_lshl_add_u64 v[90:91], v[90:91], 0, 1
	s_waitcnt lgkmcnt(0)
	v_fmac_f64_e32 v[88:89], v[60:61], v[58:59]
	s_andn2_b64 exec, exec, s[10:11]
	s_cbranch_execnz .LBB74_125
; %bb.126:
	s_or_b64 exec, exec, s[10:11]
.LBB74_127:
	s_or_b64 exec, exec, s[8:9]
.LBB74_128:
	s_or_b64 exec, exec, s[6:7]
	v_mov_b32_e32 v36, 0
	ds_read_b64 v[36:37], v36 offset:8
	s_waitcnt lgkmcnt(0)
	v_mul_f64 v[36:37], v[88:89], v[36:37]
.LBB74_129:
	s_or_b64 exec, exec, s[24:25]
	v_cmp_ne_u32_e32 vcc, 0, v0
	ds_write_b64 v93, v[34:35]
	s_waitcnt lgkmcnt(0)
	; wave barrier
	s_and_saveexec_b64 s[20:21], vcc
	s_cbranch_execz .LBB74_145
; %bb.130:
	s_andn2_b64 vcc, exec, s[22:23]
	s_cbranch_vccnz .LBB74_132
; %bb.131:
	v_cmp_eq_u32_e32 vcc, 1, v0
	v_cmp_eq_u32_e64 s[0:1], 2, v0
	v_cmp_eq_u32_e64 s[4:5], 3, v0
	v_cndmask_b32_e32 v88, v35, v37, vcc
	v_cndmask_b32_e64 v88, v88, v39, s[0:1]
	v_cndmask_b32_e64 v88, v88, v41, s[4:5]
	v_cmp_eq_u32_e64 s[6:7], 4, v0
	v_cmp_eq_u32_e64 s[8:9], 5, v0
	;; [unrolled: 1-line block ×3, first 2 shown]
	v_cndmask_b32_e64 v88, v88, v43, s[6:7]
	v_cndmask_b32_e64 v88, v88, v45, s[8:9]
	;; [unrolled: 1-line block ×3, first 2 shown]
	v_cmp_eq_u32_e64 s[12:13], 7, v0
	v_cmp_eq_u32_e64 s[14:15], 8, v0
	;; [unrolled: 1-line block ×3, first 2 shown]
	v_cndmask_b32_e64 v88, v88, v49, s[12:13]
	v_cndmask_b32_e64 v88, v88, v51, s[14:15]
	;; [unrolled: 1-line block ×3, first 2 shown]
	v_cmp_eq_u32_e64 s[18:19], 10, v0
	ds_read_b64 v[90:91], v93
	s_nop 0
	v_cndmask_b32_e64 v89, v88, v55, s[18:19]
	v_cndmask_b32_e32 v88, v34, v36, vcc
	v_cndmask_b32_e64 v88, v88, v38, s[0:1]
	v_cndmask_b32_e64 v88, v88, v40, s[4:5]
	;; [unrolled: 1-line block ×9, first 2 shown]
	s_waitcnt lgkmcnt(0)
	v_mul_f64 v[88:89], v[88:89], v[90:91]
	s_cbranch_execz .LBB74_133
	s_branch .LBB74_134
.LBB74_132:
                                        ; implicit-def: $vgpr88_vgpr89
.LBB74_133:
	ds_read_b64 v[88:89], v93
.LBB74_134:
	s_and_saveexec_b64 s[4:5], s[2:3]
	s_cbranch_execz .LBB74_144
; %bb.135:
	v_add_u32_e32 v90, -2, v0
	v_add_u32_e32 v91, -1, v0
	v_cmp_lt_u32_e32 vcc, 6, v90
	v_mov_b32_e32 v90, 1
	s_and_saveexec_b64 s[0:1], vcc
	s_cbranch_execz .LBB74_139
; %bb.136:
	v_and_b32_e32 v90, -8, v91
	v_sub_u32_e32 v92, 0, v90
	s_mov_b64 s[2:3], 8
	s_movk_i32 s8, 0x68
	s_mov_b64 s[6:7], 0
.LBB74_137:                             ; =>This Inner Loop Header: Depth=1
	s_lshl_b32 s9, s2, 1
	s_add_i32 s10, s9, -13
	v_mov_b32_e32 v108, s8
	s_add_i32 s11, s9, -14
	s_set_gpr_idx_on s10, gpr_idx(SRC0)
	v_mov_b32_e32 v103, v34
	s_set_gpr_idx_off
	s_add_i32 s12, s9, -11
	s_set_gpr_idx_on s11, gpr_idx(SRC0)
	v_mov_b32_e32 v102, v34
	s_set_gpr_idx_off
	ds_read2_b64 v[94:97], v108 offset1:1
	s_add_i32 s13, s9, -12
	s_set_gpr_idx_on s12, gpr_idx(SRC0)
	v_mov_b32_e32 v105, v34
	s_set_gpr_idx_off
	s_add_i32 s14, s9, -9
	s_set_gpr_idx_on s13, gpr_idx(SRC0)
	v_mov_b32_e32 v104, v34
	s_set_gpr_idx_off
	s_add_i32 s15, s9, -10
	s_set_gpr_idx_on s14, gpr_idx(SRC0)
	v_mov_b32_e32 v107, v34
	s_set_gpr_idx_off
	s_add_i32 s16, s9, -7
	s_set_gpr_idx_on s15, gpr_idx(SRC0)
	v_mov_b32_e32 v106, v34
	s_set_gpr_idx_off
	ds_read2_b64 v[98:101], v108 offset0:2 offset1:3
	s_add_i32 s17, s9, -8
	s_waitcnt lgkmcnt(1)
	v_fmac_f64_e32 v[88:89], v[102:103], v[94:95]
	s_set_gpr_idx_on s16, gpr_idx(SRC0)
	v_mov_b32_e32 v103, v34
	s_set_gpr_idx_off
	s_add_i32 s18, s9, -5
	v_fmac_f64_e32 v[88:89], v[104:105], v[96:97]
	s_set_gpr_idx_on s17, gpr_idx(SRC0)
	v_mov_b32_e32 v102, v34
	s_set_gpr_idx_off
	s_add_i32 s19, s9, -6
	s_set_gpr_idx_on s18, gpr_idx(SRC0)
	v_mov_b32_e32 v105, v34
	s_set_gpr_idx_off
	s_add_i32 s24, s9, -3
	;; [unrolled: 4-line block ×3, first 2 shown]
	ds_read2_b64 v[94:97], v108 offset0:4 offset1:5
	s_waitcnt lgkmcnt(1)
	v_fmac_f64_e32 v[88:89], v[106:107], v[98:99]
	s_set_gpr_idx_on s24, gpr_idx(SRC0)
	v_mov_b32_e32 v107, v34
	s_set_gpr_idx_off
	s_add_i32 s26, s9, -1
	v_fmac_f64_e32 v[88:89], v[102:103], v[100:101]
	s_set_gpr_idx_on s25, gpr_idx(SRC0)
	v_mov_b32_e32 v106, v34
	s_set_gpr_idx_off
	s_add_i32 s27, s9, -2
	s_set_gpr_idx_on s26, gpr_idx(SRC0)
	v_mov_b32_e32 v103, v34
	s_set_gpr_idx_off
	s_set_gpr_idx_on s27, gpr_idx(SRC0)
	v_mov_b32_e32 v102, v34
	s_set_gpr_idx_off
	ds_read2_b64 v[98:101], v108 offset0:6 offset1:7
	s_add_u32 s2, s2, 8
	s_waitcnt lgkmcnt(1)
	v_fmac_f64_e32 v[88:89], v[104:105], v[94:95]
	s_set_gpr_idx_on s9, gpr_idx(SRC0)
	v_mov_b32_e32 v95, v35
	s_set_gpr_idx_off
	v_add_u32_e32 v90, s2, v92
	v_fmac_f64_e32 v[88:89], v[106:107], v[96:97]
	s_set_gpr_idx_on s9, gpr_idx(SRC0)
	v_mov_b32_e32 v94, v34
	s_set_gpr_idx_off
	s_addc_u32 s3, s3, 0
	s_add_i32 s8, s8, 64
	s_add_i32 s10, s2, -7
	v_cmp_eq_u32_e32 vcc, 8, v90
	s_waitcnt lgkmcnt(0)
	v_fmac_f64_e32 v[88:89], v[102:103], v[98:99]
	v_mov_b32_e32 v90, s10
	s_or_b64 s[6:7], vcc, s[6:7]
	v_fmac_f64_e32 v[88:89], v[94:95], v[100:101]
	s_andn2_b64 exec, exec, s[6:7]
	s_cbranch_execnz .LBB74_137
; %bb.138:
	s_or_b64 exec, exec, s[6:7]
.LBB74_139:
	s_or_b64 exec, exec, s[0:1]
	v_and_b32_e32 v56, 7, v91
	v_cmp_ne_u32_e32 vcc, 0, v56
	s_and_saveexec_b64 s[6:7], vcc
	s_cbranch_execz .LBB74_143
; %bb.140:
	v_mov_b32_e32 v57, 0x60
	v_lshl_add_u32 v57, v90, 3, v57
	v_mov_b32_e32 v91, 0
	s_mov_b64 s[8:9], 0
.LBB74_141:                             ; =>This Inner Loop Header: Depth=1
	v_cmp_eq_u32_e32 vcc, 1, v90
	v_add_u32_e32 v56, -1, v56
	v_cmp_eq_u32_e64 s[0:1], 2, v90
	v_cndmask_b32_e32 v60, v35, v37, vcc
	v_cndmask_b32_e32 v61, v34, v36, vcc
	v_cndmask_b32_e64 v60, v60, v39, s[0:1]
	v_cmp_eq_u32_e32 vcc, 0, v56
	v_cmp_eq_u32_e64 s[2:3], 3, v90
	v_cndmask_b32_e64 v61, v61, v38, s[0:1]
	s_or_b64 s[8:9], vcc, s[8:9]
	v_cndmask_b32_e64 v60, v60, v41, s[2:3]
	v_cmp_eq_u32_e32 vcc, 4, v90
	v_cndmask_b32_e64 v61, v61, v40, s[2:3]
	v_cmp_eq_u32_e64 s[0:1], 5, v90
	v_cndmask_b32_e32 v60, v60, v43, vcc
	v_cndmask_b32_e32 v61, v61, v42, vcc
	v_cndmask_b32_e64 v60, v60, v45, s[0:1]
	v_cmp_eq_u32_e32 vcc, 6, v90
	v_cndmask_b32_e64 v61, v61, v44, s[0:1]
	v_cmp_eq_u32_e64 s[0:1], 7, v90
	v_cndmask_b32_e32 v60, v60, v47, vcc
	ds_read_b64 v[58:59], v57
	v_cndmask_b32_e64 v60, v60, v49, s[0:1]
	v_cndmask_b32_e32 v61, v61, v46, vcc
	v_cmp_eq_u32_e32 vcc, 8, v90
	v_cndmask_b32_e64 v61, v61, v48, s[0:1]
	v_cmp_eq_u32_e64 s[0:1], 9, v90
	v_cndmask_b32_e32 v60, v60, v51, vcc
	v_cmp_eq_u32_e64 s[2:3], 10, v90
	v_cndmask_b32_e64 v60, v60, v53, s[0:1]
	v_cndmask_b32_e32 v62, v61, v50, vcc
	v_cndmask_b32_e64 v61, v60, v55, s[2:3]
	v_cndmask_b32_e64 v60, v62, v52, s[0:1]
	;; [unrolled: 1-line block ×3, first 2 shown]
	v_add_u32_e32 v57, 8, v57
	v_lshl_add_u64 v[90:91], v[90:91], 0, 1
	s_waitcnt lgkmcnt(0)
	v_fmac_f64_e32 v[88:89], v[60:61], v[58:59]
	s_andn2_b64 exec, exec, s[8:9]
	s_cbranch_execnz .LBB74_141
; %bb.142:
	s_or_b64 exec, exec, s[8:9]
.LBB74_143:
	s_or_b64 exec, exec, s[6:7]
.LBB74_144:
	s_or_b64 exec, exec, s[4:5]
	v_mov_b32_e32 v34, 0
	ds_read_b64 v[34:35], v34
	s_waitcnt lgkmcnt(0)
	v_mul_f64 v[34:35], v[88:89], v[34:35]
.LBB74_145:
	s_or_b64 exec, exec, s[20:21]
	s_branch .LBB74_249
.LBB74_146:
	v_cmp_eq_u32_e64 s[0:1], 0, v0
	s_waitcnt vmcnt(0) lgkmcnt(0)
	ds_write_b64 v93, v[4:5]
	s_waitcnt lgkmcnt(0)
	; wave barrier
	s_and_saveexec_b64 s[20:21], s[0:1]
	s_cbranch_execz .LBB74_152
; %bb.147:
	s_and_b64 vcc, exec, s[22:23]
	s_cbranch_vccz .LBB74_149
; %bb.148:
	v_cmp_eq_u32_e32 vcc, 1, v0
	v_cmp_eq_u32_e64 s[2:3], 2, v0
	v_cmp_eq_u32_e64 s[4:5], 3, v0
	v_cndmask_b32_e32 v5, v3, v5, vcc
	v_cndmask_b32_e32 v4, v2, v4, vcc
	v_cndmask_b32_e64 v5, v5, v7, s[2:3]
	v_cndmask_b32_e64 v4, v4, v6, s[2:3]
	;; [unrolled: 1-line block ×3, first 2 shown]
	v_cmp_eq_u32_e64 s[6:7], 4, v0
	v_cndmask_b32_e64 v4, v4, v8, s[4:5]
	v_cmp_eq_u32_e64 s[8:9], 5, v0
	v_cndmask_b32_e64 v5, v5, v11, s[6:7]
	v_cndmask_b32_e64 v4, v4, v10, s[6:7]
	;; [unrolled: 1-line block ×3, first 2 shown]
	v_cmp_eq_u32_e64 s[10:11], 6, v0
	v_cndmask_b32_e64 v4, v4, v12, s[8:9]
	v_cmp_eq_u32_e64 s[12:13], 7, v0
	v_cndmask_b32_e64 v5, v5, v15, s[10:11]
	v_cndmask_b32_e64 v4, v4, v14, s[10:11]
	ds_read_b64 v[24:25], v93
	v_cndmask_b32_e64 v5, v5, v17, s[12:13]
	v_cmp_eq_u32_e64 s[14:15], 8, v0
	v_cndmask_b32_e64 v4, v4, v16, s[12:13]
	v_cmp_eq_u32_e64 s[16:17], 9, v0
	v_cndmask_b32_e64 v5, v5, v19, s[14:15]
	v_cndmask_b32_e64 v4, v4, v18, s[14:15]
	;; [unrolled: 1-line block ×3, first 2 shown]
	v_cmp_eq_u32_e64 s[18:19], 10, v0
	v_cndmask_b32_e64 v4, v4, v20, s[16:17]
	s_nop 0
	v_cndmask_b32_e64 v5, v5, v23, s[18:19]
	v_cndmask_b32_e64 v4, v4, v22, s[18:19]
	s_waitcnt lgkmcnt(0)
	v_mul_f64 v[4:5], v[4:5], v[24:25]
	s_cbranch_execz .LBB74_150
	s_branch .LBB74_151
.LBB74_149:
                                        ; implicit-def: $vgpr4_vgpr5
.LBB74_150:
	ds_read_b64 v[4:5], v93
.LBB74_151:
	v_mov_b32_e32 v24, 0
	ds_read_b64 v[24:25], v24 offset:8
	s_waitcnt lgkmcnt(0)
	v_mul_f64 v[4:5], v[4:5], v[24:25]
.LBB74_152:
	s_or_b64 exec, exec, s[20:21]
	v_cndmask_b32_e64 v34, 0, 1, s[22:23]
	v_cmp_gt_u32_e32 vcc, 2, v0
	v_cmp_ne_u32_e64 s[2:3], 1, v34
	ds_write_b64 v93, v[6:7]
	s_waitcnt lgkmcnt(0)
	; wave barrier
	s_and_saveexec_b64 s[22:23], vcc
	s_cbranch_execz .LBB74_158
; %bb.153:
	s_and_b64 vcc, exec, s[2:3]
	s_cbranch_vccnz .LBB74_155
; %bb.154:
	v_cmp_eq_u32_e32 vcc, 1, v0
	v_cmp_eq_u32_e64 s[4:5], 2, v0
	v_cmp_eq_u32_e64 s[6:7], 3, v0
	v_cndmask_b32_e32 v24, v3, v5, vcc
	v_cndmask_b32_e64 v7, v24, v7, s[4:5]
	v_cndmask_b32_e32 v24, v2, v4, vcc
	v_cndmask_b32_e64 v6, v24, v6, s[4:5]
	v_cndmask_b32_e64 v7, v7, v9, s[6:7]
	v_cmp_eq_u32_e64 s[8:9], 4, v0
	v_cndmask_b32_e64 v6, v6, v8, s[6:7]
	v_cmp_eq_u32_e64 s[10:11], 5, v0
	v_cndmask_b32_e64 v7, v7, v11, s[8:9]
	v_cndmask_b32_e64 v6, v6, v10, s[8:9]
	;; [unrolled: 1-line block ×3, first 2 shown]
	v_cmp_eq_u32_e64 s[12:13], 6, v0
	v_cndmask_b32_e64 v6, v6, v12, s[10:11]
	v_cmp_eq_u32_e64 s[14:15], 7, v0
	v_cndmask_b32_e64 v7, v7, v15, s[12:13]
	v_cndmask_b32_e64 v6, v6, v14, s[12:13]
	ds_read_b64 v[24:25], v93
	v_cndmask_b32_e64 v7, v7, v17, s[14:15]
	v_cmp_eq_u32_e64 s[16:17], 8, v0
	v_cndmask_b32_e64 v6, v6, v16, s[14:15]
	v_cmp_eq_u32_e64 s[18:19], 9, v0
	v_cndmask_b32_e64 v7, v7, v19, s[16:17]
	v_cndmask_b32_e64 v6, v6, v18, s[16:17]
	;; [unrolled: 1-line block ×3, first 2 shown]
	v_cmp_eq_u32_e64 s[20:21], 10, v0
	v_cndmask_b32_e64 v6, v6, v20, s[18:19]
	s_nop 0
	v_cndmask_b32_e64 v7, v7, v23, s[20:21]
	v_cndmask_b32_e64 v6, v6, v22, s[20:21]
	s_waitcnt lgkmcnt(0)
	v_mul_f64 v[6:7], v[6:7], v[24:25]
	s_cbranch_execz .LBB74_156
	s_branch .LBB74_157
.LBB74_155:
                                        ; implicit-def: $vgpr6_vgpr7
.LBB74_156:
	ds_read_b64 v[6:7], v93
.LBB74_157:
	v_mov_b32_e32 v24, 0
	ds_read2_b64 v[24:27], v24 offset0:2 offset1:13
	s_waitcnt lgkmcnt(0)
	v_fma_f64 v[26:27], v[4:5], v[26:27], v[6:7]
	v_cndmask_b32_e64 v7, v7, v27, s[0:1]
	v_cndmask_b32_e64 v6, v6, v26, s[0:1]
	v_mul_f64 v[6:7], v[6:7], v[24:25]
.LBB74_158:
	s_or_b64 exec, exec, s[22:23]
	v_add_u32_e32 v34, 1, v0
	v_cmp_gt_u32_e64 s[4:5], 3, v0
	ds_write_b64 v93, v[8:9]
	s_waitcnt lgkmcnt(0)
	; wave barrier
	s_and_saveexec_b64 s[24:25], s[4:5]
	s_cbranch_execz .LBB74_166
; %bb.159:
	s_and_b64 vcc, exec, s[2:3]
	s_cbranch_vccnz .LBB74_161
; %bb.160:
	v_cmp_eq_u32_e32 vcc, 1, v0
	v_cmp_eq_u32_e64 s[6:7], 2, v0
	v_cmp_eq_u32_e64 s[8:9], 3, v0
	v_cndmask_b32_e32 v24, v3, v5, vcc
	v_cndmask_b32_e64 v24, v24, v7, s[6:7]
	v_cndmask_b32_e64 v24, v24, v9, s[8:9]
	v_cmp_eq_u32_e64 s[10:11], 4, v0
	v_cmp_eq_u32_e64 s[12:13], 5, v0
	;; [unrolled: 1-line block ×3, first 2 shown]
	v_cndmask_b32_e64 v24, v24, v11, s[10:11]
	v_cndmask_b32_e64 v24, v24, v13, s[12:13]
	;; [unrolled: 1-line block ×3, first 2 shown]
	v_cmp_eq_u32_e64 s[16:17], 7, v0
	v_cmp_eq_u32_e64 s[18:19], 8, v0
	;; [unrolled: 1-line block ×3, first 2 shown]
	v_cndmask_b32_e64 v24, v24, v17, s[16:17]
	v_cndmask_b32_e64 v24, v24, v19, s[18:19]
	v_cndmask_b32_e64 v24, v24, v21, s[20:21]
	v_cmp_eq_u32_e64 s[22:23], 10, v0
	ds_read_b64 v[26:27], v93
	s_nop 0
	v_cndmask_b32_e64 v25, v24, v23, s[22:23]
	v_cndmask_b32_e32 v24, v2, v4, vcc
	v_cndmask_b32_e64 v24, v24, v6, s[6:7]
	v_cndmask_b32_e64 v24, v24, v8, s[8:9]
	;; [unrolled: 1-line block ×9, first 2 shown]
	s_waitcnt lgkmcnt(0)
	v_mul_f64 v[24:25], v[24:25], v[26:27]
	s_cbranch_execz .LBB74_162
	s_branch .LBB74_163
.LBB74_161:
                                        ; implicit-def: $vgpr24_vgpr25
.LBB74_162:
	ds_read_b64 v[24:25], v93
.LBB74_163:
	v_cmp_ne_u32_e32 vcc, 2, v0
	s_and_saveexec_b64 s[26:27], vcc
	s_cbranch_execz .LBB74_165
; %bb.164:
	v_cmp_eq_u32_e32 vcc, 1, v34
	v_cmp_eq_u32_e64 s[6:7], 2, v34
	v_cmp_eq_u32_e64 s[8:9], 3, v34
	v_cndmask_b32_e32 v26, v3, v5, vcc
	v_cndmask_b32_e64 v26, v26, v7, s[6:7]
	v_cndmask_b32_e64 v9, v26, v9, s[8:9]
	v_cndmask_b32_e32 v26, v2, v4, vcc
	v_cndmask_b32_e64 v26, v26, v6, s[6:7]
	v_cmp_eq_u32_e64 s[10:11], 4, v34
	v_cndmask_b32_e64 v8, v26, v8, s[8:9]
	v_cmp_eq_u32_e64 s[12:13], 5, v34
	v_cndmask_b32_e64 v9, v9, v11, s[10:11]
	v_cndmask_b32_e64 v8, v8, v10, s[10:11]
	;; [unrolled: 1-line block ×3, first 2 shown]
	v_cmp_eq_u32_e64 s[14:15], 6, v34
	v_cndmask_b32_e64 v8, v8, v12, s[12:13]
	v_cmp_eq_u32_e64 s[16:17], 7, v34
	v_cndmask_b32_e64 v9, v9, v15, s[14:15]
	v_cndmask_b32_e64 v8, v8, v14, s[14:15]
	v_mov_b32_e32 v28, 0
	v_cndmask_b32_e64 v9, v9, v17, s[16:17]
	v_cmp_eq_u32_e64 s[18:19], 8, v34
	v_cndmask_b32_e64 v8, v8, v16, s[16:17]
	ds_read_b64 v[26:27], v93 offset:8
	ds_read_b64 v[28:29], v28 offset:112
	v_cndmask_b32_e64 v9, v9, v19, s[18:19]
	v_cmp_eq_u32_e64 s[20:21], 9, v34
	v_cndmask_b32_e64 v8, v8, v18, s[18:19]
	v_cmp_eq_u32_e64 s[22:23], 10, v34
	v_cndmask_b32_e64 v9, v9, v21, s[20:21]
	v_cndmask_b32_e64 v8, v8, v20, s[20:21]
	;; [unrolled: 1-line block ×4, first 2 shown]
	s_waitcnt lgkmcnt(1)
	v_fmac_f64_e32 v[24:25], v[8:9], v[26:27]
	s_waitcnt lgkmcnt(0)
	v_fma_f64 v[8:9], v[6:7], v[28:29], v[24:25]
	v_cndmask_b32_e64 v25, v25, v9, s[0:1]
	v_cndmask_b32_e64 v24, v24, v8, s[0:1]
.LBB74_165:
	s_or_b64 exec, exec, s[26:27]
	v_mov_b32_e32 v8, 0
	ds_read_b64 v[8:9], v8 offset:24
	s_waitcnt lgkmcnt(0)
	v_mul_f64 v[8:9], v[24:25], v[8:9]
.LBB74_166:
	s_or_b64 exec, exec, s[24:25]
	v_cmp_gt_u32_e32 vcc, 4, v0
	ds_write_b64 v93, v[10:11]
	s_waitcnt lgkmcnt(0)
	; wave barrier
	s_and_saveexec_b64 s[24:25], vcc
	s_cbranch_execz .LBB74_176
; %bb.167:
	s_and_b64 vcc, exec, s[2:3]
	s_cbranch_vccnz .LBB74_169
; %bb.168:
	v_cmp_eq_u32_e32 vcc, 1, v0
	v_cmp_eq_u32_e64 s[6:7], 2, v0
	v_cmp_eq_u32_e64 s[8:9], 3, v0
	v_cndmask_b32_e32 v24, v3, v5, vcc
	v_cndmask_b32_e64 v24, v24, v7, s[6:7]
	v_cndmask_b32_e64 v24, v24, v9, s[8:9]
	v_cmp_eq_u32_e64 s[10:11], 4, v0
	v_cmp_eq_u32_e64 s[12:13], 5, v0
	;; [unrolled: 1-line block ×3, first 2 shown]
	v_cndmask_b32_e64 v24, v24, v11, s[10:11]
	v_cndmask_b32_e64 v24, v24, v13, s[12:13]
	;; [unrolled: 1-line block ×3, first 2 shown]
	v_cmp_eq_u32_e64 s[16:17], 7, v0
	v_cmp_eq_u32_e64 s[18:19], 8, v0
	;; [unrolled: 1-line block ×3, first 2 shown]
	v_cndmask_b32_e64 v24, v24, v17, s[16:17]
	v_cndmask_b32_e64 v24, v24, v19, s[18:19]
	;; [unrolled: 1-line block ×3, first 2 shown]
	v_cmp_eq_u32_e64 s[22:23], 10, v0
	ds_read_b64 v[26:27], v93
	s_nop 0
	v_cndmask_b32_e64 v25, v24, v23, s[22:23]
	v_cndmask_b32_e32 v24, v2, v4, vcc
	v_cndmask_b32_e64 v24, v24, v6, s[6:7]
	v_cndmask_b32_e64 v24, v24, v8, s[8:9]
	;; [unrolled: 1-line block ×9, first 2 shown]
	s_waitcnt lgkmcnt(0)
	v_mul_f64 v[24:25], v[24:25], v[26:27]
	s_cbranch_execz .LBB74_170
	s_branch .LBB74_171
.LBB74_169:
                                        ; implicit-def: $vgpr24_vgpr25
.LBB74_170:
	ds_read_b64 v[24:25], v93
.LBB74_171:
	v_cmp_ne_u32_e32 vcc, 3, v0
	s_and_saveexec_b64 s[10:11], vcc
	s_cbranch_execz .LBB74_175
; %bb.172:
	v_mov_b32_e32 v26, 0x68
	v_lshl_add_u32 v28, v0, 3, v26
	s_mov_b64 s[12:13], 0
	v_mov_b64_e32 v[26:27], v[0:1]
.LBB74_173:                             ; =>This Inner Loop Header: Depth=1
	v_lshl_add_u64 v[26:27], v[26:27], 0, 1
	v_cmp_eq_u32_e32 vcc, 1, v26
	v_cmp_eq_u32_e64 s[8:9], 2, v26
	v_cmp_lt_u32_e64 s[6:7], 2, v26
	v_cndmask_b32_e32 v29, v3, v5, vcc
	v_cndmask_b32_e64 v29, v29, v7, s[8:9]
	v_cndmask_b32_e32 v32, v2, v4, vcc
	v_cmp_eq_u32_e32 vcc, 3, v26
	s_or_b64 s[12:13], s[6:7], s[12:13]
	v_cndmask_b32_e64 v32, v32, v6, s[8:9]
	v_cndmask_b32_e32 v29, v29, v9, vcc
	v_cmp_eq_u32_e64 s[6:7], 4, v26
	v_cndmask_b32_e32 v32, v32, v8, vcc
	v_cmp_eq_u32_e32 vcc, 5, v26
	v_cndmask_b32_e64 v29, v29, v11, s[6:7]
	v_cndmask_b32_e64 v32, v32, v10, s[6:7]
	v_cndmask_b32_e32 v29, v29, v13, vcc
	v_cmp_eq_u32_e64 s[6:7], 6, v26
	v_cndmask_b32_e32 v32, v32, v12, vcc
	v_cmp_eq_u32_e32 vcc, 7, v26
	v_cndmask_b32_e64 v29, v29, v15, s[6:7]
	ds_read_b64 v[30:31], v28
	v_cndmask_b32_e32 v29, v29, v17, vcc
	v_cndmask_b32_e64 v32, v32, v14, s[6:7]
	v_cmp_eq_u32_e64 s[6:7], 8, v26
	v_cndmask_b32_e32 v32, v32, v16, vcc
	v_cmp_eq_u32_e32 vcc, 9, v26
	v_cndmask_b32_e64 v29, v29, v19, s[6:7]
	v_cndmask_b32_e64 v32, v32, v18, s[6:7]
	v_cndmask_b32_e32 v29, v29, v21, vcc
	v_cmp_eq_u32_e64 s[6:7], 10, v26
	v_add_u32_e32 v28, 8, v28
	s_nop 0
	v_cndmask_b32_e64 v33, v29, v23, s[6:7]
	v_cndmask_b32_e32 v29, v32, v20, vcc
	v_cndmask_b32_e64 v32, v29, v22, s[6:7]
	s_waitcnt lgkmcnt(0)
	v_fmac_f64_e32 v[24:25], v[32:33], v[30:31]
	s_andn2_b64 exec, exec, s[12:13]
	s_cbranch_execnz .LBB74_173
; %bb.174:
	s_or_b64 exec, exec, s[12:13]
.LBB74_175:
	s_or_b64 exec, exec, s[10:11]
	v_mov_b32_e32 v10, 0
	ds_read_b64 v[10:11], v10 offset:32
	s_waitcnt lgkmcnt(0)
	v_mul_f64 v[10:11], v[24:25], v[10:11]
.LBB74_176:
	s_or_b64 exec, exec, s[24:25]
	v_cmp_gt_u32_e64 s[6:7], 5, v0
	ds_write_b64 v93, v[12:13]
	s_waitcnt lgkmcnt(0)
	; wave barrier
	s_and_saveexec_b64 s[26:27], s[6:7]
	s_cbranch_execz .LBB74_186
; %bb.177:
	s_and_b64 vcc, exec, s[2:3]
	s_cbranch_vccnz .LBB74_179
; %bb.178:
	v_cmp_eq_u32_e32 vcc, 1, v0
	v_cmp_eq_u32_e64 s[8:9], 2, v0
	v_cmp_eq_u32_e64 s[10:11], 3, v0
	v_cndmask_b32_e32 v24, v3, v5, vcc
	v_cndmask_b32_e64 v24, v24, v7, s[8:9]
	v_cndmask_b32_e64 v24, v24, v9, s[10:11]
	v_cmp_eq_u32_e64 s[12:13], 4, v0
	v_cmp_eq_u32_e64 s[14:15], 5, v0
	;; [unrolled: 1-line block ×3, first 2 shown]
	v_cndmask_b32_e64 v24, v24, v11, s[12:13]
	v_cndmask_b32_e64 v24, v24, v13, s[14:15]
	v_cndmask_b32_e64 v24, v24, v15, s[16:17]
	v_cmp_eq_u32_e64 s[18:19], 7, v0
	v_cmp_eq_u32_e64 s[20:21], 8, v0
	;; [unrolled: 1-line block ×3, first 2 shown]
	v_cndmask_b32_e64 v24, v24, v17, s[18:19]
	v_cndmask_b32_e64 v24, v24, v19, s[20:21]
	;; [unrolled: 1-line block ×3, first 2 shown]
	v_cmp_eq_u32_e64 s[24:25], 10, v0
	ds_read_b64 v[26:27], v93
	s_nop 0
	v_cndmask_b32_e64 v25, v24, v23, s[24:25]
	v_cndmask_b32_e32 v24, v2, v4, vcc
	v_cndmask_b32_e64 v24, v24, v6, s[8:9]
	v_cndmask_b32_e64 v24, v24, v8, s[10:11]
	;; [unrolled: 1-line block ×9, first 2 shown]
	s_waitcnt lgkmcnt(0)
	v_mul_f64 v[24:25], v[24:25], v[26:27]
	s_cbranch_execz .LBB74_180
	s_branch .LBB74_181
.LBB74_179:
                                        ; implicit-def: $vgpr24_vgpr25
.LBB74_180:
	ds_read_b64 v[24:25], v93
.LBB74_181:
	v_cmp_ne_u32_e32 vcc, 4, v0
	s_and_saveexec_b64 s[12:13], vcc
	s_cbranch_execz .LBB74_185
; %bb.182:
	v_mov_b32_e32 v26, 0x68
	v_lshl_add_u32 v28, v0, 3, v26
	s_mov_b64 s[14:15], 0
	v_mov_b64_e32 v[26:27], v[0:1]
.LBB74_183:                             ; =>This Inner Loop Header: Depth=1
	v_lshl_add_u64 v[26:27], v[26:27], 0, 1
	v_cmp_eq_u32_e32 vcc, 1, v26
	v_cmp_eq_u32_e64 s[10:11], 2, v26
	v_cmp_lt_u32_e64 s[8:9], 3, v26
	v_cndmask_b32_e32 v29, v3, v5, vcc
	v_cndmask_b32_e64 v29, v29, v7, s[10:11]
	v_cndmask_b32_e32 v32, v2, v4, vcc
	v_cmp_eq_u32_e32 vcc, 3, v26
	s_or_b64 s[14:15], s[8:9], s[14:15]
	v_cndmask_b32_e64 v32, v32, v6, s[10:11]
	v_cndmask_b32_e32 v29, v29, v9, vcc
	v_cmp_eq_u32_e64 s[8:9], 4, v26
	v_cndmask_b32_e32 v32, v32, v8, vcc
	v_cmp_eq_u32_e32 vcc, 5, v26
	v_cndmask_b32_e64 v29, v29, v11, s[8:9]
	v_cndmask_b32_e64 v32, v32, v10, s[8:9]
	v_cndmask_b32_e32 v29, v29, v13, vcc
	v_cmp_eq_u32_e64 s[8:9], 6, v26
	v_cndmask_b32_e32 v32, v32, v12, vcc
	v_cmp_eq_u32_e32 vcc, 7, v26
	v_cndmask_b32_e64 v29, v29, v15, s[8:9]
	ds_read_b64 v[30:31], v28
	v_cndmask_b32_e32 v29, v29, v17, vcc
	v_cndmask_b32_e64 v32, v32, v14, s[8:9]
	v_cmp_eq_u32_e64 s[8:9], 8, v26
	v_cndmask_b32_e32 v32, v32, v16, vcc
	v_cmp_eq_u32_e32 vcc, 9, v26
	v_cndmask_b32_e64 v29, v29, v19, s[8:9]
	v_cndmask_b32_e64 v32, v32, v18, s[8:9]
	v_cndmask_b32_e32 v29, v29, v21, vcc
	v_cmp_eq_u32_e64 s[8:9], 10, v26
	v_add_u32_e32 v28, 8, v28
	s_nop 0
	v_cndmask_b32_e64 v33, v29, v23, s[8:9]
	v_cndmask_b32_e32 v29, v32, v20, vcc
	v_cndmask_b32_e64 v32, v29, v22, s[8:9]
	s_waitcnt lgkmcnt(0)
	v_fmac_f64_e32 v[24:25], v[32:33], v[30:31]
	s_andn2_b64 exec, exec, s[14:15]
	s_cbranch_execnz .LBB74_183
; %bb.184:
	s_or_b64 exec, exec, s[14:15]
.LBB74_185:
	s_or_b64 exec, exec, s[12:13]
	v_mov_b32_e32 v12, 0
	ds_read_b64 v[12:13], v12 offset:40
	s_waitcnt lgkmcnt(0)
	v_mul_f64 v[12:13], v[24:25], v[12:13]
.LBB74_186:
	s_or_b64 exec, exec, s[26:27]
	v_cmp_gt_u32_e32 vcc, 6, v0
	ds_write_b64 v93, v[14:15]
	s_waitcnt lgkmcnt(0)
	; wave barrier
	s_and_saveexec_b64 s[26:27], vcc
	s_cbranch_execz .LBB74_196
; %bb.187:
	s_and_b64 vcc, exec, s[2:3]
	s_cbranch_vccnz .LBB74_189
; %bb.188:
	v_cmp_eq_u32_e32 vcc, 1, v0
	v_cmp_eq_u32_e64 s[8:9], 2, v0
	v_cmp_eq_u32_e64 s[10:11], 3, v0
	v_cndmask_b32_e32 v24, v3, v5, vcc
	v_cndmask_b32_e64 v24, v24, v7, s[8:9]
	v_cndmask_b32_e64 v24, v24, v9, s[10:11]
	v_cmp_eq_u32_e64 s[12:13], 4, v0
	v_cmp_eq_u32_e64 s[14:15], 5, v0
	;; [unrolled: 1-line block ×3, first 2 shown]
	v_cndmask_b32_e64 v24, v24, v11, s[12:13]
	v_cndmask_b32_e64 v24, v24, v13, s[14:15]
	;; [unrolled: 1-line block ×3, first 2 shown]
	v_cmp_eq_u32_e64 s[18:19], 7, v0
	v_cmp_eq_u32_e64 s[20:21], 8, v0
	;; [unrolled: 1-line block ×3, first 2 shown]
	v_cndmask_b32_e64 v24, v24, v17, s[18:19]
	v_cndmask_b32_e64 v24, v24, v19, s[20:21]
	;; [unrolled: 1-line block ×3, first 2 shown]
	v_cmp_eq_u32_e64 s[24:25], 10, v0
	ds_read_b64 v[26:27], v93
	s_nop 0
	v_cndmask_b32_e64 v25, v24, v23, s[24:25]
	v_cndmask_b32_e32 v24, v2, v4, vcc
	v_cndmask_b32_e64 v24, v24, v6, s[8:9]
	v_cndmask_b32_e64 v24, v24, v8, s[10:11]
	;; [unrolled: 1-line block ×9, first 2 shown]
	s_waitcnt lgkmcnt(0)
	v_mul_f64 v[24:25], v[24:25], v[26:27]
	s_cbranch_execz .LBB74_190
	s_branch .LBB74_191
.LBB74_189:
                                        ; implicit-def: $vgpr24_vgpr25
.LBB74_190:
	ds_read_b64 v[24:25], v93
.LBB74_191:
	v_cmp_ne_u32_e32 vcc, 5, v0
	s_and_saveexec_b64 s[12:13], vcc
	s_cbranch_execz .LBB74_195
; %bb.192:
	v_mov_b32_e32 v26, 0x68
	v_lshl_add_u32 v28, v0, 3, v26
	s_mov_b64 s[14:15], 0
	v_mov_b64_e32 v[26:27], v[0:1]
.LBB74_193:                             ; =>This Inner Loop Header: Depth=1
	v_lshl_add_u64 v[26:27], v[26:27], 0, 1
	v_cmp_eq_u32_e32 vcc, 1, v26
	v_cmp_eq_u32_e64 s[10:11], 2, v26
	v_cmp_lt_u32_e64 s[8:9], 4, v26
	v_cndmask_b32_e32 v29, v3, v5, vcc
	v_cndmask_b32_e64 v29, v29, v7, s[10:11]
	v_cndmask_b32_e32 v32, v2, v4, vcc
	v_cmp_eq_u32_e32 vcc, 3, v26
	s_or_b64 s[14:15], s[8:9], s[14:15]
	v_cndmask_b32_e64 v32, v32, v6, s[10:11]
	v_cndmask_b32_e32 v29, v29, v9, vcc
	v_cmp_eq_u32_e64 s[8:9], 4, v26
	v_cndmask_b32_e32 v32, v32, v8, vcc
	v_cmp_eq_u32_e32 vcc, 5, v26
	v_cndmask_b32_e64 v29, v29, v11, s[8:9]
	v_cndmask_b32_e64 v32, v32, v10, s[8:9]
	v_cndmask_b32_e32 v29, v29, v13, vcc
	v_cmp_eq_u32_e64 s[8:9], 6, v26
	v_cndmask_b32_e32 v32, v32, v12, vcc
	v_cmp_eq_u32_e32 vcc, 7, v26
	v_cndmask_b32_e64 v29, v29, v15, s[8:9]
	ds_read_b64 v[30:31], v28
	v_cndmask_b32_e32 v29, v29, v17, vcc
	v_cndmask_b32_e64 v32, v32, v14, s[8:9]
	v_cmp_eq_u32_e64 s[8:9], 8, v26
	v_cndmask_b32_e32 v32, v32, v16, vcc
	v_cmp_eq_u32_e32 vcc, 9, v26
	v_cndmask_b32_e64 v29, v29, v19, s[8:9]
	v_cndmask_b32_e64 v32, v32, v18, s[8:9]
	v_cndmask_b32_e32 v29, v29, v21, vcc
	v_cmp_eq_u32_e64 s[8:9], 10, v26
	v_add_u32_e32 v28, 8, v28
	s_nop 0
	v_cndmask_b32_e64 v33, v29, v23, s[8:9]
	v_cndmask_b32_e32 v29, v32, v20, vcc
	v_cndmask_b32_e64 v32, v29, v22, s[8:9]
	s_waitcnt lgkmcnt(0)
	v_fmac_f64_e32 v[24:25], v[32:33], v[30:31]
	s_andn2_b64 exec, exec, s[14:15]
	s_cbranch_execnz .LBB74_193
; %bb.194:
	s_or_b64 exec, exec, s[14:15]
.LBB74_195:
	s_or_b64 exec, exec, s[12:13]
	v_mov_b32_e32 v14, 0
	ds_read_b64 v[14:15], v14 offset:48
	s_waitcnt lgkmcnt(0)
	v_mul_f64 v[14:15], v[24:25], v[14:15]
.LBB74_196:
	s_or_b64 exec, exec, s[26:27]
	v_cmp_gt_u32_e64 s[10:11], 7, v0
	ds_write_b64 v93, v[16:17]
	s_waitcnt lgkmcnt(0)
	; wave barrier
	s_and_saveexec_b64 s[28:29], s[10:11]
	s_cbranch_execz .LBB74_206
; %bb.197:
	s_and_b64 vcc, exec, s[2:3]
	s_cbranch_vccnz .LBB74_199
; %bb.198:
	v_cmp_eq_u32_e32 vcc, 1, v0
	v_cmp_eq_u32_e64 s[8:9], 2, v0
	v_cmp_eq_u32_e64 s[12:13], 3, v0
	v_cndmask_b32_e32 v24, v3, v5, vcc
	v_cndmask_b32_e64 v24, v24, v7, s[8:9]
	v_cndmask_b32_e64 v24, v24, v9, s[12:13]
	v_cmp_eq_u32_e64 s[14:15], 4, v0
	v_cmp_eq_u32_e64 s[16:17], 5, v0
	;; [unrolled: 1-line block ×3, first 2 shown]
	v_cndmask_b32_e64 v24, v24, v11, s[14:15]
	v_cndmask_b32_e64 v24, v24, v13, s[16:17]
	v_cndmask_b32_e64 v24, v24, v15, s[18:19]
	v_cmp_eq_u32_e64 s[20:21], 7, v0
	v_cmp_eq_u32_e64 s[22:23], 8, v0
	;; [unrolled: 1-line block ×3, first 2 shown]
	v_cndmask_b32_e64 v24, v24, v17, s[20:21]
	v_cndmask_b32_e64 v24, v24, v19, s[22:23]
	;; [unrolled: 1-line block ×3, first 2 shown]
	v_cmp_eq_u32_e64 s[26:27], 10, v0
	ds_read_b64 v[26:27], v93
	s_nop 0
	v_cndmask_b32_e64 v25, v24, v23, s[26:27]
	v_cndmask_b32_e32 v24, v2, v4, vcc
	v_cndmask_b32_e64 v24, v24, v6, s[8:9]
	v_cndmask_b32_e64 v24, v24, v8, s[12:13]
	;; [unrolled: 1-line block ×9, first 2 shown]
	s_waitcnt lgkmcnt(0)
	v_mul_f64 v[24:25], v[24:25], v[26:27]
	s_cbranch_execz .LBB74_200
	s_branch .LBB74_201
.LBB74_199:
                                        ; implicit-def: $vgpr24_vgpr25
.LBB74_200:
	ds_read_b64 v[24:25], v93
.LBB74_201:
	v_cmp_ne_u32_e32 vcc, 6, v0
	s_and_saveexec_b64 s[14:15], vcc
	s_cbranch_execz .LBB74_205
; %bb.202:
	v_mov_b32_e32 v26, 0x68
	v_lshl_add_u32 v28, v0, 3, v26
	s_mov_b64 s[16:17], 0
	v_mov_b64_e32 v[26:27], v[0:1]
.LBB74_203:                             ; =>This Inner Loop Header: Depth=1
	v_lshl_add_u64 v[26:27], v[26:27], 0, 1
	v_cmp_eq_u32_e32 vcc, 1, v26
	v_cmp_eq_u32_e64 s[12:13], 2, v26
	v_cmp_lt_u32_e64 s[8:9], 5, v26
	v_cndmask_b32_e32 v29, v3, v5, vcc
	v_cndmask_b32_e64 v29, v29, v7, s[12:13]
	v_cndmask_b32_e32 v32, v2, v4, vcc
	v_cmp_eq_u32_e32 vcc, 3, v26
	s_or_b64 s[16:17], s[8:9], s[16:17]
	v_cndmask_b32_e64 v32, v32, v6, s[12:13]
	v_cndmask_b32_e32 v29, v29, v9, vcc
	v_cmp_eq_u32_e64 s[8:9], 4, v26
	v_cndmask_b32_e32 v32, v32, v8, vcc
	v_cmp_eq_u32_e32 vcc, 5, v26
	v_cndmask_b32_e64 v29, v29, v11, s[8:9]
	v_cndmask_b32_e64 v32, v32, v10, s[8:9]
	v_cndmask_b32_e32 v29, v29, v13, vcc
	v_cmp_eq_u32_e64 s[8:9], 6, v26
	v_cndmask_b32_e32 v32, v32, v12, vcc
	v_cmp_eq_u32_e32 vcc, 7, v26
	v_cndmask_b32_e64 v29, v29, v15, s[8:9]
	ds_read_b64 v[30:31], v28
	v_cndmask_b32_e32 v29, v29, v17, vcc
	v_cndmask_b32_e64 v32, v32, v14, s[8:9]
	v_cmp_eq_u32_e64 s[8:9], 8, v26
	v_cndmask_b32_e32 v32, v32, v16, vcc
	v_cmp_eq_u32_e32 vcc, 9, v26
	v_cndmask_b32_e64 v29, v29, v19, s[8:9]
	v_cndmask_b32_e64 v32, v32, v18, s[8:9]
	v_cndmask_b32_e32 v29, v29, v21, vcc
	v_cmp_eq_u32_e64 s[8:9], 10, v26
	v_add_u32_e32 v28, 8, v28
	s_nop 0
	v_cndmask_b32_e64 v33, v29, v23, s[8:9]
	v_cndmask_b32_e32 v29, v32, v20, vcc
	v_cndmask_b32_e64 v32, v29, v22, s[8:9]
	s_waitcnt lgkmcnt(0)
	v_fmac_f64_e32 v[24:25], v[32:33], v[30:31]
	s_andn2_b64 exec, exec, s[16:17]
	s_cbranch_execnz .LBB74_203
; %bb.204:
	s_or_b64 exec, exec, s[16:17]
.LBB74_205:
	s_or_b64 exec, exec, s[14:15]
	v_mov_b32_e32 v16, 0
	ds_read_b64 v[16:17], v16 offset:56
	s_waitcnt lgkmcnt(0)
	v_mul_f64 v[16:17], v[24:25], v[16:17]
.LBB74_206:
	s_or_b64 exec, exec, s[28:29]
	v_cmp_gt_u32_e32 vcc, 8, v0
	ds_write_b64 v93, v[18:19]
	s_waitcnt lgkmcnt(0)
	; wave barrier
	s_and_saveexec_b64 s[28:29], vcc
	s_cbranch_execz .LBB74_216
; %bb.207:
	s_and_b64 vcc, exec, s[2:3]
	s_cbranch_vccnz .LBB74_209
; %bb.208:
	v_cmp_eq_u32_e32 vcc, 1, v0
	v_cmp_eq_u32_e64 s[8:9], 2, v0
	v_cmp_eq_u32_e64 s[12:13], 3, v0
	v_cndmask_b32_e32 v24, v3, v5, vcc
	v_cndmask_b32_e64 v24, v24, v7, s[8:9]
	v_cndmask_b32_e64 v24, v24, v9, s[12:13]
	v_cmp_eq_u32_e64 s[14:15], 4, v0
	v_cmp_eq_u32_e64 s[16:17], 5, v0
	;; [unrolled: 1-line block ×3, first 2 shown]
	v_cndmask_b32_e64 v24, v24, v11, s[14:15]
	v_cndmask_b32_e64 v24, v24, v13, s[16:17]
	;; [unrolled: 1-line block ×3, first 2 shown]
	v_cmp_eq_u32_e64 s[20:21], 7, v0
	v_cmp_eq_u32_e64 s[22:23], 8, v0
	;; [unrolled: 1-line block ×3, first 2 shown]
	v_cndmask_b32_e64 v24, v24, v17, s[20:21]
	v_cndmask_b32_e64 v24, v24, v19, s[22:23]
	;; [unrolled: 1-line block ×3, first 2 shown]
	v_cmp_eq_u32_e64 s[26:27], 10, v0
	ds_read_b64 v[26:27], v93
	s_nop 0
	v_cndmask_b32_e64 v25, v24, v23, s[26:27]
	v_cndmask_b32_e32 v24, v2, v4, vcc
	v_cndmask_b32_e64 v24, v24, v6, s[8:9]
	v_cndmask_b32_e64 v24, v24, v8, s[12:13]
	;; [unrolled: 1-line block ×9, first 2 shown]
	s_waitcnt lgkmcnt(0)
	v_mul_f64 v[24:25], v[24:25], v[26:27]
	s_cbranch_execz .LBB74_210
	s_branch .LBB74_211
.LBB74_209:
                                        ; implicit-def: $vgpr24_vgpr25
.LBB74_210:
	ds_read_b64 v[24:25], v93
.LBB74_211:
	v_cmp_ne_u32_e32 vcc, 7, v0
	s_and_saveexec_b64 s[14:15], vcc
	s_cbranch_execz .LBB74_215
; %bb.212:
	v_mov_b32_e32 v26, 0x68
	v_lshl_add_u32 v28, v0, 3, v26
	s_mov_b64 s[16:17], 0
	v_mov_b64_e32 v[26:27], v[0:1]
.LBB74_213:                             ; =>This Inner Loop Header: Depth=1
	v_lshl_add_u64 v[26:27], v[26:27], 0, 1
	v_cmp_eq_u32_e32 vcc, 1, v26
	v_cmp_eq_u32_e64 s[12:13], 2, v26
	v_cmp_lt_u32_e64 s[8:9], 6, v26
	v_cndmask_b32_e32 v29, v3, v5, vcc
	v_cndmask_b32_e64 v29, v29, v7, s[12:13]
	v_cndmask_b32_e32 v32, v2, v4, vcc
	v_cmp_eq_u32_e32 vcc, 3, v26
	s_or_b64 s[16:17], s[8:9], s[16:17]
	v_cndmask_b32_e64 v32, v32, v6, s[12:13]
	v_cndmask_b32_e32 v29, v29, v9, vcc
	v_cmp_eq_u32_e64 s[8:9], 4, v26
	v_cndmask_b32_e32 v32, v32, v8, vcc
	v_cmp_eq_u32_e32 vcc, 5, v26
	v_cndmask_b32_e64 v29, v29, v11, s[8:9]
	v_cndmask_b32_e64 v32, v32, v10, s[8:9]
	v_cndmask_b32_e32 v29, v29, v13, vcc
	v_cmp_eq_u32_e64 s[8:9], 6, v26
	v_cndmask_b32_e32 v32, v32, v12, vcc
	v_cmp_eq_u32_e32 vcc, 7, v26
	v_cndmask_b32_e64 v29, v29, v15, s[8:9]
	ds_read_b64 v[30:31], v28
	v_cndmask_b32_e32 v29, v29, v17, vcc
	v_cndmask_b32_e64 v32, v32, v14, s[8:9]
	v_cmp_eq_u32_e64 s[8:9], 8, v26
	v_cndmask_b32_e32 v32, v32, v16, vcc
	v_cmp_eq_u32_e32 vcc, 9, v26
	v_cndmask_b32_e64 v29, v29, v19, s[8:9]
	v_cndmask_b32_e64 v32, v32, v18, s[8:9]
	v_cndmask_b32_e32 v29, v29, v21, vcc
	v_cmp_eq_u32_e64 s[8:9], 10, v26
	v_add_u32_e32 v28, 8, v28
	s_nop 0
	v_cndmask_b32_e64 v33, v29, v23, s[8:9]
	v_cndmask_b32_e32 v29, v32, v20, vcc
	v_cndmask_b32_e64 v32, v29, v22, s[8:9]
	s_waitcnt lgkmcnt(0)
	v_fmac_f64_e32 v[24:25], v[32:33], v[30:31]
	s_andn2_b64 exec, exec, s[16:17]
	s_cbranch_execnz .LBB74_213
; %bb.214:
	s_or_b64 exec, exec, s[16:17]
.LBB74_215:
	s_or_b64 exec, exec, s[14:15]
	v_mov_b32_e32 v18, 0
	ds_read_b64 v[18:19], v18 offset:64
	s_waitcnt lgkmcnt(0)
	v_mul_f64 v[18:19], v[24:25], v[18:19]
.LBB74_216:
	s_or_b64 exec, exec, s[28:29]
	v_cmp_gt_u32_e64 s[8:9], 9, v0
	ds_write_b64 v93, v[20:21]
	s_waitcnt lgkmcnt(0)
	; wave barrier
	s_and_saveexec_b64 s[30:31], s[8:9]
	s_cbranch_execz .LBB74_238
; %bb.217:
	s_and_b64 vcc, exec, s[2:3]
	s_cbranch_vccnz .LBB74_219
; %bb.218:
	v_cmp_eq_u32_e32 vcc, 1, v0
	v_cmp_eq_u32_e64 s[12:13], 2, v0
	v_cmp_eq_u32_e64 s[14:15], 3, v0
	v_cndmask_b32_e32 v24, v3, v5, vcc
	v_cndmask_b32_e64 v24, v24, v7, s[12:13]
	v_cndmask_b32_e64 v24, v24, v9, s[14:15]
	v_cmp_eq_u32_e64 s[16:17], 4, v0
	v_cmp_eq_u32_e64 s[18:19], 5, v0
	;; [unrolled: 1-line block ×3, first 2 shown]
	v_cndmask_b32_e64 v24, v24, v11, s[16:17]
	v_cndmask_b32_e64 v24, v24, v13, s[18:19]
	v_cndmask_b32_e64 v24, v24, v15, s[20:21]
	v_cmp_eq_u32_e64 s[22:23], 7, v0
	v_cmp_eq_u32_e64 s[24:25], 8, v0
	;; [unrolled: 1-line block ×3, first 2 shown]
	v_cndmask_b32_e64 v24, v24, v17, s[22:23]
	v_cndmask_b32_e64 v24, v24, v19, s[24:25]
	;; [unrolled: 1-line block ×3, first 2 shown]
	v_cmp_eq_u32_e64 s[28:29], 10, v0
	ds_read_b64 v[26:27], v93
	s_nop 0
	v_cndmask_b32_e64 v25, v24, v23, s[28:29]
	v_cndmask_b32_e32 v24, v2, v4, vcc
	v_cndmask_b32_e64 v24, v24, v6, s[12:13]
	v_cndmask_b32_e64 v24, v24, v8, s[14:15]
	;; [unrolled: 1-line block ×9, first 2 shown]
	s_waitcnt lgkmcnt(0)
	v_mul_f64 v[24:25], v[24:25], v[26:27]
	s_cbranch_execz .LBB74_220
	s_branch .LBB74_221
.LBB74_219:
                                        ; implicit-def: $vgpr24_vgpr25
.LBB74_220:
	ds_read_b64 v[24:25], v93
.LBB74_221:
	v_cmp_ne_u32_e32 vcc, 8, v0
	s_and_saveexec_b64 s[34:35], vcc
	s_cbranch_execz .LBB74_237
; %bb.222:
	v_cmp_eq_u32_e32 vcc, 1, v34
	v_cmp_eq_u32_e64 s[12:13], 2, v34
	v_cmp_eq_u32_e64 s[14:15], 3, v34
	v_cndmask_b32_e32 v26, v3, v5, vcc
	v_cndmask_b32_e64 v26, v26, v7, s[12:13]
	v_cndmask_b32_e64 v26, v26, v9, s[14:15]
	v_cmp_eq_u32_e64 s[16:17], 4, v34
	v_cmp_eq_u32_e64 s[18:19], 5, v34
	;; [unrolled: 1-line block ×3, first 2 shown]
	v_cndmask_b32_e64 v26, v26, v11, s[16:17]
	v_cndmask_b32_e64 v26, v26, v13, s[18:19]
	;; [unrolled: 1-line block ×3, first 2 shown]
	v_cmp_eq_u32_e64 s[22:23], 7, v34
	v_cmp_eq_u32_e64 s[24:25], 8, v34
	;; [unrolled: 1-line block ×3, first 2 shown]
	v_cndmask_b32_e64 v26, v26, v17, s[22:23]
	v_cndmask_b32_e64 v26, v26, v19, s[24:25]
	;; [unrolled: 1-line block ×3, first 2 shown]
	v_cmp_eq_u32_e64 s[28:29], 10, v34
	ds_read_b64 v[28:29], v93 offset:8
	s_nop 0
	v_cndmask_b32_e64 v27, v26, v23, s[28:29]
	v_cndmask_b32_e32 v26, v2, v4, vcc
	v_cndmask_b32_e64 v26, v26, v6, s[12:13]
	v_cndmask_b32_e64 v26, v26, v8, s[14:15]
	;; [unrolled: 1-line block ×9, first 2 shown]
	s_waitcnt lgkmcnt(0)
	v_fmac_f64_e32 v[24:25], v[26:27], v[28:29]
	s_and_saveexec_b64 s[28:29], s[10:11]
	s_cbranch_execz .LBB74_236
; %bb.223:
	v_add_u32_e32 v26, 2, v0
	v_cmp_eq_u32_e32 vcc, 1, v26
	v_cmp_eq_u32_e64 s[10:11], 2, v26
	v_cmp_eq_u32_e64 s[12:13], 3, v26
	v_cndmask_b32_e32 v27, v3, v5, vcc
	v_cmp_eq_u32_e64 s[14:15], 4, v26
	v_cmp_eq_u32_e64 s[16:17], 5, v26
	;; [unrolled: 1-line block ×7, first 2 shown]
	v_cndmask_b32_e32 v26, v2, v4, vcc
	v_cndmask_b32_e64 v27, v27, v7, s[10:11]
	v_cndmask_b32_e64 v26, v26, v6, s[10:11]
	;; [unrolled: 1-line block ×10, first 2 shown]
	ds_read_b64 v[28:29], v93 offset:16
	v_cndmask_b32_e64 v27, v27, v17, s[20:21]
	v_cndmask_b32_e64 v26, v26, v16, s[20:21]
	;; [unrolled: 1-line block ×8, first 2 shown]
	s_waitcnt lgkmcnt(0)
	v_fmac_f64_e32 v[24:25], v[26:27], v[28:29]
	v_cmp_ne_u32_e32 vcc, 6, v0
	s_and_saveexec_b64 s[36:37], vcc
	s_cbranch_execz .LBB74_235
; %bb.224:
	v_add_u32_e32 v26, 3, v0
	v_cmp_eq_u32_e32 vcc, 1, v26
	v_cmp_eq_u32_e64 s[10:11], 2, v26
	v_cmp_eq_u32_e64 s[12:13], 3, v26
	v_cndmask_b32_e32 v27, v3, v5, vcc
	v_cmp_eq_u32_e64 s[14:15], 4, v26
	v_cmp_eq_u32_e64 s[16:17], 5, v26
	;; [unrolled: 1-line block ×7, first 2 shown]
	v_cndmask_b32_e32 v26, v2, v4, vcc
	v_cndmask_b32_e64 v27, v27, v7, s[10:11]
	v_cndmask_b32_e64 v26, v26, v6, s[10:11]
	;; [unrolled: 1-line block ×10, first 2 shown]
	ds_read_b64 v[28:29], v93 offset:24
	v_cndmask_b32_e64 v27, v27, v17, s[20:21]
	v_cndmask_b32_e64 v26, v26, v16, s[20:21]
	;; [unrolled: 1-line block ×8, first 2 shown]
	s_waitcnt lgkmcnt(0)
	v_fmac_f64_e32 v[24:25], v[26:27], v[28:29]
	s_and_saveexec_b64 s[26:27], s[6:7]
	s_cbranch_execz .LBB74_234
; %bb.225:
	v_add_u32_e32 v26, 4, v0
	v_cmp_eq_u32_e32 vcc, 1, v26
	v_cmp_eq_u32_e64 s[6:7], 2, v26
	v_cmp_eq_u32_e64 s[10:11], 3, v26
	v_cndmask_b32_e32 v27, v3, v5, vcc
	v_cmp_eq_u32_e64 s[12:13], 4, v26
	v_cmp_eq_u32_e64 s[14:15], 5, v26
	;; [unrolled: 1-line block ×7, first 2 shown]
	v_cndmask_b32_e32 v26, v2, v4, vcc
	v_cndmask_b32_e64 v27, v27, v7, s[6:7]
	v_cndmask_b32_e64 v26, v26, v6, s[6:7]
	;; [unrolled: 1-line block ×10, first 2 shown]
	ds_read_b64 v[28:29], v93 offset:32
	v_cndmask_b32_e64 v27, v27, v17, s[18:19]
	v_cndmask_b32_e64 v26, v26, v16, s[18:19]
	v_cndmask_b32_e64 v27, v27, v19, s[20:21]
	v_cndmask_b32_e64 v26, v26, v18, s[20:21]
	v_cndmask_b32_e64 v27, v27, v21, s[22:23]
	v_cndmask_b32_e64 v26, v26, v20, s[22:23]
	v_cndmask_b32_e64 v27, v27, v23, s[24:25]
	v_cndmask_b32_e64 v26, v26, v22, s[24:25]
	s_waitcnt lgkmcnt(0)
	v_fmac_f64_e32 v[24:25], v[26:27], v[28:29]
	v_cmp_ne_u32_e32 vcc, 4, v0
	s_and_saveexec_b64 s[38:39], vcc
	s_cbranch_execz .LBB74_233
; %bb.226:
	v_add_u32_e32 v26, 5, v0
	v_cmp_eq_u32_e32 vcc, 1, v26
	v_cmp_eq_u32_e64 s[6:7], 2, v26
	v_cmp_eq_u32_e64 s[10:11], 3, v26
	v_cndmask_b32_e32 v27, v3, v5, vcc
	v_cmp_eq_u32_e64 s[12:13], 4, v26
	v_cmp_eq_u32_e64 s[14:15], 5, v26
	;; [unrolled: 1-line block ×7, first 2 shown]
	v_cndmask_b32_e32 v26, v2, v4, vcc
	v_cndmask_b32_e64 v27, v27, v7, s[6:7]
	v_cndmask_b32_e64 v26, v26, v6, s[6:7]
	;; [unrolled: 1-line block ×10, first 2 shown]
	ds_read_b64 v[28:29], v93 offset:40
	v_cndmask_b32_e64 v27, v27, v17, s[18:19]
	v_cndmask_b32_e64 v26, v26, v16, s[18:19]
	;; [unrolled: 1-line block ×8, first 2 shown]
	s_waitcnt lgkmcnt(0)
	v_fmac_f64_e32 v[24:25], v[26:27], v[28:29]
	s_and_saveexec_b64 s[24:25], s[4:5]
	s_cbranch_execz .LBB74_232
; %bb.227:
	v_add_u32_e32 v26, 6, v0
	v_cmp_eq_u32_e32 vcc, 1, v26
	v_cmp_eq_u32_e64 s[4:5], 2, v26
	v_cmp_eq_u32_e64 s[6:7], 3, v26
	v_cndmask_b32_e32 v27, v3, v5, vcc
	v_cmp_eq_u32_e64 s[10:11], 4, v26
	v_cmp_eq_u32_e64 s[12:13], 5, v26
	;; [unrolled: 1-line block ×7, first 2 shown]
	v_cndmask_b32_e32 v26, v2, v4, vcc
	v_cndmask_b32_e64 v27, v27, v7, s[4:5]
	v_cndmask_b32_e64 v26, v26, v6, s[4:5]
	;; [unrolled: 1-line block ×10, first 2 shown]
	ds_read_b64 v[28:29], v93 offset:48
	v_cndmask_b32_e64 v27, v27, v17, s[16:17]
	v_cndmask_b32_e64 v26, v26, v16, s[16:17]
	;; [unrolled: 1-line block ×8, first 2 shown]
	s_waitcnt lgkmcnt(0)
	v_fmac_f64_e32 v[24:25], v[26:27], v[28:29]
	v_cmp_ne_u32_e32 vcc, 2, v0
	s_and_saveexec_b64 s[40:41], vcc
	s_cbranch_execz .LBB74_231
; %bb.228:
	v_add_u32_e32 v26, 7, v0
	v_cmp_eq_u32_e32 vcc, 1, v26
	v_cmp_eq_u32_e64 s[4:5], 2, v26
	v_cmp_eq_u32_e64 s[6:7], 3, v26
	v_cndmask_b32_e32 v27, v3, v5, vcc
	v_cndmask_b32_e64 v27, v27, v7, s[4:5]
	v_cndmask_b32_e64 v27, v27, v9, s[6:7]
	v_cmp_eq_u32_e64 s[10:11], 4, v26
	v_cmp_eq_u32_e64 s[12:13], 5, v26
	;; [unrolled: 1-line block ×3, first 2 shown]
	v_cndmask_b32_e64 v27, v27, v11, s[10:11]
	v_cmp_eq_u32_e64 s[16:17], 7, v26
	v_cmp_eq_u32_e64 s[18:19], 8, v26
	;; [unrolled: 1-line block ×4, first 2 shown]
	v_cndmask_b32_e32 v26, v2, v4, vcc
	v_cndmask_b32_e64 v27, v27, v13, s[12:13]
	v_cndmask_b32_e64 v26, v26, v6, s[4:5]
	;; [unrolled: 1-line block ×10, first 2 shown]
	ds_read_b64 v[26:27], v93 offset:56
	v_cndmask_b32_e64 v28, v28, v16, s[16:17]
	v_cndmask_b32_e64 v28, v28, v18, s[18:19]
	;; [unrolled: 1-line block ×5, first 2 shown]
	s_waitcnt lgkmcnt(0)
	v_fmac_f64_e32 v[24:25], v[20:21], v[26:27]
	s_and_saveexec_b64 s[4:5], s[0:1]
	s_cbranch_execz .LBB74_230
; %bb.229:
	ds_read_b64 v[20:21], v93 offset:64
	s_waitcnt lgkmcnt(0)
	v_fmac_f64_e32 v[24:25], v[18:19], v[20:21]
.LBB74_230:
	s_or_b64 exec, exec, s[4:5]
.LBB74_231:
	s_or_b64 exec, exec, s[40:41]
.LBB74_232:
	s_or_b64 exec, exec, s[24:25]
.LBB74_233:
	s_or_b64 exec, exec, s[38:39]
.LBB74_234:
	s_or_b64 exec, exec, s[26:27]
.LBB74_235:
	s_or_b64 exec, exec, s[36:37]
.LBB74_236:
	s_or_b64 exec, exec, s[28:29]
.LBB74_237:
	s_or_b64 exec, exec, s[34:35]
	v_mov_b32_e32 v20, 0
	ds_read_b64 v[20:21], v20 offset:72
	s_waitcnt lgkmcnt(0)
	v_mul_f64 v[20:21], v[24:25], v[20:21]
.LBB74_238:
	s_or_b64 exec, exec, s[30:31]
	v_cmp_ne_u32_e32 vcc, 10, v0
	ds_write_b64 v93, v[22:23]
	s_waitcnt lgkmcnt(0)
	; wave barrier
	s_and_saveexec_b64 s[20:21], vcc
	s_cbranch_execz .LBB74_248
; %bb.239:
	s_and_b64 vcc, exec, s[2:3]
	s_cbranch_vccnz .LBB74_241
; %bb.240:
	v_cmp_eq_u32_e32 vcc, 1, v0
	v_cmp_eq_u32_e64 s[0:1], 2, v0
	v_cmp_eq_u32_e64 s[2:3], 3, v0
	v_cndmask_b32_e32 v24, v3, v5, vcc
	v_cndmask_b32_e64 v24, v24, v7, s[0:1]
	v_cndmask_b32_e64 v24, v24, v9, s[2:3]
	v_cmp_eq_u32_e64 s[4:5], 4, v0
	v_cmp_eq_u32_e64 s[6:7], 5, v0
	;; [unrolled: 1-line block ×3, first 2 shown]
	v_cndmask_b32_e64 v24, v24, v11, s[4:5]
	v_cndmask_b32_e64 v24, v24, v13, s[6:7]
	;; [unrolled: 1-line block ×3, first 2 shown]
	v_cmp_eq_u32_e64 s[12:13], 7, v0
	v_cmp_eq_u32_e64 s[14:15], 8, v0
	;; [unrolled: 1-line block ×3, first 2 shown]
	v_cndmask_b32_e64 v24, v24, v17, s[12:13]
	v_cndmask_b32_e64 v24, v24, v19, s[14:15]
	;; [unrolled: 1-line block ×3, first 2 shown]
	v_cmp_eq_u32_e64 s[18:19], 10, v0
	ds_read_b64 v[26:27], v93
	s_nop 0
	v_cndmask_b32_e64 v25, v24, v23, s[18:19]
	v_cndmask_b32_e32 v24, v2, v4, vcc
	v_cndmask_b32_e64 v24, v24, v6, s[0:1]
	v_cndmask_b32_e64 v24, v24, v8, s[2:3]
	;; [unrolled: 1-line block ×9, first 2 shown]
	s_waitcnt lgkmcnt(0)
	v_mul_f64 v[24:25], v[24:25], v[26:27]
	s_cbranch_execz .LBB74_242
	s_branch .LBB74_243
.LBB74_241:
                                        ; implicit-def: $vgpr24_vgpr25
.LBB74_242:
	ds_read_b64 v[24:25], v93
.LBB74_243:
	s_and_saveexec_b64 s[4:5], s[8:9]
	s_cbranch_execz .LBB74_247
; %bb.244:
	v_mov_b32_e32 v26, 0x68
	v_lshl_add_u32 v26, v0, 3, v26
	s_mov_b64 s[6:7], 0
.LBB74_245:                             ; =>This Inner Loop Header: Depth=1
	v_lshl_add_u64 v[0:1], v[0:1], 0, 1
	v_cmp_eq_u32_e32 vcc, 1, v0
	v_cmp_eq_u32_e64 s[2:3], 2, v0
	v_cmp_lt_u32_e64 s[0:1], 8, v0
	v_cndmask_b32_e32 v27, v3, v5, vcc
	v_cndmask_b32_e64 v27, v27, v7, s[2:3]
	v_cndmask_b32_e32 v30, v2, v4, vcc
	v_cmp_eq_u32_e32 vcc, 3, v0
	s_or_b64 s[6:7], s[0:1], s[6:7]
	v_cndmask_b32_e64 v30, v30, v6, s[2:3]
	v_cndmask_b32_e32 v27, v27, v9, vcc
	v_cmp_eq_u32_e64 s[0:1], 4, v0
	v_cndmask_b32_e32 v30, v30, v8, vcc
	v_cmp_eq_u32_e32 vcc, 5, v0
	v_cndmask_b32_e64 v27, v27, v11, s[0:1]
	v_cndmask_b32_e64 v30, v30, v10, s[0:1]
	v_cndmask_b32_e32 v27, v27, v13, vcc
	v_cmp_eq_u32_e64 s[0:1], 6, v0
	v_cndmask_b32_e32 v30, v30, v12, vcc
	v_cmp_eq_u32_e32 vcc, 7, v0
	v_cndmask_b32_e64 v27, v27, v15, s[0:1]
	ds_read_b64 v[28:29], v26
	v_cndmask_b32_e32 v27, v27, v17, vcc
	v_cndmask_b32_e64 v30, v30, v14, s[0:1]
	v_cmp_eq_u32_e64 s[0:1], 8, v0
	v_cndmask_b32_e32 v30, v30, v16, vcc
	v_cmp_eq_u32_e32 vcc, 9, v0
	v_cndmask_b32_e64 v27, v27, v19, s[0:1]
	v_cndmask_b32_e64 v30, v30, v18, s[0:1]
	v_cndmask_b32_e32 v27, v27, v21, vcc
	v_cmp_eq_u32_e64 s[0:1], 10, v0
	v_add_u32_e32 v26, 8, v26
	s_nop 0
	v_cndmask_b32_e64 v31, v27, v23, s[0:1]
	v_cndmask_b32_e32 v27, v30, v20, vcc
	v_cndmask_b32_e64 v30, v27, v22, s[0:1]
	s_waitcnt lgkmcnt(0)
	v_fmac_f64_e32 v[24:25], v[30:31], v[28:29]
	s_andn2_b64 exec, exec, s[6:7]
	s_cbranch_execnz .LBB74_245
; %bb.246:
	s_or_b64 exec, exec, s[6:7]
.LBB74_247:
	s_or_b64 exec, exec, s[4:5]
	v_mov_b32_e32 v0, 0
	ds_read_b64 v[0:1], v0 offset:80
	s_waitcnt lgkmcnt(0)
	v_mul_f64 v[22:23], v[24:25], v[0:1]
.LBB74_248:
	s_or_b64 exec, exec, s[20:21]
	v_mov_b64_e32 v[64:65], v[32:33]
	v_mov_b64_e32 v[62:63], v[30:31]
	;; [unrolled: 1-line block ×16, first 2 shown]
.LBB74_249:
	flat_store_dwordx2 v[66:67], v[34:35]
	flat_store_dwordx2 v[68:69], v[36:37]
	;; [unrolled: 1-line block ×11, first 2 shown]
.LBB74_250:
	s_endpgm
	.section	.rodata,"a",@progbits
	.p2align	6, 0x0
	.amdhsa_kernel _ZN9rocsolver6v33100L18trti2_kernel_smallILi11EdPKPdEEv13rocblas_fill_17rocblas_diagonal_T1_iil
		.amdhsa_group_segment_fixed_size 184
		.amdhsa_private_segment_fixed_size 0
		.amdhsa_kernarg_size 32
		.amdhsa_user_sgpr_count 2
		.amdhsa_user_sgpr_dispatch_ptr 0
		.amdhsa_user_sgpr_queue_ptr 0
		.amdhsa_user_sgpr_kernarg_segment_ptr 1
		.amdhsa_user_sgpr_dispatch_id 0
		.amdhsa_user_sgpr_kernarg_preload_length 0
		.amdhsa_user_sgpr_kernarg_preload_offset 0
		.amdhsa_user_sgpr_private_segment_size 0
		.amdhsa_uses_dynamic_stack 0
		.amdhsa_enable_private_segment 0
		.amdhsa_system_sgpr_workgroup_id_x 1
		.amdhsa_system_sgpr_workgroup_id_y 0
		.amdhsa_system_sgpr_workgroup_id_z 0
		.amdhsa_system_sgpr_workgroup_info 0
		.amdhsa_system_vgpr_workitem_id 0
		.amdhsa_next_free_vgpr 116
		.amdhsa_next_free_sgpr 42
		.amdhsa_accum_offset 116
		.amdhsa_reserve_vcc 1
		.amdhsa_float_round_mode_32 0
		.amdhsa_float_round_mode_16_64 0
		.amdhsa_float_denorm_mode_32 3
		.amdhsa_float_denorm_mode_16_64 3
		.amdhsa_dx10_clamp 1
		.amdhsa_ieee_mode 1
		.amdhsa_fp16_overflow 0
		.amdhsa_tg_split 0
		.amdhsa_exception_fp_ieee_invalid_op 0
		.amdhsa_exception_fp_denorm_src 0
		.amdhsa_exception_fp_ieee_div_zero 0
		.amdhsa_exception_fp_ieee_overflow 0
		.amdhsa_exception_fp_ieee_underflow 0
		.amdhsa_exception_fp_ieee_inexact 0
		.amdhsa_exception_int_div_zero 0
	.end_amdhsa_kernel
	.section	.text._ZN9rocsolver6v33100L18trti2_kernel_smallILi11EdPKPdEEv13rocblas_fill_17rocblas_diagonal_T1_iil,"axG",@progbits,_ZN9rocsolver6v33100L18trti2_kernel_smallILi11EdPKPdEEv13rocblas_fill_17rocblas_diagonal_T1_iil,comdat
.Lfunc_end74:
	.size	_ZN9rocsolver6v33100L18trti2_kernel_smallILi11EdPKPdEEv13rocblas_fill_17rocblas_diagonal_T1_iil, .Lfunc_end74-_ZN9rocsolver6v33100L18trti2_kernel_smallILi11EdPKPdEEv13rocblas_fill_17rocblas_diagonal_T1_iil
                                        ; -- End function
	.set _ZN9rocsolver6v33100L18trti2_kernel_smallILi11EdPKPdEEv13rocblas_fill_17rocblas_diagonal_T1_iil.num_vgpr, 116
	.set _ZN9rocsolver6v33100L18trti2_kernel_smallILi11EdPKPdEEv13rocblas_fill_17rocblas_diagonal_T1_iil.num_agpr, 0
	.set _ZN9rocsolver6v33100L18trti2_kernel_smallILi11EdPKPdEEv13rocblas_fill_17rocblas_diagonal_T1_iil.numbered_sgpr, 42
	.set _ZN9rocsolver6v33100L18trti2_kernel_smallILi11EdPKPdEEv13rocblas_fill_17rocblas_diagonal_T1_iil.num_named_barrier, 0
	.set _ZN9rocsolver6v33100L18trti2_kernel_smallILi11EdPKPdEEv13rocblas_fill_17rocblas_diagonal_T1_iil.private_seg_size, 0
	.set _ZN9rocsolver6v33100L18trti2_kernel_smallILi11EdPKPdEEv13rocblas_fill_17rocblas_diagonal_T1_iil.uses_vcc, 1
	.set _ZN9rocsolver6v33100L18trti2_kernel_smallILi11EdPKPdEEv13rocblas_fill_17rocblas_diagonal_T1_iil.uses_flat_scratch, 0
	.set _ZN9rocsolver6v33100L18trti2_kernel_smallILi11EdPKPdEEv13rocblas_fill_17rocblas_diagonal_T1_iil.has_dyn_sized_stack, 0
	.set _ZN9rocsolver6v33100L18trti2_kernel_smallILi11EdPKPdEEv13rocblas_fill_17rocblas_diagonal_T1_iil.has_recursion, 0
	.set _ZN9rocsolver6v33100L18trti2_kernel_smallILi11EdPKPdEEv13rocblas_fill_17rocblas_diagonal_T1_iil.has_indirect_call, 0
	.section	.AMDGPU.csdata,"",@progbits
; Kernel info:
; codeLenInByte = 17536
; TotalNumSgprs: 48
; NumVgprs: 116
; NumAgprs: 0
; TotalNumVgprs: 116
; ScratchSize: 0
; MemoryBound: 0
; FloatMode: 240
; IeeeMode: 1
; LDSByteSize: 184 bytes/workgroup (compile time only)
; SGPRBlocks: 5
; VGPRBlocks: 14
; NumSGPRsForWavesPerEU: 48
; NumVGPRsForWavesPerEU: 116
; AccumOffset: 116
; Occupancy: 4
; WaveLimiterHint : 1
; COMPUTE_PGM_RSRC2:SCRATCH_EN: 0
; COMPUTE_PGM_RSRC2:USER_SGPR: 2
; COMPUTE_PGM_RSRC2:TRAP_HANDLER: 0
; COMPUTE_PGM_RSRC2:TGID_X_EN: 1
; COMPUTE_PGM_RSRC2:TGID_Y_EN: 0
; COMPUTE_PGM_RSRC2:TGID_Z_EN: 0
; COMPUTE_PGM_RSRC2:TIDIG_COMP_CNT: 0
; COMPUTE_PGM_RSRC3_GFX90A:ACCUM_OFFSET: 28
; COMPUTE_PGM_RSRC3_GFX90A:TG_SPLIT: 0
	.section	.text._ZN9rocsolver6v33100L18trti2_kernel_smallILi12EdPKPdEEv13rocblas_fill_17rocblas_diagonal_T1_iil,"axG",@progbits,_ZN9rocsolver6v33100L18trti2_kernel_smallILi12EdPKPdEEv13rocblas_fill_17rocblas_diagonal_T1_iil,comdat
	.globl	_ZN9rocsolver6v33100L18trti2_kernel_smallILi12EdPKPdEEv13rocblas_fill_17rocblas_diagonal_T1_iil ; -- Begin function _ZN9rocsolver6v33100L18trti2_kernel_smallILi12EdPKPdEEv13rocblas_fill_17rocblas_diagonal_T1_iil
	.p2align	8
	.type	_ZN9rocsolver6v33100L18trti2_kernel_smallILi12EdPKPdEEv13rocblas_fill_17rocblas_diagonal_T1_iil,@function
_ZN9rocsolver6v33100L18trti2_kernel_smallILi12EdPKPdEEv13rocblas_fill_17rocblas_diagonal_T1_iil: ; @_ZN9rocsolver6v33100L18trti2_kernel_smallILi12EdPKPdEEv13rocblas_fill_17rocblas_diagonal_T1_iil
; %bb.0:
	v_cmp_gt_u32_e32 vcc, 12, v0
	s_and_saveexec_b64 s[4:5], vcc
	s_cbranch_execz .LBB75_276
; %bb.1:
	s_load_dwordx2 s[4:5], s[0:1], 0x10
	s_load_dwordx4 s[24:27], s[0:1], 0x0
	s_ashr_i32 s3, s2, 31
	s_lshl_b64 s[0:1], s[2:3], 3
	v_mov_b32_e32 v1, 0
	s_waitcnt lgkmcnt(0)
	s_ashr_i32 s3, s4, 31
	s_add_u32 s0, s26, s0
	s_addc_u32 s1, s27, s1
	s_load_dwordx2 s[0:1], s[0:1], 0x0
	s_mov_b32 s2, s4
	s_lshl_b64 s[2:3], s[2:3], 3
	v_lshlrev_b32_e32 v34, 3, v0
	v_mov_b32_e32 v35, v1
	s_waitcnt lgkmcnt(0)
	s_add_u32 s0, s0, s2
	s_addc_u32 s1, s1, s3
	v_lshl_add_u64 v[66:67], s[0:1], 0, v[34:35]
	s_ashr_i32 s3, s5, 31
	s_mov_b32 s2, s5
	v_lshl_add_u64 v[68:69], s[2:3], 3, v[66:67]
	s_add_i32 s2, s5, s5
	v_add_u32_e32 v2, s2, v0
	v_add_u32_e32 v10, s5, v2
	v_ashrrev_i32_e32 v11, 31, v10
	v_lshl_add_u64 v[72:73], v[10:11], 3, s[0:1]
	v_add_u32_e32 v10, s5, v10
	v_ashrrev_i32_e32 v11, 31, v10
	v_lshl_add_u64 v[74:75], v[10:11], 3, s[0:1]
	v_add_u32_e32 v10, s5, v10
	v_ashrrev_i32_e32 v11, 31, v10
	v_lshl_add_u64 v[76:77], v[10:11], 3, s[0:1]
	v_add_u32_e32 v10, s5, v10
	v_add_u32_e32 v18, s5, v10
	v_ashrrev_i32_e32 v19, 31, v18
	v_lshl_add_u64 v[80:81], v[18:19], 3, s[0:1]
	v_add_u32_e32 v18, s5, v18
	v_ashrrev_i32_e32 v19, 31, v18
	v_lshl_add_u64 v[82:83], v[18:19], 3, s[0:1]
	;; [unrolled: 3-line block ×4, first 2 shown]
	v_add_u32_e32 v18, s5, v18
	v_ashrrev_i32_e32 v3, 31, v2
	v_ashrrev_i32_e32 v11, 31, v10
	;; [unrolled: 1-line block ×3, first 2 shown]
	v_lshl_add_u64 v[70:71], v[2:3], 3, s[0:1]
	flat_load_dwordx2 v[2:3], v[66:67]
	flat_load_dwordx2 v[4:5], v[68:69]
	flat_load_dwordx2 v[6:7], v[70:71]
	flat_load_dwordx2 v[8:9], v[72:73]
	v_lshl_add_u64 v[78:79], v[10:11], 3, s[0:1]
	flat_load_dwordx2 v[10:11], v[74:75]
	flat_load_dwordx2 v[12:13], v[76:77]
	flat_load_dwordx2 v[14:15], v[78:79]
	flat_load_dwordx2 v[16:17], v[80:81]
	;; [unrolled: 5-line block ×3, first 2 shown]
	s_cmpk_lg_i32 s25, 0x84
	s_cselect_b64 s[26:27], -1, 0
	s_cmpk_eq_i32 s25, 0x84
	v_mov_b64_e32 v[36:37], -1.0
	s_cbranch_scc1 .LBB75_3
; %bb.2:
	v_cmp_eq_u32_e64 s[0:1], 1, v0
	v_cmp_eq_u32_e64 s[2:3], 2, v0
	;; [unrolled: 1-line block ×3, first 2 shown]
	s_waitcnt vmcnt(0) lgkmcnt(0)
	v_cndmask_b32_e64 v26, v3, v5, s[0:1]
	v_cndmask_b32_e64 v26, v26, v7, s[2:3]
	;; [unrolled: 1-line block ×3, first 2 shown]
	v_cmp_eq_u32_e64 s[6:7], 4, v0
	v_cmp_eq_u32_e64 s[8:9], 5, v0
	;; [unrolled: 1-line block ×3, first 2 shown]
	v_cndmask_b32_e64 v26, v26, v11, s[6:7]
	v_cndmask_b32_e64 v26, v26, v13, s[8:9]
	;; [unrolled: 1-line block ×3, first 2 shown]
	v_cmp_eq_u32_e64 s[12:13], 7, v0
	v_cmp_eq_u32_e64 s[14:15], 8, v0
	;; [unrolled: 1-line block ×3, first 2 shown]
	v_cndmask_b32_e64 v26, v26, v17, s[12:13]
	v_cndmask_b32_e64 v26, v26, v19, s[14:15]
	;; [unrolled: 1-line block ×3, first 2 shown]
	v_cmp_eq_u32_e64 s[18:19], 10, v0
	v_cmp_eq_u32_e64 s[20:21], 11, v0
	s_nop 0
	v_cndmask_b32_e64 v26, v26, v23, s[18:19]
	v_cndmask_b32_e64 v27, v26, v25, s[20:21]
	;; [unrolled: 1-line block ×13, first 2 shown]
	v_div_scale_f64 v[28:29], s[22:23], v[26:27], v[26:27], 1.0
	v_rcp_f64_e32 v[30:31], v[28:29]
	s_nop 0
	v_fma_f64 v[32:33], -v[28:29], v[30:31], 1.0
	v_fmac_f64_e32 v[30:31], v[30:31], v[32:33]
	v_fma_f64 v[32:33], -v[28:29], v[30:31], 1.0
	v_fmac_f64_e32 v[30:31], v[30:31], v[32:33]
	v_div_scale_f64 v[32:33], vcc, 1.0, v[26:27], 1.0
	v_mul_f64 v[36:37], v[32:33], v[30:31]
	v_fma_f64 v[28:29], -v[28:29], v[36:37], v[32:33]
	s_nop 1
	v_div_fmas_f64 v[28:29], v[28:29], v[30:31], v[36:37]
	v_div_fixup_f64 v[36:37], v[28:29], v[26:27], 1.0
	v_cmp_eq_u32_e32 vcc, 0, v0
	v_cndmask_b32_e64 v25, v25, v37, s[20:21]
	v_cndmask_b32_e64 v24, v24, v36, s[20:21]
	;; [unrolled: 1-line block ×22, first 2 shown]
	v_cndmask_b32_e32 v3, v3, v37, vcc
	v_cndmask_b32_e32 v2, v2, v36, vcc
	v_xor_b32_e32 v37, 0x80000000, v37
.LBB75_3:
	s_cmpk_eq_i32 s24, 0x79
	v_add_u32_e32 v95, 0x60, v34
	ds_write_b64 v34, v[36:37]
	s_cbranch_scc1 .LBB75_7
; %bb.4:
	s_waitcnt vmcnt(0) lgkmcnt(0)
	v_mov_b64_e32 v[64:65], v[32:33]
	v_cmp_eq_u32_e64 s[0:1], 11, v0
	v_mov_b64_e32 v[62:63], v[30:31]
	v_mov_b64_e32 v[60:61], v[28:29]
	;; [unrolled: 1-line block ×15, first 2 shown]
	ds_write_b64 v95, v[22:23]
	s_waitcnt lgkmcnt(0)
	; wave barrier
	s_and_saveexec_b64 s[22:23], s[0:1]
	s_cbranch_execz .LBB75_11
; %bb.5:
	s_and_b64 vcc, exec, s[26:27]
	s_cbranch_vccz .LBB75_8
; %bb.6:
	v_cmp_eq_u32_e32 vcc, 1, v0
	v_cmp_eq_u32_e64 s[2:3], 2, v0
	v_cmp_eq_u32_e64 s[4:5], 3, v0
	v_cndmask_b32_e32 v34, v3, v5, vcc
	v_cndmask_b32_e64 v34, v34, v7, s[2:3]
	v_cndmask_b32_e64 v34, v34, v9, s[4:5]
	v_cmp_eq_u32_e64 s[6:7], 4, v0
	v_cmp_eq_u32_e64 s[8:9], 5, v0
	;; [unrolled: 1-line block ×3, first 2 shown]
	v_cndmask_b32_e64 v34, v34, v11, s[6:7]
	v_cndmask_b32_e64 v34, v34, v13, s[8:9]
	;; [unrolled: 1-line block ×3, first 2 shown]
	v_cmp_eq_u32_e64 s[12:13], 7, v0
	v_cmp_eq_u32_e64 s[14:15], 8, v0
	v_cmp_eq_u32_e64 s[16:17], 9, v0
	v_cndmask_b32_e64 v34, v34, v17, s[12:13]
	v_cndmask_b32_e64 v34, v34, v19, s[14:15]
	;; [unrolled: 1-line block ×3, first 2 shown]
	v_cmp_eq_u32_e64 s[18:19], 10, v0
	v_cmp_eq_u32_e64 s[20:21], 11, v0
	ds_read_b64 v[36:37], v95
	v_cndmask_b32_e64 v34, v34, v23, s[18:19]
	v_cndmask_b32_e64 v35, v34, v25, s[20:21]
	v_cndmask_b32_e32 v34, v2, v4, vcc
	v_cndmask_b32_e64 v34, v34, v6, s[2:3]
	v_cndmask_b32_e64 v34, v34, v8, s[4:5]
	v_cndmask_b32_e64 v34, v34, v10, s[6:7]
	v_cndmask_b32_e64 v34, v34, v12, s[8:9]
	v_cndmask_b32_e64 v34, v34, v14, s[10:11]
	v_cndmask_b32_e64 v34, v34, v16, s[12:13]
	v_cndmask_b32_e64 v34, v34, v18, s[14:15]
	v_cndmask_b32_e64 v34, v34, v20, s[16:17]
	v_cndmask_b32_e64 v34, v34, v22, s[18:19]
	v_cndmask_b32_e64 v34, v34, v24, s[20:21]
	s_waitcnt lgkmcnt(0)
	v_mul_f64 v[38:39], v[34:35], v[36:37]
	s_cbranch_execz .LBB75_9
	s_branch .LBB75_10
.LBB75_7:
                                        ; implicit-def: $vgpr34_vgpr35_vgpr36_vgpr37_vgpr38_vgpr39_vgpr40_vgpr41_vgpr42_vgpr43_vgpr44_vgpr45_vgpr46_vgpr47_vgpr48_vgpr49_vgpr50_vgpr51_vgpr52_vgpr53_vgpr54_vgpr55_vgpr56_vgpr57_vgpr58_vgpr59_vgpr60_vgpr61_vgpr62_vgpr63_vgpr64_vgpr65
	s_cbranch_execnz .LBB75_162
	s_branch .LBB75_275
.LBB75_8:
                                        ; implicit-def: $vgpr38_vgpr39
.LBB75_9:
	ds_read_b64 v[38:39], v95
.LBB75_10:
	v_mov_b32_e32 v34, 0
	ds_read_b64 v[40:41], v34 offset:80
	v_mov_b32_e32 v34, v2
	v_mov_b32_e32 v35, v3
	v_mov_b32_e32 v36, v4
	v_mov_b32_e32 v37, v5
	s_waitcnt lgkmcnt(0)
	v_mul_f64 v[54:55], v[38:39], v[40:41]
	v_mov_b32_e32 v38, v6
	v_mov_b32_e32 v39, v7
	;; [unrolled: 1-line block ×18, first 2 shown]
.LBB75_11:
	s_or_b64 exec, exec, s[22:23]
	v_cmp_lt_u32_e64 s[2:3], 9, v0
	ds_write_b64 v95, v[52:53]
	s_waitcnt lgkmcnt(0)
	; wave barrier
	s_and_saveexec_b64 s[24:25], s[2:3]
	s_cbranch_execz .LBB75_17
; %bb.12:
	s_andn2_b64 vcc, exec, s[26:27]
	s_cbranch_vccnz .LBB75_14
; %bb.13:
	v_cmp_eq_u32_e32 vcc, 1, v0
	v_cmp_eq_u32_e64 s[4:5], 2, v0
	v_cmp_eq_u32_e64 s[6:7], 3, v0
	v_cndmask_b32_e32 v58, v35, v37, vcc
	v_cndmask_b32_e64 v58, v58, v39, s[4:5]
	v_cndmask_b32_e64 v58, v58, v41, s[6:7]
	v_cmp_eq_u32_e64 s[8:9], 4, v0
	v_cmp_eq_u32_e64 s[10:11], 5, v0
	;; [unrolled: 1-line block ×3, first 2 shown]
	v_cndmask_b32_e64 v58, v58, v43, s[8:9]
	v_cndmask_b32_e64 v58, v58, v45, s[10:11]
	;; [unrolled: 1-line block ×3, first 2 shown]
	v_cmp_eq_u32_e64 s[14:15], 7, v0
	v_cmp_eq_u32_e64 s[16:17], 8, v0
	;; [unrolled: 1-line block ×3, first 2 shown]
	v_cndmask_b32_e64 v58, v58, v49, s[14:15]
	v_cndmask_b32_e64 v58, v58, v51, s[16:17]
	;; [unrolled: 1-line block ×3, first 2 shown]
	v_cndmask_b32_e32 v58, v34, v36, vcc
	v_cndmask_b32_e64 v58, v58, v38, s[4:5]
	v_cndmask_b32_e64 v58, v58, v40, s[6:7]
	;; [unrolled: 1-line block ×6, first 2 shown]
	ds_read_b64 v[58:59], v95
	v_cndmask_b32_e64 v60, v60, v50, s[16:17]
	v_cmp_eq_u32_e64 s[20:21], 10, v0
	v_cndmask_b32_e64 v52, v60, v52, s[18:19]
	v_cmp_eq_u32_e64 s[22:23], 11, v0
	v_cndmask_b32_e64 v53, v53, v55, s[20:21]
	v_cndmask_b32_e64 v52, v52, v54, s[20:21]
	;; [unrolled: 1-line block ×4, first 2 shown]
	s_waitcnt lgkmcnt(0)
	v_mul_f64 v[52:53], v[52:53], v[58:59]
	s_cbranch_execz .LBB75_15
	s_branch .LBB75_16
.LBB75_14:
                                        ; implicit-def: $vgpr52_vgpr53
.LBB75_15:
	ds_read_b64 v[52:53], v95
.LBB75_16:
	v_mov_b32_e32 v58, 0
	ds_read2_b64 v[58:61], v58 offset0:9 offset1:22
	s_waitcnt lgkmcnt(0)
	v_fma_f64 v[60:61], v[54:55], v[60:61], v[52:53]
	v_cndmask_b32_e64 v53, v53, v61, s[0:1]
	v_cndmask_b32_e64 v52, v52, v60, s[0:1]
	v_mul_f64 v[52:53], v[52:53], v[58:59]
.LBB75_17:
	s_or_b64 exec, exec, s[24:25]
	v_cmp_lt_u32_e64 s[0:1], 8, v0
	ds_write_b64 v95, v[50:51]
	s_waitcnt lgkmcnt(0)
	; wave barrier
	s_and_saveexec_b64 s[24:25], s[0:1]
	s_cbranch_execz .LBB75_33
; %bb.18:
	s_andn2_b64 vcc, exec, s[26:27]
	s_cbranch_vccnz .LBB75_20
; %bb.19:
	v_cmp_eq_u32_e32 vcc, 1, v0
	v_cmp_eq_u32_e64 s[4:5], 2, v0
	v_cmp_eq_u32_e64 s[6:7], 3, v0
	v_cndmask_b32_e32 v90, v35, v37, vcc
	v_cndmask_b32_e64 v90, v90, v39, s[4:5]
	v_cndmask_b32_e64 v90, v90, v41, s[6:7]
	v_cmp_eq_u32_e64 s[8:9], 4, v0
	v_cmp_eq_u32_e64 s[10:11], 5, v0
	v_cmp_eq_u32_e64 s[12:13], 6, v0
	v_cndmask_b32_e64 v90, v90, v43, s[8:9]
	v_cndmask_b32_e64 v90, v90, v45, s[10:11]
	;; [unrolled: 1-line block ×3, first 2 shown]
	v_cmp_eq_u32_e64 s[14:15], 7, v0
	v_cmp_eq_u32_e64 s[16:17], 8, v0
	;; [unrolled: 1-line block ×3, first 2 shown]
	v_cndmask_b32_e64 v90, v90, v49, s[14:15]
	v_cndmask_b32_e64 v90, v90, v51, s[16:17]
	;; [unrolled: 1-line block ×3, first 2 shown]
	v_cmp_eq_u32_e64 s[20:21], 10, v0
	v_cmp_eq_u32_e64 s[22:23], 11, v0
	ds_read_b64 v[92:93], v95
	v_cndmask_b32_e64 v90, v90, v55, s[20:21]
	v_cndmask_b32_e64 v91, v90, v57, s[22:23]
	v_cndmask_b32_e32 v90, v34, v36, vcc
	v_cndmask_b32_e64 v90, v90, v38, s[4:5]
	v_cndmask_b32_e64 v90, v90, v40, s[6:7]
	;; [unrolled: 1-line block ×10, first 2 shown]
	s_waitcnt lgkmcnt(0)
	v_mul_f64 v[90:91], v[90:91], v[92:93]
	s_cbranch_execz .LBB75_21
	s_branch .LBB75_22
.LBB75_20:
                                        ; implicit-def: $vgpr90_vgpr91
.LBB75_21:
	ds_read_b64 v[90:91], v95
.LBB75_22:
	s_and_saveexec_b64 s[6:7], s[2:3]
	s_cbranch_execz .LBB75_32
; %bb.23:
	v_add_u32_e32 v92, -10, v0
	v_add_u32_e32 v93, -9, v0
	v_cmp_lt_u32_e32 vcc, 6, v92
	v_mov_b32_e32 v92, 9
	s_and_saveexec_b64 s[2:3], vcc
	s_cbranch_execz .LBB75_27
; %bb.24:
	v_and_b32_e32 v92, -8, v93
	v_sub_u32_e32 v94, 0, v92
	s_mov_b64 s[4:5], 16
	s_movk_i32 s10, 0xa8
	s_mov_b64 s[8:9], 0
.LBB75_25:                              ; =>This Inner Loop Header: Depth=1
	s_lshl_b32 s11, s4, 1
	s_add_i32 s12, s11, -13
	v_mov_b32_e32 v110, s10
	s_add_i32 s13, s11, -14
	s_set_gpr_idx_on s12, gpr_idx(SRC0)
	v_mov_b32_e32 v105, v34
	s_set_gpr_idx_off
	s_add_i32 s14, s11, -11
	s_set_gpr_idx_on s13, gpr_idx(SRC0)
	v_mov_b32_e32 v104, v34
	s_set_gpr_idx_off
	ds_read2_b64 v[96:99], v110 offset1:1
	s_add_i32 s15, s11, -12
	s_set_gpr_idx_on s14, gpr_idx(SRC0)
	v_mov_b32_e32 v107, v34
	s_set_gpr_idx_off
	s_add_i32 s16, s11, -9
	s_set_gpr_idx_on s15, gpr_idx(SRC0)
	v_mov_b32_e32 v106, v34
	s_set_gpr_idx_off
	;; [unrolled: 4-line block ×4, first 2 shown]
	ds_read2_b64 v[100:103], v110 offset0:2 offset1:3
	s_add_i32 s19, s11, -8
	s_waitcnt lgkmcnt(1)
	v_fmac_f64_e32 v[90:91], v[104:105], v[96:97]
	s_set_gpr_idx_on s18, gpr_idx(SRC0)
	v_mov_b32_e32 v105, v34
	s_set_gpr_idx_off
	s_add_i32 s20, s11, -5
	v_fmac_f64_e32 v[90:91], v[106:107], v[98:99]
	s_set_gpr_idx_on s19, gpr_idx(SRC0)
	v_mov_b32_e32 v104, v34
	s_set_gpr_idx_off
	s_add_i32 s21, s11, -6
	s_set_gpr_idx_on s20, gpr_idx(SRC0)
	v_mov_b32_e32 v107, v34
	s_set_gpr_idx_off
	s_add_i32 s22, s11, -3
	s_set_gpr_idx_on s21, gpr_idx(SRC0)
	v_mov_b32_e32 v106, v34
	s_set_gpr_idx_off
	s_add_i32 s23, s11, -4
	ds_read2_b64 v[96:99], v110 offset0:4 offset1:5
	s_waitcnt lgkmcnt(1)
	v_fmac_f64_e32 v[90:91], v[108:109], v[100:101]
	s_set_gpr_idx_on s22, gpr_idx(SRC0)
	v_mov_b32_e32 v109, v34
	s_set_gpr_idx_off
	s_add_i32 s28, s11, -1
	v_fmac_f64_e32 v[90:91], v[104:105], v[102:103]
	s_set_gpr_idx_on s23, gpr_idx(SRC0)
	v_mov_b32_e32 v108, v34
	s_set_gpr_idx_off
	s_add_i32 s29, s11, -2
	s_set_gpr_idx_on s28, gpr_idx(SRC0)
	v_mov_b32_e32 v105, v34
	s_set_gpr_idx_off
	s_set_gpr_idx_on s29, gpr_idx(SRC0)
	v_mov_b32_e32 v104, v34
	s_set_gpr_idx_off
	ds_read2_b64 v[100:103], v110 offset0:6 offset1:7
	s_add_u32 s4, s4, 8
	s_waitcnt lgkmcnt(1)
	v_fmac_f64_e32 v[90:91], v[106:107], v[96:97]
	s_set_gpr_idx_on s11, gpr_idx(SRC0)
	v_mov_b32_e32 v97, v35
	s_set_gpr_idx_off
	v_add_u32_e32 v92, s4, v94
	v_fmac_f64_e32 v[90:91], v[108:109], v[98:99]
	s_set_gpr_idx_on s11, gpr_idx(SRC0)
	v_mov_b32_e32 v96, v34
	s_set_gpr_idx_off
	s_addc_u32 s5, s5, 0
	s_add_i32 s10, s10, 64
	s_add_i32 s12, s4, -7
	v_cmp_eq_u32_e32 vcc, 16, v92
	s_waitcnt lgkmcnt(0)
	v_fmac_f64_e32 v[90:91], v[104:105], v[100:101]
	v_mov_b32_e32 v92, s12
	s_or_b64 s[8:9], vcc, s[8:9]
	v_fmac_f64_e32 v[90:91], v[96:97], v[102:103]
	s_andn2_b64 exec, exec, s[8:9]
	s_cbranch_execnz .LBB75_25
; %bb.26:
	s_or_b64 exec, exec, s[8:9]
.LBB75_27:
	s_or_b64 exec, exec, s[2:3]
	v_and_b32_e32 v58, 7, v93
	v_cmp_ne_u32_e32 vcc, 0, v58
	s_and_saveexec_b64 s[8:9], vcc
	s_cbranch_execz .LBB75_31
; %bb.28:
	v_mov_b32_e32 v59, 0x60
	v_lshl_add_u32 v59, v92, 3, v59
	v_mov_b32_e32 v93, 0
	s_mov_b64 s[10:11], 0
.LBB75_29:                              ; =>This Inner Loop Header: Depth=1
	v_cmp_eq_u32_e32 vcc, 1, v92
	v_add_u32_e32 v58, -1, v58
	v_cmp_eq_u32_e64 s[2:3], 2, v92
	v_cndmask_b32_e32 v62, v35, v37, vcc
	v_cndmask_b32_e32 v63, v34, v36, vcc
	v_cndmask_b32_e64 v62, v62, v39, s[2:3]
	v_cmp_eq_u32_e32 vcc, 0, v58
	v_cmp_eq_u32_e64 s[4:5], 3, v92
	v_cndmask_b32_e64 v63, v63, v38, s[2:3]
	s_or_b64 s[10:11], vcc, s[10:11]
	v_cndmask_b32_e64 v62, v62, v41, s[4:5]
	v_cmp_eq_u32_e32 vcc, 4, v92
	v_cndmask_b32_e64 v63, v63, v40, s[4:5]
	v_cmp_eq_u32_e64 s[2:3], 5, v92
	v_cndmask_b32_e32 v62, v62, v43, vcc
	v_cndmask_b32_e32 v63, v63, v42, vcc
	v_cndmask_b32_e64 v62, v62, v45, s[2:3]
	v_cmp_eq_u32_e32 vcc, 6, v92
	v_cndmask_b32_e64 v63, v63, v44, s[2:3]
	v_cmp_eq_u32_e64 s[2:3], 7, v92
	v_cndmask_b32_e32 v62, v62, v47, vcc
	v_cndmask_b32_e32 v63, v63, v46, vcc
	v_cndmask_b32_e64 v62, v62, v49, s[2:3]
	v_cmp_eq_u32_e32 vcc, 8, v92
	ds_read_b64 v[60:61], v59
	v_cndmask_b32_e64 v63, v63, v48, s[2:3]
	v_cndmask_b32_e32 v62, v62, v51, vcc
	v_cmp_eq_u32_e64 s[2:3], 9, v92
	v_cndmask_b32_e32 v63, v63, v50, vcc
	v_cmp_eq_u32_e32 vcc, 10, v92
	v_cndmask_b32_e64 v62, v62, v53, s[2:3]
	v_cmp_eq_u32_e64 s[4:5], 11, v92
	v_cndmask_b32_e32 v62, v62, v55, vcc
	v_cndmask_b32_e64 v64, v63, v52, s[2:3]
	v_cndmask_b32_e64 v63, v62, v57, s[4:5]
	v_cndmask_b32_e32 v62, v64, v54, vcc
	v_cndmask_b32_e64 v62, v62, v56, s[4:5]
	v_add_u32_e32 v59, 8, v59
	v_lshl_add_u64 v[92:93], v[92:93], 0, 1
	s_waitcnt lgkmcnt(0)
	v_fmac_f64_e32 v[90:91], v[62:63], v[60:61]
	s_andn2_b64 exec, exec, s[10:11]
	s_cbranch_execnz .LBB75_29
; %bb.30:
	s_or_b64 exec, exec, s[10:11]
.LBB75_31:
	s_or_b64 exec, exec, s[8:9]
.LBB75_32:
	s_or_b64 exec, exec, s[6:7]
	v_mov_b32_e32 v50, 0
	ds_read_b64 v[50:51], v50 offset:64
	s_waitcnt lgkmcnt(0)
	v_mul_f64 v[50:51], v[90:91], v[50:51]
.LBB75_33:
	s_or_b64 exec, exec, s[24:25]
	v_cmp_lt_u32_e64 s[2:3], 7, v0
	ds_write_b64 v95, v[48:49]
	s_waitcnt lgkmcnt(0)
	; wave barrier
	s_and_saveexec_b64 s[24:25], s[2:3]
	s_cbranch_execz .LBB75_49
; %bb.34:
	s_andn2_b64 vcc, exec, s[26:27]
	s_cbranch_vccnz .LBB75_36
; %bb.35:
	v_cmp_eq_u32_e32 vcc, 1, v0
	v_cmp_eq_u32_e64 s[4:5], 2, v0
	v_cmp_eq_u32_e64 s[6:7], 3, v0
	v_cndmask_b32_e32 v90, v35, v37, vcc
	v_cndmask_b32_e64 v90, v90, v39, s[4:5]
	v_cndmask_b32_e64 v90, v90, v41, s[6:7]
	v_cmp_eq_u32_e64 s[8:9], 4, v0
	v_cmp_eq_u32_e64 s[10:11], 5, v0
	;; [unrolled: 1-line block ×3, first 2 shown]
	v_cndmask_b32_e64 v90, v90, v43, s[8:9]
	v_cndmask_b32_e64 v90, v90, v45, s[10:11]
	;; [unrolled: 1-line block ×3, first 2 shown]
	v_cmp_eq_u32_e64 s[14:15], 7, v0
	v_cmp_eq_u32_e64 s[16:17], 8, v0
	;; [unrolled: 1-line block ×3, first 2 shown]
	v_cndmask_b32_e64 v90, v90, v49, s[14:15]
	v_cndmask_b32_e64 v90, v90, v51, s[16:17]
	;; [unrolled: 1-line block ×3, first 2 shown]
	v_cmp_eq_u32_e64 s[20:21], 10, v0
	v_cmp_eq_u32_e64 s[22:23], 11, v0
	ds_read_b64 v[92:93], v95
	v_cndmask_b32_e64 v90, v90, v55, s[20:21]
	v_cndmask_b32_e64 v91, v90, v57, s[22:23]
	v_cndmask_b32_e32 v90, v34, v36, vcc
	v_cndmask_b32_e64 v90, v90, v38, s[4:5]
	v_cndmask_b32_e64 v90, v90, v40, s[6:7]
	;; [unrolled: 1-line block ×10, first 2 shown]
	s_waitcnt lgkmcnt(0)
	v_mul_f64 v[90:91], v[90:91], v[92:93]
	s_cbranch_execz .LBB75_37
	s_branch .LBB75_38
.LBB75_36:
                                        ; implicit-def: $vgpr90_vgpr91
.LBB75_37:
	ds_read_b64 v[90:91], v95
.LBB75_38:
	s_and_saveexec_b64 s[6:7], s[0:1]
	s_cbranch_execz .LBB75_48
; %bb.39:
	v_add_u32_e32 v92, -9, v0
	v_cmp_lt_u32_e32 vcc, 6, v92
	v_mov_b32_e32 v92, 8
	s_and_saveexec_b64 s[0:1], vcc
	s_cbranch_execz .LBB75_43
; %bb.40:
	v_and_b32_e32 v92, 8, v0
	v_sub_u32_e32 v94, 0, v92
	s_mov_b64 s[4:5], 15
	s_movk_i32 s10, 0xa0
	s_mov_b64 s[8:9], 0
.LBB75_41:                              ; =>This Inner Loop Header: Depth=1
	s_lshl_b32 s11, s4, 1
	s_add_i32 s12, s11, -13
	s_add_i32 s13, s11, -14
	s_set_gpr_idx_on s12, gpr_idx(SRC0)
	v_mov_b32_e32 v113, v34
	s_set_gpr_idx_off
	v_mov_b32_e32 v92, s10
	s_add_i32 s14, s11, -11
	s_set_gpr_idx_on s13, gpr_idx(SRC0)
	v_mov_b32_e32 v112, v34
	s_set_gpr_idx_off
	s_add_i32 s15, s11, -12
	ds_read_b128 v[96:99], v92
	ds_read_b128 v[100:103], v92 offset:16
	ds_read_b128 v[104:107], v92 offset:32
	;; [unrolled: 1-line block ×3, first 2 shown]
	s_set_gpr_idx_on s14, gpr_idx(SRC0)
	v_mov_b32_e32 v115, v34
	s_set_gpr_idx_off
	s_add_i32 s16, s11, -9
	s_set_gpr_idx_on s15, gpr_idx(SRC0)
	v_mov_b32_e32 v114, v34
	s_set_gpr_idx_off
	s_add_i32 s17, s11, -10
	;; [unrolled: 4-line block ×4, first 2 shown]
	s_waitcnt lgkmcnt(3)
	v_fmac_f64_e32 v[90:91], v[112:113], v[96:97]
	s_set_gpr_idx_on s18, gpr_idx(SRC0)
	v_mov_b32_e32 v97, v34
	s_set_gpr_idx_off
	s_add_i32 s20, s11, -5
	v_fmac_f64_e32 v[90:91], v[114:115], v[98:99]
	s_set_gpr_idx_on s19, gpr_idx(SRC0)
	v_mov_b32_e32 v96, v34
	s_set_gpr_idx_off
	s_add_i32 s21, s11, -6
	s_waitcnt lgkmcnt(2)
	v_fmac_f64_e32 v[90:91], v[116:117], v[100:101]
	s_set_gpr_idx_on s20, gpr_idx(SRC0)
	v_mov_b32_e32 v99, v34
	s_set_gpr_idx_off
	s_add_i32 s22, s11, -3
	v_fmac_f64_e32 v[90:91], v[96:97], v[102:103]
	s_set_gpr_idx_on s21, gpr_idx(SRC0)
	v_mov_b32_e32 v98, v34
	s_set_gpr_idx_off
	s_add_i32 s23, s11, -4
	s_waitcnt lgkmcnt(1)
	v_fmac_f64_e32 v[90:91], v[98:99], v[104:105]
	s_set_gpr_idx_on s22, gpr_idx(SRC0)
	v_mov_b32_e32 v97, v34
	s_set_gpr_idx_off
	s_add_i32 s28, s11, -1
	s_set_gpr_idx_on s23, gpr_idx(SRC0)
	v_mov_b32_e32 v96, v34
	s_set_gpr_idx_off
	s_add_i32 s29, s11, -2
	v_fmac_f64_e32 v[90:91], v[96:97], v[106:107]
	s_set_gpr_idx_on s28, gpr_idx(SRC0)
	v_mov_b32_e32 v97, v34
	s_set_gpr_idx_off
	s_add_u32 s4, s4, 8
	s_set_gpr_idx_on s29, gpr_idx(SRC0)
	v_mov_b32_e32 v96, v34
	s_set_gpr_idx_off
	v_add_u32_e32 v92, s4, v94
	s_waitcnt lgkmcnt(0)
	v_fmac_f64_e32 v[90:91], v[96:97], v[108:109]
	s_set_gpr_idx_on s11, gpr_idx(SRC0)
	v_mov_b32_e32 v97, v35
	s_set_gpr_idx_off
	s_addc_u32 s5, s5, 0
	s_add_i32 s10, s10, 64
	s_add_i32 s12, s4, -7
	v_cmp_eq_u32_e32 vcc, 7, v92
	s_set_gpr_idx_on s11, gpr_idx(SRC0)
	v_mov_b32_e32 v96, v34
	s_set_gpr_idx_off
	v_mov_b32_e32 v92, s12
	s_or_b64 s[8:9], vcc, s[8:9]
	v_fmac_f64_e32 v[90:91], v[96:97], v[110:111]
	s_andn2_b64 exec, exec, s[8:9]
	s_cbranch_execnz .LBB75_41
; %bb.42:
	s_or_b64 exec, exec, s[8:9]
.LBB75_43:
	s_or_b64 exec, exec, s[0:1]
	v_and_b32_e32 v58, 7, v0
	v_cmp_ne_u32_e32 vcc, 0, v58
	s_and_saveexec_b64 s[8:9], vcc
	s_cbranch_execz .LBB75_47
; %bb.44:
	v_mov_b32_e32 v59, 0x60
	v_lshl_add_u32 v59, v92, 3, v59
	v_mov_b32_e32 v93, 0
	s_mov_b64 s[10:11], 0
.LBB75_45:                              ; =>This Inner Loop Header: Depth=1
	v_cmp_eq_u32_e32 vcc, 1, v92
	v_add_u32_e32 v58, -1, v58
	v_cmp_eq_u32_e64 s[0:1], 2, v92
	v_cndmask_b32_e32 v62, v35, v37, vcc
	v_cndmask_b32_e32 v63, v34, v36, vcc
	v_cndmask_b32_e64 v62, v62, v39, s[0:1]
	v_cmp_eq_u32_e32 vcc, 0, v58
	v_cmp_eq_u32_e64 s[4:5], 3, v92
	v_cndmask_b32_e64 v63, v63, v38, s[0:1]
	s_or_b64 s[10:11], vcc, s[10:11]
	v_cndmask_b32_e64 v62, v62, v41, s[4:5]
	v_cmp_eq_u32_e32 vcc, 4, v92
	v_cndmask_b32_e64 v63, v63, v40, s[4:5]
	v_cmp_eq_u32_e64 s[0:1], 5, v92
	v_cndmask_b32_e32 v62, v62, v43, vcc
	v_cndmask_b32_e32 v63, v63, v42, vcc
	v_cndmask_b32_e64 v62, v62, v45, s[0:1]
	v_cmp_eq_u32_e32 vcc, 6, v92
	v_cndmask_b32_e64 v63, v63, v44, s[0:1]
	v_cmp_eq_u32_e64 s[0:1], 7, v92
	v_cndmask_b32_e32 v62, v62, v47, vcc
	v_cndmask_b32_e32 v63, v63, v46, vcc
	v_cndmask_b32_e64 v62, v62, v49, s[0:1]
	v_cmp_eq_u32_e32 vcc, 8, v92
	ds_read_b64 v[60:61], v59
	v_cndmask_b32_e64 v63, v63, v48, s[0:1]
	v_cndmask_b32_e32 v62, v62, v51, vcc
	v_cmp_eq_u32_e64 s[0:1], 9, v92
	v_cndmask_b32_e32 v63, v63, v50, vcc
	v_cmp_eq_u32_e32 vcc, 10, v92
	v_cndmask_b32_e64 v62, v62, v53, s[0:1]
	v_cmp_eq_u32_e64 s[4:5], 11, v92
	v_cndmask_b32_e32 v62, v62, v55, vcc
	v_cndmask_b32_e64 v64, v63, v52, s[0:1]
	v_cndmask_b32_e64 v63, v62, v57, s[4:5]
	v_cndmask_b32_e32 v62, v64, v54, vcc
	v_cndmask_b32_e64 v62, v62, v56, s[4:5]
	v_add_u32_e32 v59, 8, v59
	v_lshl_add_u64 v[92:93], v[92:93], 0, 1
	s_waitcnt lgkmcnt(0)
	v_fmac_f64_e32 v[90:91], v[62:63], v[60:61]
	s_andn2_b64 exec, exec, s[10:11]
	s_cbranch_execnz .LBB75_45
; %bb.46:
	s_or_b64 exec, exec, s[10:11]
.LBB75_47:
	s_or_b64 exec, exec, s[8:9]
.LBB75_48:
	s_or_b64 exec, exec, s[6:7]
	v_mov_b32_e32 v48, 0
	ds_read_b64 v[48:49], v48 offset:56
	s_waitcnt lgkmcnt(0)
	v_mul_f64 v[48:49], v[90:91], v[48:49]
.LBB75_49:
	s_or_b64 exec, exec, s[24:25]
	v_cmp_lt_u32_e64 s[0:1], 6, v0
	ds_write_b64 v95, v[46:47]
	s_waitcnt lgkmcnt(0)
	; wave barrier
	s_and_saveexec_b64 s[24:25], s[0:1]
	s_cbranch_execz .LBB75_65
; %bb.50:
	s_andn2_b64 vcc, exec, s[26:27]
	s_cbranch_vccnz .LBB75_52
; %bb.51:
	v_cmp_eq_u32_e32 vcc, 1, v0
	v_cmp_eq_u32_e64 s[4:5], 2, v0
	v_cmp_eq_u32_e64 s[6:7], 3, v0
	v_cndmask_b32_e32 v90, v35, v37, vcc
	v_cndmask_b32_e64 v90, v90, v39, s[4:5]
	v_cndmask_b32_e64 v90, v90, v41, s[6:7]
	v_cmp_eq_u32_e64 s[8:9], 4, v0
	v_cmp_eq_u32_e64 s[10:11], 5, v0
	;; [unrolled: 1-line block ×3, first 2 shown]
	v_cndmask_b32_e64 v90, v90, v43, s[8:9]
	v_cndmask_b32_e64 v90, v90, v45, s[10:11]
	;; [unrolled: 1-line block ×3, first 2 shown]
	v_cmp_eq_u32_e64 s[14:15], 7, v0
	v_cmp_eq_u32_e64 s[16:17], 8, v0
	;; [unrolled: 1-line block ×3, first 2 shown]
	v_cndmask_b32_e64 v90, v90, v49, s[14:15]
	v_cndmask_b32_e64 v90, v90, v51, s[16:17]
	v_cndmask_b32_e64 v90, v90, v53, s[18:19]
	v_cmp_eq_u32_e64 s[20:21], 10, v0
	v_cmp_eq_u32_e64 s[22:23], 11, v0
	ds_read_b64 v[92:93], v95
	v_cndmask_b32_e64 v90, v90, v55, s[20:21]
	v_cndmask_b32_e64 v91, v90, v57, s[22:23]
	v_cndmask_b32_e32 v90, v34, v36, vcc
	v_cndmask_b32_e64 v90, v90, v38, s[4:5]
	v_cndmask_b32_e64 v90, v90, v40, s[6:7]
	;; [unrolled: 1-line block ×10, first 2 shown]
	s_waitcnt lgkmcnt(0)
	v_mul_f64 v[90:91], v[90:91], v[92:93]
	s_cbranch_execz .LBB75_53
	s_branch .LBB75_54
.LBB75_52:
                                        ; implicit-def: $vgpr90_vgpr91
.LBB75_53:
	ds_read_b64 v[90:91], v95
.LBB75_54:
	s_and_saveexec_b64 s[6:7], s[2:3]
	s_cbranch_execz .LBB75_64
; %bb.55:
	v_add_u32_e32 v92, -8, v0
	v_add_u32_e32 v93, -7, v0
	v_cmp_lt_u32_e32 vcc, 6, v92
	v_mov_b32_e32 v92, 7
	s_and_saveexec_b64 s[2:3], vcc
	s_cbranch_execz .LBB75_59
; %bb.56:
	v_and_b32_e32 v92, -8, v93
	v_sub_u32_e32 v94, 0, v92
	s_mov_b64 s[4:5], 14
	s_movk_i32 s10, 0x98
	s_mov_b64 s[8:9], 0
.LBB75_57:                              ; =>This Inner Loop Header: Depth=1
	s_lshl_b32 s11, s4, 1
	s_add_i32 s12, s11, -13
	v_mov_b32_e32 v110, s10
	s_add_i32 s13, s11, -14
	s_set_gpr_idx_on s12, gpr_idx(SRC0)
	v_mov_b32_e32 v105, v34
	s_set_gpr_idx_off
	s_add_i32 s14, s11, -11
	s_set_gpr_idx_on s13, gpr_idx(SRC0)
	v_mov_b32_e32 v104, v34
	s_set_gpr_idx_off
	ds_read2_b64 v[96:99], v110 offset1:1
	s_add_i32 s15, s11, -12
	s_set_gpr_idx_on s14, gpr_idx(SRC0)
	v_mov_b32_e32 v107, v34
	s_set_gpr_idx_off
	s_add_i32 s16, s11, -9
	s_set_gpr_idx_on s15, gpr_idx(SRC0)
	v_mov_b32_e32 v106, v34
	s_set_gpr_idx_off
	;; [unrolled: 4-line block ×4, first 2 shown]
	ds_read2_b64 v[100:103], v110 offset0:2 offset1:3
	s_add_i32 s19, s11, -8
	s_waitcnt lgkmcnt(1)
	v_fmac_f64_e32 v[90:91], v[104:105], v[96:97]
	s_set_gpr_idx_on s18, gpr_idx(SRC0)
	v_mov_b32_e32 v105, v34
	s_set_gpr_idx_off
	s_add_i32 s20, s11, -5
	v_fmac_f64_e32 v[90:91], v[106:107], v[98:99]
	s_set_gpr_idx_on s19, gpr_idx(SRC0)
	v_mov_b32_e32 v104, v34
	s_set_gpr_idx_off
	s_add_i32 s21, s11, -6
	s_set_gpr_idx_on s20, gpr_idx(SRC0)
	v_mov_b32_e32 v107, v34
	s_set_gpr_idx_off
	s_add_i32 s22, s11, -3
	;; [unrolled: 4-line block ×3, first 2 shown]
	ds_read2_b64 v[96:99], v110 offset0:4 offset1:5
	s_waitcnt lgkmcnt(1)
	v_fmac_f64_e32 v[90:91], v[108:109], v[100:101]
	s_set_gpr_idx_on s22, gpr_idx(SRC0)
	v_mov_b32_e32 v109, v34
	s_set_gpr_idx_off
	s_add_i32 s28, s11, -1
	v_fmac_f64_e32 v[90:91], v[104:105], v[102:103]
	s_set_gpr_idx_on s23, gpr_idx(SRC0)
	v_mov_b32_e32 v108, v34
	s_set_gpr_idx_off
	s_add_i32 s29, s11, -2
	s_set_gpr_idx_on s28, gpr_idx(SRC0)
	v_mov_b32_e32 v105, v34
	s_set_gpr_idx_off
	s_set_gpr_idx_on s29, gpr_idx(SRC0)
	v_mov_b32_e32 v104, v34
	s_set_gpr_idx_off
	ds_read2_b64 v[100:103], v110 offset0:6 offset1:7
	s_add_u32 s4, s4, 8
	s_waitcnt lgkmcnt(1)
	v_fmac_f64_e32 v[90:91], v[106:107], v[96:97]
	s_set_gpr_idx_on s11, gpr_idx(SRC0)
	v_mov_b32_e32 v97, v35
	s_set_gpr_idx_off
	v_add_u32_e32 v92, s4, v94
	v_fmac_f64_e32 v[90:91], v[108:109], v[98:99]
	s_set_gpr_idx_on s11, gpr_idx(SRC0)
	v_mov_b32_e32 v96, v34
	s_set_gpr_idx_off
	s_addc_u32 s5, s5, 0
	s_add_i32 s10, s10, 64
	s_add_i32 s12, s4, -7
	v_cmp_eq_u32_e32 vcc, 14, v92
	s_waitcnt lgkmcnt(0)
	v_fmac_f64_e32 v[90:91], v[104:105], v[100:101]
	v_mov_b32_e32 v92, s12
	s_or_b64 s[8:9], vcc, s[8:9]
	v_fmac_f64_e32 v[90:91], v[96:97], v[102:103]
	s_andn2_b64 exec, exec, s[8:9]
	s_cbranch_execnz .LBB75_57
; %bb.58:
	s_or_b64 exec, exec, s[8:9]
.LBB75_59:
	s_or_b64 exec, exec, s[2:3]
	v_and_b32_e32 v58, 7, v93
	v_cmp_ne_u32_e32 vcc, 0, v58
	s_and_saveexec_b64 s[8:9], vcc
	s_cbranch_execz .LBB75_63
; %bb.60:
	v_mov_b32_e32 v59, 0x60
	v_lshl_add_u32 v59, v92, 3, v59
	v_mov_b32_e32 v93, 0
	s_mov_b64 s[10:11], 0
.LBB75_61:                              ; =>This Inner Loop Header: Depth=1
	v_cmp_eq_u32_e32 vcc, 1, v92
	v_add_u32_e32 v58, -1, v58
	v_cmp_eq_u32_e64 s[2:3], 2, v92
	v_cndmask_b32_e32 v62, v35, v37, vcc
	v_cndmask_b32_e32 v63, v34, v36, vcc
	v_cndmask_b32_e64 v62, v62, v39, s[2:3]
	v_cmp_eq_u32_e32 vcc, 0, v58
	v_cmp_eq_u32_e64 s[4:5], 3, v92
	v_cndmask_b32_e64 v63, v63, v38, s[2:3]
	s_or_b64 s[10:11], vcc, s[10:11]
	v_cndmask_b32_e64 v62, v62, v41, s[4:5]
	v_cmp_eq_u32_e32 vcc, 4, v92
	v_cndmask_b32_e64 v63, v63, v40, s[4:5]
	v_cmp_eq_u32_e64 s[2:3], 5, v92
	v_cndmask_b32_e32 v62, v62, v43, vcc
	v_cndmask_b32_e32 v63, v63, v42, vcc
	v_cndmask_b32_e64 v62, v62, v45, s[2:3]
	v_cmp_eq_u32_e32 vcc, 6, v92
	v_cndmask_b32_e64 v63, v63, v44, s[2:3]
	v_cmp_eq_u32_e64 s[2:3], 7, v92
	v_cndmask_b32_e32 v62, v62, v47, vcc
	v_cndmask_b32_e32 v63, v63, v46, vcc
	v_cndmask_b32_e64 v62, v62, v49, s[2:3]
	v_cmp_eq_u32_e32 vcc, 8, v92
	ds_read_b64 v[60:61], v59
	v_cndmask_b32_e64 v63, v63, v48, s[2:3]
	v_cndmask_b32_e32 v62, v62, v51, vcc
	v_cmp_eq_u32_e64 s[2:3], 9, v92
	v_cndmask_b32_e32 v63, v63, v50, vcc
	v_cmp_eq_u32_e32 vcc, 10, v92
	v_cndmask_b32_e64 v62, v62, v53, s[2:3]
	v_cmp_eq_u32_e64 s[4:5], 11, v92
	v_cndmask_b32_e32 v62, v62, v55, vcc
	v_cndmask_b32_e64 v64, v63, v52, s[2:3]
	v_cndmask_b32_e64 v63, v62, v57, s[4:5]
	v_cndmask_b32_e32 v62, v64, v54, vcc
	v_cndmask_b32_e64 v62, v62, v56, s[4:5]
	v_add_u32_e32 v59, 8, v59
	v_lshl_add_u64 v[92:93], v[92:93], 0, 1
	s_waitcnt lgkmcnt(0)
	v_fmac_f64_e32 v[90:91], v[62:63], v[60:61]
	s_andn2_b64 exec, exec, s[10:11]
	s_cbranch_execnz .LBB75_61
; %bb.62:
	s_or_b64 exec, exec, s[10:11]
.LBB75_63:
	s_or_b64 exec, exec, s[8:9]
.LBB75_64:
	s_or_b64 exec, exec, s[6:7]
	v_mov_b32_e32 v46, 0
	ds_read_b64 v[46:47], v46 offset:48
	s_waitcnt lgkmcnt(0)
	v_mul_f64 v[46:47], v[90:91], v[46:47]
.LBB75_65:
	s_or_b64 exec, exec, s[24:25]
	v_cmp_lt_u32_e64 s[2:3], 5, v0
	ds_write_b64 v95, v[44:45]
	s_waitcnt lgkmcnt(0)
	; wave barrier
	s_and_saveexec_b64 s[24:25], s[2:3]
	s_cbranch_execz .LBB75_81
; %bb.66:
	s_andn2_b64 vcc, exec, s[26:27]
	s_cbranch_vccnz .LBB75_68
; %bb.67:
	v_cmp_eq_u32_e32 vcc, 1, v0
	v_cmp_eq_u32_e64 s[4:5], 2, v0
	v_cmp_eq_u32_e64 s[6:7], 3, v0
	v_cndmask_b32_e32 v90, v35, v37, vcc
	v_cndmask_b32_e64 v90, v90, v39, s[4:5]
	v_cndmask_b32_e64 v90, v90, v41, s[6:7]
	v_cmp_eq_u32_e64 s[8:9], 4, v0
	v_cmp_eq_u32_e64 s[10:11], 5, v0
	;; [unrolled: 1-line block ×3, first 2 shown]
	v_cndmask_b32_e64 v90, v90, v43, s[8:9]
	v_cndmask_b32_e64 v90, v90, v45, s[10:11]
	;; [unrolled: 1-line block ×3, first 2 shown]
	v_cmp_eq_u32_e64 s[14:15], 7, v0
	v_cmp_eq_u32_e64 s[16:17], 8, v0
	;; [unrolled: 1-line block ×3, first 2 shown]
	v_cndmask_b32_e64 v90, v90, v49, s[14:15]
	v_cndmask_b32_e64 v90, v90, v51, s[16:17]
	;; [unrolled: 1-line block ×3, first 2 shown]
	v_cmp_eq_u32_e64 s[20:21], 10, v0
	v_cmp_eq_u32_e64 s[22:23], 11, v0
	ds_read_b64 v[92:93], v95
	v_cndmask_b32_e64 v90, v90, v55, s[20:21]
	v_cndmask_b32_e64 v91, v90, v57, s[22:23]
	v_cndmask_b32_e32 v90, v34, v36, vcc
	v_cndmask_b32_e64 v90, v90, v38, s[4:5]
	v_cndmask_b32_e64 v90, v90, v40, s[6:7]
	;; [unrolled: 1-line block ×10, first 2 shown]
	s_waitcnt lgkmcnt(0)
	v_mul_f64 v[90:91], v[90:91], v[92:93]
	s_cbranch_execz .LBB75_69
	s_branch .LBB75_70
.LBB75_68:
                                        ; implicit-def: $vgpr90_vgpr91
.LBB75_69:
	ds_read_b64 v[90:91], v95
.LBB75_70:
	s_and_saveexec_b64 s[6:7], s[0:1]
	s_cbranch_execz .LBB75_80
; %bb.71:
	v_add_u32_e32 v94, -7, v0
	v_add_u32_e32 v93, -6, v0
	v_mov_b32_e32 v92, 6
	v_cmp_lt_u32_e32 vcc, 6, v94
	s_and_saveexec_b64 s[0:1], vcc
	s_cbranch_execz .LBB75_75
; %bb.72:
	v_and_b32_e32 v92, -8, v93
	v_sub_u32_e32 v94, 0, v92
	s_mov_b64 s[4:5], 13
	s_movk_i32 s10, 0x90
	s_mov_b64 s[8:9], 0
.LBB75_73:                              ; =>This Inner Loop Header: Depth=1
	s_lshl_b32 s11, s4, 1
	s_add_i32 s12, s11, -13
	s_add_i32 s13, s11, -14
	s_set_gpr_idx_on s12, gpr_idx(SRC0)
	v_mov_b32_e32 v113, v34
	s_set_gpr_idx_off
	v_mov_b32_e32 v92, s10
	s_add_i32 s14, s11, -11
	s_set_gpr_idx_on s13, gpr_idx(SRC0)
	v_mov_b32_e32 v112, v34
	s_set_gpr_idx_off
	s_add_i32 s15, s11, -12
	ds_read_b128 v[96:99], v92
	ds_read_b128 v[100:103], v92 offset:16
	ds_read_b128 v[104:107], v92 offset:32
	;; [unrolled: 1-line block ×3, first 2 shown]
	s_set_gpr_idx_on s14, gpr_idx(SRC0)
	v_mov_b32_e32 v115, v34
	s_set_gpr_idx_off
	s_add_i32 s16, s11, -9
	s_set_gpr_idx_on s15, gpr_idx(SRC0)
	v_mov_b32_e32 v114, v34
	s_set_gpr_idx_off
	s_add_i32 s17, s11, -10
	;; [unrolled: 4-line block ×4, first 2 shown]
	s_waitcnt lgkmcnt(3)
	v_fmac_f64_e32 v[90:91], v[112:113], v[96:97]
	s_set_gpr_idx_on s18, gpr_idx(SRC0)
	v_mov_b32_e32 v97, v34
	s_set_gpr_idx_off
	s_add_i32 s20, s11, -5
	v_fmac_f64_e32 v[90:91], v[114:115], v[98:99]
	s_set_gpr_idx_on s19, gpr_idx(SRC0)
	v_mov_b32_e32 v96, v34
	s_set_gpr_idx_off
	s_add_i32 s21, s11, -6
	s_waitcnt lgkmcnt(2)
	v_fmac_f64_e32 v[90:91], v[116:117], v[100:101]
	s_set_gpr_idx_on s20, gpr_idx(SRC0)
	v_mov_b32_e32 v99, v34
	s_set_gpr_idx_off
	s_add_i32 s22, s11, -3
	v_fmac_f64_e32 v[90:91], v[96:97], v[102:103]
	s_set_gpr_idx_on s21, gpr_idx(SRC0)
	v_mov_b32_e32 v98, v34
	s_set_gpr_idx_off
	s_add_i32 s23, s11, -4
	s_waitcnt lgkmcnt(1)
	v_fmac_f64_e32 v[90:91], v[98:99], v[104:105]
	s_set_gpr_idx_on s22, gpr_idx(SRC0)
	v_mov_b32_e32 v97, v34
	s_set_gpr_idx_off
	s_add_i32 s28, s11, -1
	s_set_gpr_idx_on s23, gpr_idx(SRC0)
	v_mov_b32_e32 v96, v34
	s_set_gpr_idx_off
	s_add_i32 s29, s11, -2
	v_fmac_f64_e32 v[90:91], v[96:97], v[106:107]
	s_set_gpr_idx_on s28, gpr_idx(SRC0)
	v_mov_b32_e32 v97, v34
	s_set_gpr_idx_off
	s_add_u32 s4, s4, 8
	s_set_gpr_idx_on s29, gpr_idx(SRC0)
	v_mov_b32_e32 v96, v34
	s_set_gpr_idx_off
	v_add_u32_e32 v92, s4, v94
	s_waitcnt lgkmcnt(0)
	v_fmac_f64_e32 v[90:91], v[96:97], v[108:109]
	s_set_gpr_idx_on s11, gpr_idx(SRC0)
	v_mov_b32_e32 v97, v35
	s_set_gpr_idx_off
	s_addc_u32 s5, s5, 0
	s_add_i32 s10, s10, 64
	s_add_i32 s12, s4, -7
	v_cmp_eq_u32_e32 vcc, 13, v92
	s_set_gpr_idx_on s11, gpr_idx(SRC0)
	v_mov_b32_e32 v96, v34
	s_set_gpr_idx_off
	v_mov_b32_e32 v92, s12
	s_or_b64 s[8:9], vcc, s[8:9]
	v_fmac_f64_e32 v[90:91], v[96:97], v[110:111]
	s_andn2_b64 exec, exec, s[8:9]
	s_cbranch_execnz .LBB75_73
; %bb.74:
	s_or_b64 exec, exec, s[8:9]
.LBB75_75:
	s_or_b64 exec, exec, s[0:1]
	v_and_b32_e32 v58, 7, v93
	v_cmp_ne_u32_e32 vcc, 0, v58
	s_and_saveexec_b64 s[8:9], vcc
	s_cbranch_execz .LBB75_79
; %bb.76:
	v_mov_b32_e32 v59, 0x60
	v_lshl_add_u32 v59, v92, 3, v59
	v_mov_b32_e32 v93, 0
	s_mov_b64 s[10:11], 0
.LBB75_77:                              ; =>This Inner Loop Header: Depth=1
	v_cmp_eq_u32_e32 vcc, 1, v92
	v_add_u32_e32 v58, -1, v58
	v_cmp_eq_u32_e64 s[0:1], 2, v92
	v_cndmask_b32_e32 v62, v35, v37, vcc
	v_cndmask_b32_e32 v63, v34, v36, vcc
	v_cndmask_b32_e64 v62, v62, v39, s[0:1]
	v_cmp_eq_u32_e32 vcc, 0, v58
	v_cmp_eq_u32_e64 s[4:5], 3, v92
	v_cndmask_b32_e64 v63, v63, v38, s[0:1]
	s_or_b64 s[10:11], vcc, s[10:11]
	v_cndmask_b32_e64 v62, v62, v41, s[4:5]
	v_cmp_eq_u32_e32 vcc, 4, v92
	v_cndmask_b32_e64 v63, v63, v40, s[4:5]
	v_cmp_eq_u32_e64 s[0:1], 5, v92
	v_cndmask_b32_e32 v62, v62, v43, vcc
	v_cndmask_b32_e32 v63, v63, v42, vcc
	v_cndmask_b32_e64 v62, v62, v45, s[0:1]
	v_cmp_eq_u32_e32 vcc, 6, v92
	v_cndmask_b32_e64 v63, v63, v44, s[0:1]
	v_cmp_eq_u32_e64 s[0:1], 7, v92
	v_cndmask_b32_e32 v62, v62, v47, vcc
	v_cndmask_b32_e32 v63, v63, v46, vcc
	v_cndmask_b32_e64 v62, v62, v49, s[0:1]
	v_cmp_eq_u32_e32 vcc, 8, v92
	ds_read_b64 v[60:61], v59
	v_cndmask_b32_e64 v63, v63, v48, s[0:1]
	v_cndmask_b32_e32 v62, v62, v51, vcc
	v_cmp_eq_u32_e64 s[0:1], 9, v92
	v_cndmask_b32_e32 v63, v63, v50, vcc
	v_cmp_eq_u32_e32 vcc, 10, v92
	v_cndmask_b32_e64 v62, v62, v53, s[0:1]
	v_cmp_eq_u32_e64 s[4:5], 11, v92
	v_cndmask_b32_e32 v62, v62, v55, vcc
	v_cndmask_b32_e64 v64, v63, v52, s[0:1]
	v_cndmask_b32_e64 v63, v62, v57, s[4:5]
	v_cndmask_b32_e32 v62, v64, v54, vcc
	v_cndmask_b32_e64 v62, v62, v56, s[4:5]
	v_add_u32_e32 v59, 8, v59
	v_lshl_add_u64 v[92:93], v[92:93], 0, 1
	s_waitcnt lgkmcnt(0)
	v_fmac_f64_e32 v[90:91], v[62:63], v[60:61]
	s_andn2_b64 exec, exec, s[10:11]
	s_cbranch_execnz .LBB75_77
; %bb.78:
	s_or_b64 exec, exec, s[10:11]
.LBB75_79:
	s_or_b64 exec, exec, s[8:9]
.LBB75_80:
	s_or_b64 exec, exec, s[6:7]
	v_mov_b32_e32 v44, 0
	ds_read_b64 v[44:45], v44 offset:40
	s_waitcnt lgkmcnt(0)
	v_mul_f64 v[44:45], v[90:91], v[44:45]
.LBB75_81:
	s_or_b64 exec, exec, s[24:25]
	v_cmp_lt_u32_e64 s[0:1], 4, v0
	ds_write_b64 v95, v[42:43]
	s_waitcnt lgkmcnt(0)
	; wave barrier
	s_and_saveexec_b64 s[24:25], s[0:1]
	s_cbranch_execz .LBB75_97
; %bb.82:
	s_andn2_b64 vcc, exec, s[26:27]
	s_cbranch_vccnz .LBB75_84
; %bb.83:
	v_cmp_eq_u32_e32 vcc, 1, v0
	v_cmp_eq_u32_e64 s[4:5], 2, v0
	v_cmp_eq_u32_e64 s[6:7], 3, v0
	v_cndmask_b32_e32 v90, v35, v37, vcc
	v_cndmask_b32_e64 v90, v90, v39, s[4:5]
	v_cndmask_b32_e64 v90, v90, v41, s[6:7]
	v_cmp_eq_u32_e64 s[8:9], 4, v0
	v_cmp_eq_u32_e64 s[10:11], 5, v0
	;; [unrolled: 1-line block ×3, first 2 shown]
	v_cndmask_b32_e64 v90, v90, v43, s[8:9]
	v_cndmask_b32_e64 v90, v90, v45, s[10:11]
	;; [unrolled: 1-line block ×3, first 2 shown]
	v_cmp_eq_u32_e64 s[14:15], 7, v0
	v_cmp_eq_u32_e64 s[16:17], 8, v0
	;; [unrolled: 1-line block ×3, first 2 shown]
	v_cndmask_b32_e64 v90, v90, v49, s[14:15]
	v_cndmask_b32_e64 v90, v90, v51, s[16:17]
	;; [unrolled: 1-line block ×3, first 2 shown]
	v_cmp_eq_u32_e64 s[20:21], 10, v0
	v_cmp_eq_u32_e64 s[22:23], 11, v0
	ds_read_b64 v[92:93], v95
	v_cndmask_b32_e64 v90, v90, v55, s[20:21]
	v_cndmask_b32_e64 v91, v90, v57, s[22:23]
	v_cndmask_b32_e32 v90, v34, v36, vcc
	v_cndmask_b32_e64 v90, v90, v38, s[4:5]
	v_cndmask_b32_e64 v90, v90, v40, s[6:7]
	;; [unrolled: 1-line block ×10, first 2 shown]
	s_waitcnt lgkmcnt(0)
	v_mul_f64 v[90:91], v[90:91], v[92:93]
	s_cbranch_execz .LBB75_85
	s_branch .LBB75_86
.LBB75_84:
                                        ; implicit-def: $vgpr90_vgpr91
.LBB75_85:
	ds_read_b64 v[90:91], v95
.LBB75_86:
	s_and_saveexec_b64 s[6:7], s[2:3]
	s_cbranch_execz .LBB75_96
; %bb.87:
	v_add_u32_e32 v92, -6, v0
	v_add_u32_e32 v93, -5, v0
	v_cmp_lt_u32_e32 vcc, 6, v92
	v_mov_b32_e32 v92, 5
	s_and_saveexec_b64 s[2:3], vcc
	s_cbranch_execz .LBB75_91
; %bb.88:
	v_and_b32_e32 v92, -8, v93
	v_sub_u32_e32 v94, 0, v92
	s_mov_b64 s[4:5], 12
	s_movk_i32 s10, 0x88
	s_mov_b64 s[8:9], 0
.LBB75_89:                              ; =>This Inner Loop Header: Depth=1
	s_lshl_b32 s11, s4, 1
	s_add_i32 s12, s11, -13
	v_mov_b32_e32 v110, s10
	s_add_i32 s13, s11, -14
	s_set_gpr_idx_on s12, gpr_idx(SRC0)
	v_mov_b32_e32 v105, v34
	s_set_gpr_idx_off
	s_add_i32 s14, s11, -11
	s_set_gpr_idx_on s13, gpr_idx(SRC0)
	v_mov_b32_e32 v104, v34
	s_set_gpr_idx_off
	ds_read2_b64 v[96:99], v110 offset1:1
	s_add_i32 s15, s11, -12
	s_set_gpr_idx_on s14, gpr_idx(SRC0)
	v_mov_b32_e32 v107, v34
	s_set_gpr_idx_off
	s_add_i32 s16, s11, -9
	s_set_gpr_idx_on s15, gpr_idx(SRC0)
	v_mov_b32_e32 v106, v34
	s_set_gpr_idx_off
	;; [unrolled: 4-line block ×4, first 2 shown]
	ds_read2_b64 v[100:103], v110 offset0:2 offset1:3
	s_add_i32 s19, s11, -8
	s_waitcnt lgkmcnt(1)
	v_fmac_f64_e32 v[90:91], v[104:105], v[96:97]
	s_set_gpr_idx_on s18, gpr_idx(SRC0)
	v_mov_b32_e32 v105, v34
	s_set_gpr_idx_off
	s_add_i32 s20, s11, -5
	v_fmac_f64_e32 v[90:91], v[106:107], v[98:99]
	s_set_gpr_idx_on s19, gpr_idx(SRC0)
	v_mov_b32_e32 v104, v34
	s_set_gpr_idx_off
	s_add_i32 s21, s11, -6
	s_set_gpr_idx_on s20, gpr_idx(SRC0)
	v_mov_b32_e32 v107, v34
	s_set_gpr_idx_off
	s_add_i32 s22, s11, -3
	;; [unrolled: 4-line block ×3, first 2 shown]
	ds_read2_b64 v[96:99], v110 offset0:4 offset1:5
	s_waitcnt lgkmcnt(1)
	v_fmac_f64_e32 v[90:91], v[108:109], v[100:101]
	s_set_gpr_idx_on s22, gpr_idx(SRC0)
	v_mov_b32_e32 v109, v34
	s_set_gpr_idx_off
	s_add_i32 s28, s11, -1
	v_fmac_f64_e32 v[90:91], v[104:105], v[102:103]
	s_set_gpr_idx_on s23, gpr_idx(SRC0)
	v_mov_b32_e32 v108, v34
	s_set_gpr_idx_off
	s_add_i32 s29, s11, -2
	s_set_gpr_idx_on s28, gpr_idx(SRC0)
	v_mov_b32_e32 v105, v34
	s_set_gpr_idx_off
	s_set_gpr_idx_on s29, gpr_idx(SRC0)
	v_mov_b32_e32 v104, v34
	s_set_gpr_idx_off
	ds_read2_b64 v[100:103], v110 offset0:6 offset1:7
	s_add_u32 s4, s4, 8
	s_waitcnt lgkmcnt(1)
	v_fmac_f64_e32 v[90:91], v[106:107], v[96:97]
	s_set_gpr_idx_on s11, gpr_idx(SRC0)
	v_mov_b32_e32 v97, v35
	s_set_gpr_idx_off
	v_add_u32_e32 v92, s4, v94
	v_fmac_f64_e32 v[90:91], v[108:109], v[98:99]
	s_set_gpr_idx_on s11, gpr_idx(SRC0)
	v_mov_b32_e32 v96, v34
	s_set_gpr_idx_off
	s_addc_u32 s5, s5, 0
	s_add_i32 s10, s10, 64
	s_add_i32 s12, s4, -7
	v_cmp_eq_u32_e32 vcc, 12, v92
	s_waitcnt lgkmcnt(0)
	v_fmac_f64_e32 v[90:91], v[104:105], v[100:101]
	v_mov_b32_e32 v92, s12
	s_or_b64 s[8:9], vcc, s[8:9]
	v_fmac_f64_e32 v[90:91], v[96:97], v[102:103]
	s_andn2_b64 exec, exec, s[8:9]
	s_cbranch_execnz .LBB75_89
; %bb.90:
	s_or_b64 exec, exec, s[8:9]
.LBB75_91:
	s_or_b64 exec, exec, s[2:3]
	v_and_b32_e32 v58, 7, v93
	v_cmp_ne_u32_e32 vcc, 0, v58
	s_and_saveexec_b64 s[8:9], vcc
	s_cbranch_execz .LBB75_95
; %bb.92:
	v_mov_b32_e32 v59, 0x60
	v_lshl_add_u32 v59, v92, 3, v59
	v_mov_b32_e32 v93, 0
	s_mov_b64 s[10:11], 0
.LBB75_93:                              ; =>This Inner Loop Header: Depth=1
	v_cmp_eq_u32_e32 vcc, 1, v92
	v_add_u32_e32 v58, -1, v58
	v_cmp_eq_u32_e64 s[2:3], 2, v92
	v_cndmask_b32_e32 v62, v35, v37, vcc
	v_cndmask_b32_e32 v63, v34, v36, vcc
	v_cndmask_b32_e64 v62, v62, v39, s[2:3]
	v_cmp_eq_u32_e32 vcc, 0, v58
	v_cmp_eq_u32_e64 s[4:5], 3, v92
	v_cndmask_b32_e64 v63, v63, v38, s[2:3]
	s_or_b64 s[10:11], vcc, s[10:11]
	v_cndmask_b32_e64 v62, v62, v41, s[4:5]
	v_cmp_eq_u32_e32 vcc, 4, v92
	v_cndmask_b32_e64 v63, v63, v40, s[4:5]
	v_cmp_eq_u32_e64 s[2:3], 5, v92
	v_cndmask_b32_e32 v62, v62, v43, vcc
	v_cndmask_b32_e32 v63, v63, v42, vcc
	v_cndmask_b32_e64 v62, v62, v45, s[2:3]
	v_cmp_eq_u32_e32 vcc, 6, v92
	v_cndmask_b32_e64 v63, v63, v44, s[2:3]
	v_cmp_eq_u32_e64 s[2:3], 7, v92
	v_cndmask_b32_e32 v62, v62, v47, vcc
	v_cndmask_b32_e32 v63, v63, v46, vcc
	v_cndmask_b32_e64 v62, v62, v49, s[2:3]
	v_cmp_eq_u32_e32 vcc, 8, v92
	ds_read_b64 v[60:61], v59
	v_cndmask_b32_e64 v63, v63, v48, s[2:3]
	v_cndmask_b32_e32 v62, v62, v51, vcc
	v_cmp_eq_u32_e64 s[2:3], 9, v92
	v_cndmask_b32_e32 v63, v63, v50, vcc
	v_cmp_eq_u32_e32 vcc, 10, v92
	v_cndmask_b32_e64 v62, v62, v53, s[2:3]
	v_cmp_eq_u32_e64 s[4:5], 11, v92
	v_cndmask_b32_e32 v62, v62, v55, vcc
	v_cndmask_b32_e64 v64, v63, v52, s[2:3]
	v_cndmask_b32_e64 v63, v62, v57, s[4:5]
	v_cndmask_b32_e32 v62, v64, v54, vcc
	v_cndmask_b32_e64 v62, v62, v56, s[4:5]
	v_add_u32_e32 v59, 8, v59
	v_lshl_add_u64 v[92:93], v[92:93], 0, 1
	s_waitcnt lgkmcnt(0)
	v_fmac_f64_e32 v[90:91], v[62:63], v[60:61]
	s_andn2_b64 exec, exec, s[10:11]
	s_cbranch_execnz .LBB75_93
; %bb.94:
	s_or_b64 exec, exec, s[10:11]
.LBB75_95:
	s_or_b64 exec, exec, s[8:9]
.LBB75_96:
	s_or_b64 exec, exec, s[6:7]
	v_mov_b32_e32 v42, 0
	ds_read_b64 v[42:43], v42 offset:32
	s_waitcnt lgkmcnt(0)
	v_mul_f64 v[42:43], v[90:91], v[42:43]
.LBB75_97:
	s_or_b64 exec, exec, s[24:25]
	v_cmp_lt_u32_e64 s[2:3], 3, v0
	ds_write_b64 v95, v[40:41]
	s_waitcnt lgkmcnt(0)
	; wave barrier
	s_and_saveexec_b64 s[24:25], s[2:3]
	s_cbranch_execz .LBB75_113
; %bb.98:
	s_andn2_b64 vcc, exec, s[26:27]
	s_cbranch_vccnz .LBB75_100
; %bb.99:
	v_cmp_eq_u32_e32 vcc, 1, v0
	v_cmp_eq_u32_e64 s[4:5], 2, v0
	v_cmp_eq_u32_e64 s[6:7], 3, v0
	v_cndmask_b32_e32 v90, v35, v37, vcc
	v_cndmask_b32_e64 v90, v90, v39, s[4:5]
	v_cndmask_b32_e64 v90, v90, v41, s[6:7]
	v_cmp_eq_u32_e64 s[8:9], 4, v0
	v_cmp_eq_u32_e64 s[10:11], 5, v0
	;; [unrolled: 1-line block ×3, first 2 shown]
	v_cndmask_b32_e64 v90, v90, v43, s[8:9]
	v_cndmask_b32_e64 v90, v90, v45, s[10:11]
	;; [unrolled: 1-line block ×3, first 2 shown]
	v_cmp_eq_u32_e64 s[14:15], 7, v0
	v_cmp_eq_u32_e64 s[16:17], 8, v0
	;; [unrolled: 1-line block ×3, first 2 shown]
	v_cndmask_b32_e64 v90, v90, v49, s[14:15]
	v_cndmask_b32_e64 v90, v90, v51, s[16:17]
	;; [unrolled: 1-line block ×3, first 2 shown]
	v_cmp_eq_u32_e64 s[20:21], 10, v0
	v_cmp_eq_u32_e64 s[22:23], 11, v0
	ds_read_b64 v[92:93], v95
	v_cndmask_b32_e64 v90, v90, v55, s[20:21]
	v_cndmask_b32_e64 v91, v90, v57, s[22:23]
	v_cndmask_b32_e32 v90, v34, v36, vcc
	v_cndmask_b32_e64 v90, v90, v38, s[4:5]
	v_cndmask_b32_e64 v90, v90, v40, s[6:7]
	;; [unrolled: 1-line block ×10, first 2 shown]
	s_waitcnt lgkmcnt(0)
	v_mul_f64 v[90:91], v[90:91], v[92:93]
	s_cbranch_execz .LBB75_101
	s_branch .LBB75_102
.LBB75_100:
                                        ; implicit-def: $vgpr90_vgpr91
.LBB75_101:
	ds_read_b64 v[90:91], v95
.LBB75_102:
	s_and_saveexec_b64 s[6:7], s[0:1]
	s_cbranch_execz .LBB75_112
; %bb.103:
	v_add_u32_e32 v92, -5, v0
	v_add_u32_e32 v93, -4, v0
	v_cmp_lt_u32_e32 vcc, 6, v92
	v_mov_b32_e32 v92, 4
	s_and_saveexec_b64 s[0:1], vcc
	s_cbranch_execz .LBB75_107
; %bb.104:
	v_and_b32_e32 v92, -8, v93
	v_sub_u32_e32 v94, 0, v92
	s_mov_b64 s[4:5], 5
	s_movk_i32 s10, 0x80
	s_mov_b64 s[8:9], 0
.LBB75_105:                             ; =>This Inner Loop Header: Depth=1
	s_lshl_b32 s11, s4, 1
	s_add_i32 s12, s11, -1
	s_add_i32 s13, s11, -2
	s_set_gpr_idx_on s12, gpr_idx(SRC0)
	v_mov_b32_e32 v113, v34
	s_set_gpr_idx_off
	v_mov_b32_e32 v92, s10
	s_set_gpr_idx_on s13, gpr_idx(SRC0)
	v_mov_b32_e32 v112, v34
	s_set_gpr_idx_off
	ds_read_b128 v[96:99], v92
	ds_read_b128 v[100:103], v92 offset:16
	ds_read_b128 v[104:107], v92 offset:32
	;; [unrolled: 1-line block ×3, first 2 shown]
	s_set_gpr_idx_on s11, gpr_idx(SRC0)
	v_mov_b32_e32 v115, v35
	s_add_i32 s14, s11, 3
	v_mov_b32_e32 v114, v34
	s_set_gpr_idx_off
	s_add_i32 s15, s11, 2
	s_set_gpr_idx_on s14, gpr_idx(SRC0)
	v_mov_b32_e32 v117, v34
	s_set_gpr_idx_off
	s_add_i32 s16, s11, 5
	s_set_gpr_idx_on s15, gpr_idx(SRC0)
	v_mov_b32_e32 v116, v34
	s_set_gpr_idx_off
	s_add_i32 s17, s11, 4
	s_waitcnt lgkmcnt(3)
	v_fmac_f64_e32 v[90:91], v[112:113], v[96:97]
	s_set_gpr_idx_on s16, gpr_idx(SRC0)
	v_mov_b32_e32 v97, v34
	s_set_gpr_idx_off
	s_add_i32 s18, s11, 7
	v_fmac_f64_e32 v[90:91], v[114:115], v[98:99]
	s_set_gpr_idx_on s17, gpr_idx(SRC0)
	v_mov_b32_e32 v96, v34
	s_set_gpr_idx_off
	s_add_i32 s19, s11, 6
	s_waitcnt lgkmcnt(2)
	v_fmac_f64_e32 v[90:91], v[116:117], v[100:101]
	s_set_gpr_idx_on s18, gpr_idx(SRC0)
	v_mov_b32_e32 v99, v34
	s_set_gpr_idx_off
	s_add_i32 s20, s11, 9
	v_fmac_f64_e32 v[90:91], v[96:97], v[102:103]
	s_set_gpr_idx_on s19, gpr_idx(SRC0)
	v_mov_b32_e32 v98, v34
	s_set_gpr_idx_off
	s_add_i32 s21, s11, 8
	s_waitcnt lgkmcnt(1)
	v_fmac_f64_e32 v[90:91], v[98:99], v[104:105]
	s_set_gpr_idx_on s20, gpr_idx(SRC0)
	v_mov_b32_e32 v97, v34
	s_set_gpr_idx_off
	s_add_i32 s22, s11, 11
	s_set_gpr_idx_on s21, gpr_idx(SRC0)
	v_mov_b32_e32 v96, v34
	s_set_gpr_idx_off
	s_add_i32 s23, s11, 10
	s_add_i32 s28, s11, 13
	;; [unrolled: 1-line block ×3, first 2 shown]
	v_fmac_f64_e32 v[90:91], v[96:97], v[106:107]
	s_set_gpr_idx_on s22, gpr_idx(SRC0)
	v_mov_b32_e32 v97, v34
	s_set_gpr_idx_off
	s_add_u32 s4, s4, 8
	s_set_gpr_idx_on s23, gpr_idx(SRC0)
	v_mov_b32_e32 v96, v34
	s_set_gpr_idx_off
	v_add_u32_e32 v92, s4, v94
	s_waitcnt lgkmcnt(0)
	v_fmac_f64_e32 v[90:91], v[96:97], v[108:109]
	s_set_gpr_idx_on s28, gpr_idx(SRC0)
	v_mov_b32_e32 v97, v34
	s_set_gpr_idx_off
	s_addc_u32 s5, s5, 0
	s_add_i32 s10, s10, 64
	s_add_i32 s12, s4, -1
	v_cmp_eq_u32_e32 vcc, 5, v92
	s_set_gpr_idx_on s29, gpr_idx(SRC0)
	v_mov_b32_e32 v96, v34
	s_set_gpr_idx_off
	v_mov_b32_e32 v92, s12
	s_or_b64 s[8:9], vcc, s[8:9]
	v_fmac_f64_e32 v[90:91], v[96:97], v[110:111]
	s_andn2_b64 exec, exec, s[8:9]
	s_cbranch_execnz .LBB75_105
; %bb.106:
	s_or_b64 exec, exec, s[8:9]
.LBB75_107:
	s_or_b64 exec, exec, s[0:1]
	v_and_b32_e32 v58, 7, v93
	v_cmp_ne_u32_e32 vcc, 0, v58
	s_and_saveexec_b64 s[8:9], vcc
	s_cbranch_execz .LBB75_111
; %bb.108:
	v_mov_b32_e32 v59, 0x60
	v_lshl_add_u32 v59, v92, 3, v59
	v_mov_b32_e32 v93, 0
	s_mov_b64 s[10:11], 0
.LBB75_109:                             ; =>This Inner Loop Header: Depth=1
	v_cmp_eq_u32_e32 vcc, 1, v92
	v_add_u32_e32 v58, -1, v58
	v_cmp_eq_u32_e64 s[0:1], 2, v92
	v_cndmask_b32_e32 v62, v35, v37, vcc
	v_cndmask_b32_e32 v63, v34, v36, vcc
	v_cndmask_b32_e64 v62, v62, v39, s[0:1]
	v_cmp_eq_u32_e32 vcc, 0, v58
	v_cmp_eq_u32_e64 s[4:5], 3, v92
	v_cndmask_b32_e64 v63, v63, v38, s[0:1]
	s_or_b64 s[10:11], vcc, s[10:11]
	v_cndmask_b32_e64 v62, v62, v41, s[4:5]
	v_cmp_eq_u32_e32 vcc, 4, v92
	v_cndmask_b32_e64 v63, v63, v40, s[4:5]
	v_cmp_eq_u32_e64 s[0:1], 5, v92
	v_cndmask_b32_e32 v62, v62, v43, vcc
	v_cndmask_b32_e32 v63, v63, v42, vcc
	v_cndmask_b32_e64 v62, v62, v45, s[0:1]
	v_cmp_eq_u32_e32 vcc, 6, v92
	v_cndmask_b32_e64 v63, v63, v44, s[0:1]
	v_cmp_eq_u32_e64 s[0:1], 7, v92
	v_cndmask_b32_e32 v62, v62, v47, vcc
	v_cndmask_b32_e32 v63, v63, v46, vcc
	v_cndmask_b32_e64 v62, v62, v49, s[0:1]
	v_cmp_eq_u32_e32 vcc, 8, v92
	ds_read_b64 v[60:61], v59
	v_cndmask_b32_e64 v63, v63, v48, s[0:1]
	v_cndmask_b32_e32 v62, v62, v51, vcc
	v_cmp_eq_u32_e64 s[0:1], 9, v92
	v_cndmask_b32_e32 v63, v63, v50, vcc
	v_cmp_eq_u32_e32 vcc, 10, v92
	v_cndmask_b32_e64 v62, v62, v53, s[0:1]
	v_cmp_eq_u32_e64 s[4:5], 11, v92
	v_cndmask_b32_e32 v62, v62, v55, vcc
	v_cndmask_b32_e64 v64, v63, v52, s[0:1]
	v_cndmask_b32_e64 v63, v62, v57, s[4:5]
	v_cndmask_b32_e32 v62, v64, v54, vcc
	v_cndmask_b32_e64 v62, v62, v56, s[4:5]
	v_add_u32_e32 v59, 8, v59
	v_lshl_add_u64 v[92:93], v[92:93], 0, 1
	s_waitcnt lgkmcnt(0)
	v_fmac_f64_e32 v[90:91], v[62:63], v[60:61]
	s_andn2_b64 exec, exec, s[10:11]
	s_cbranch_execnz .LBB75_109
; %bb.110:
	s_or_b64 exec, exec, s[10:11]
.LBB75_111:
	s_or_b64 exec, exec, s[8:9]
.LBB75_112:
	s_or_b64 exec, exec, s[6:7]
	v_mov_b32_e32 v40, 0
	ds_read_b64 v[40:41], v40 offset:24
	s_waitcnt lgkmcnt(0)
	v_mul_f64 v[40:41], v[90:91], v[40:41]
.LBB75_113:
	s_or_b64 exec, exec, s[24:25]
	v_cmp_lt_u32_e64 s[0:1], 2, v0
	ds_write_b64 v95, v[38:39]
	s_waitcnt lgkmcnt(0)
	; wave barrier
	s_and_saveexec_b64 s[24:25], s[0:1]
	s_cbranch_execz .LBB75_129
; %bb.114:
	s_andn2_b64 vcc, exec, s[26:27]
	s_cbranch_vccnz .LBB75_116
; %bb.115:
	v_cmp_eq_u32_e32 vcc, 1, v0
	v_cmp_eq_u32_e64 s[4:5], 2, v0
	v_cmp_eq_u32_e64 s[6:7], 3, v0
	v_cndmask_b32_e32 v90, v35, v37, vcc
	v_cndmask_b32_e64 v90, v90, v39, s[4:5]
	v_cndmask_b32_e64 v90, v90, v41, s[6:7]
	v_cmp_eq_u32_e64 s[8:9], 4, v0
	v_cmp_eq_u32_e64 s[10:11], 5, v0
	;; [unrolled: 1-line block ×3, first 2 shown]
	v_cndmask_b32_e64 v90, v90, v43, s[8:9]
	v_cndmask_b32_e64 v90, v90, v45, s[10:11]
	;; [unrolled: 1-line block ×3, first 2 shown]
	v_cmp_eq_u32_e64 s[14:15], 7, v0
	v_cmp_eq_u32_e64 s[16:17], 8, v0
	;; [unrolled: 1-line block ×3, first 2 shown]
	v_cndmask_b32_e64 v90, v90, v49, s[14:15]
	v_cndmask_b32_e64 v90, v90, v51, s[16:17]
	;; [unrolled: 1-line block ×3, first 2 shown]
	v_cmp_eq_u32_e64 s[20:21], 10, v0
	v_cmp_eq_u32_e64 s[22:23], 11, v0
	ds_read_b64 v[92:93], v95
	v_cndmask_b32_e64 v90, v90, v55, s[20:21]
	v_cndmask_b32_e64 v91, v90, v57, s[22:23]
	v_cndmask_b32_e32 v90, v34, v36, vcc
	v_cndmask_b32_e64 v90, v90, v38, s[4:5]
	v_cndmask_b32_e64 v90, v90, v40, s[6:7]
	;; [unrolled: 1-line block ×10, first 2 shown]
	s_waitcnt lgkmcnt(0)
	v_mul_f64 v[90:91], v[90:91], v[92:93]
	s_cbranch_execz .LBB75_117
	s_branch .LBB75_118
.LBB75_116:
                                        ; implicit-def: $vgpr90_vgpr91
.LBB75_117:
	ds_read_b64 v[90:91], v95
.LBB75_118:
	s_and_saveexec_b64 s[6:7], s[2:3]
	s_cbranch_execz .LBB75_128
; %bb.119:
	v_add_u32_e32 v92, -4, v0
	v_add_u32_e32 v93, -3, v0
	v_cmp_lt_u32_e32 vcc, 6, v92
	v_mov_b32_e32 v92, 3
	s_and_saveexec_b64 s[2:3], vcc
	s_cbranch_execz .LBB75_123
; %bb.120:
	v_and_b32_e32 v92, -8, v93
	v_sub_u32_e32 v94, 0, v92
	s_mov_b64 s[4:5], 10
	s_movk_i32 s10, 0x78
	s_mov_b64 s[8:9], 0
.LBB75_121:                             ; =>This Inner Loop Header: Depth=1
	s_lshl_b32 s11, s4, 1
	s_add_i32 s12, s11, -13
	v_mov_b32_e32 v110, s10
	s_add_i32 s13, s11, -14
	s_set_gpr_idx_on s12, gpr_idx(SRC0)
	v_mov_b32_e32 v105, v34
	s_set_gpr_idx_off
	s_add_i32 s14, s11, -11
	s_set_gpr_idx_on s13, gpr_idx(SRC0)
	v_mov_b32_e32 v104, v34
	s_set_gpr_idx_off
	ds_read2_b64 v[96:99], v110 offset1:1
	s_add_i32 s15, s11, -12
	s_set_gpr_idx_on s14, gpr_idx(SRC0)
	v_mov_b32_e32 v107, v34
	s_set_gpr_idx_off
	s_add_i32 s16, s11, -9
	s_set_gpr_idx_on s15, gpr_idx(SRC0)
	v_mov_b32_e32 v106, v34
	s_set_gpr_idx_off
	;; [unrolled: 4-line block ×4, first 2 shown]
	ds_read2_b64 v[100:103], v110 offset0:2 offset1:3
	s_add_i32 s19, s11, -8
	s_waitcnt lgkmcnt(1)
	v_fmac_f64_e32 v[90:91], v[104:105], v[96:97]
	s_set_gpr_idx_on s18, gpr_idx(SRC0)
	v_mov_b32_e32 v105, v34
	s_set_gpr_idx_off
	s_add_i32 s20, s11, -5
	v_fmac_f64_e32 v[90:91], v[106:107], v[98:99]
	s_set_gpr_idx_on s19, gpr_idx(SRC0)
	v_mov_b32_e32 v104, v34
	s_set_gpr_idx_off
	s_add_i32 s21, s11, -6
	s_set_gpr_idx_on s20, gpr_idx(SRC0)
	v_mov_b32_e32 v107, v34
	s_set_gpr_idx_off
	s_add_i32 s22, s11, -3
	;; [unrolled: 4-line block ×3, first 2 shown]
	ds_read2_b64 v[96:99], v110 offset0:4 offset1:5
	s_waitcnt lgkmcnt(1)
	v_fmac_f64_e32 v[90:91], v[108:109], v[100:101]
	s_set_gpr_idx_on s22, gpr_idx(SRC0)
	v_mov_b32_e32 v109, v34
	s_set_gpr_idx_off
	s_add_i32 s28, s11, -1
	v_fmac_f64_e32 v[90:91], v[104:105], v[102:103]
	s_set_gpr_idx_on s23, gpr_idx(SRC0)
	v_mov_b32_e32 v108, v34
	s_set_gpr_idx_off
	s_add_i32 s29, s11, -2
	s_set_gpr_idx_on s28, gpr_idx(SRC0)
	v_mov_b32_e32 v105, v34
	s_set_gpr_idx_off
	s_set_gpr_idx_on s29, gpr_idx(SRC0)
	v_mov_b32_e32 v104, v34
	s_set_gpr_idx_off
	ds_read2_b64 v[100:103], v110 offset0:6 offset1:7
	s_add_u32 s4, s4, 8
	s_waitcnt lgkmcnt(1)
	v_fmac_f64_e32 v[90:91], v[106:107], v[96:97]
	s_set_gpr_idx_on s11, gpr_idx(SRC0)
	v_mov_b32_e32 v97, v35
	s_set_gpr_idx_off
	v_add_u32_e32 v92, s4, v94
	v_fmac_f64_e32 v[90:91], v[108:109], v[98:99]
	s_set_gpr_idx_on s11, gpr_idx(SRC0)
	v_mov_b32_e32 v96, v34
	s_set_gpr_idx_off
	s_addc_u32 s5, s5, 0
	s_add_i32 s10, s10, 64
	s_add_i32 s12, s4, -7
	v_cmp_eq_u32_e32 vcc, 10, v92
	s_waitcnt lgkmcnt(0)
	v_fmac_f64_e32 v[90:91], v[104:105], v[100:101]
	v_mov_b32_e32 v92, s12
	s_or_b64 s[8:9], vcc, s[8:9]
	v_fmac_f64_e32 v[90:91], v[96:97], v[102:103]
	s_andn2_b64 exec, exec, s[8:9]
	s_cbranch_execnz .LBB75_121
; %bb.122:
	s_or_b64 exec, exec, s[8:9]
.LBB75_123:
	s_or_b64 exec, exec, s[2:3]
	v_and_b32_e32 v58, 7, v93
	v_cmp_ne_u32_e32 vcc, 0, v58
	s_and_saveexec_b64 s[8:9], vcc
	s_cbranch_execz .LBB75_127
; %bb.124:
	v_mov_b32_e32 v59, 0x60
	v_lshl_add_u32 v59, v92, 3, v59
	v_mov_b32_e32 v93, 0
	s_mov_b64 s[10:11], 0
.LBB75_125:                             ; =>This Inner Loop Header: Depth=1
	v_cmp_eq_u32_e32 vcc, 1, v92
	v_add_u32_e32 v58, -1, v58
	v_cmp_eq_u32_e64 s[2:3], 2, v92
	v_cndmask_b32_e32 v62, v35, v37, vcc
	v_cndmask_b32_e32 v63, v34, v36, vcc
	v_cndmask_b32_e64 v62, v62, v39, s[2:3]
	v_cmp_eq_u32_e32 vcc, 0, v58
	v_cmp_eq_u32_e64 s[4:5], 3, v92
	v_cndmask_b32_e64 v63, v63, v38, s[2:3]
	s_or_b64 s[10:11], vcc, s[10:11]
	v_cndmask_b32_e64 v62, v62, v41, s[4:5]
	v_cmp_eq_u32_e32 vcc, 4, v92
	v_cndmask_b32_e64 v63, v63, v40, s[4:5]
	v_cmp_eq_u32_e64 s[2:3], 5, v92
	v_cndmask_b32_e32 v62, v62, v43, vcc
	v_cndmask_b32_e32 v63, v63, v42, vcc
	v_cndmask_b32_e64 v62, v62, v45, s[2:3]
	v_cmp_eq_u32_e32 vcc, 6, v92
	v_cndmask_b32_e64 v63, v63, v44, s[2:3]
	v_cmp_eq_u32_e64 s[2:3], 7, v92
	v_cndmask_b32_e32 v62, v62, v47, vcc
	v_cndmask_b32_e32 v63, v63, v46, vcc
	v_cndmask_b32_e64 v62, v62, v49, s[2:3]
	v_cmp_eq_u32_e32 vcc, 8, v92
	ds_read_b64 v[60:61], v59
	v_cndmask_b32_e64 v63, v63, v48, s[2:3]
	v_cndmask_b32_e32 v62, v62, v51, vcc
	v_cmp_eq_u32_e64 s[2:3], 9, v92
	v_cndmask_b32_e32 v63, v63, v50, vcc
	v_cmp_eq_u32_e32 vcc, 10, v92
	v_cndmask_b32_e64 v62, v62, v53, s[2:3]
	v_cmp_eq_u32_e64 s[4:5], 11, v92
	v_cndmask_b32_e32 v62, v62, v55, vcc
	v_cndmask_b32_e64 v64, v63, v52, s[2:3]
	v_cndmask_b32_e64 v63, v62, v57, s[4:5]
	v_cndmask_b32_e32 v62, v64, v54, vcc
	v_cndmask_b32_e64 v62, v62, v56, s[4:5]
	v_add_u32_e32 v59, 8, v59
	v_lshl_add_u64 v[92:93], v[92:93], 0, 1
	s_waitcnt lgkmcnt(0)
	v_fmac_f64_e32 v[90:91], v[62:63], v[60:61]
	s_andn2_b64 exec, exec, s[10:11]
	s_cbranch_execnz .LBB75_125
; %bb.126:
	s_or_b64 exec, exec, s[10:11]
.LBB75_127:
	s_or_b64 exec, exec, s[8:9]
.LBB75_128:
	s_or_b64 exec, exec, s[6:7]
	v_mov_b32_e32 v38, 0
	ds_read_b64 v[38:39], v38 offset:16
	s_waitcnt lgkmcnt(0)
	v_mul_f64 v[38:39], v[90:91], v[38:39]
.LBB75_129:
	s_or_b64 exec, exec, s[24:25]
	v_cmp_lt_u32_e64 s[2:3], 1, v0
	ds_write_b64 v95, v[36:37]
	s_waitcnt lgkmcnt(0)
	; wave barrier
	s_and_saveexec_b64 s[24:25], s[2:3]
	s_cbranch_execz .LBB75_145
; %bb.130:
	s_andn2_b64 vcc, exec, s[26:27]
	s_cbranch_vccnz .LBB75_132
; %bb.131:
	v_cmp_eq_u32_e32 vcc, 1, v0
	v_cmp_eq_u32_e64 s[4:5], 2, v0
	v_cmp_eq_u32_e64 s[6:7], 3, v0
	v_cndmask_b32_e32 v90, v35, v37, vcc
	v_cndmask_b32_e64 v90, v90, v39, s[4:5]
	v_cndmask_b32_e64 v90, v90, v41, s[6:7]
	v_cmp_eq_u32_e64 s[8:9], 4, v0
	v_cmp_eq_u32_e64 s[10:11], 5, v0
	;; [unrolled: 1-line block ×3, first 2 shown]
	v_cndmask_b32_e64 v90, v90, v43, s[8:9]
	v_cndmask_b32_e64 v90, v90, v45, s[10:11]
	;; [unrolled: 1-line block ×3, first 2 shown]
	v_cmp_eq_u32_e64 s[14:15], 7, v0
	v_cmp_eq_u32_e64 s[16:17], 8, v0
	v_cmp_eq_u32_e64 s[18:19], 9, v0
	v_cndmask_b32_e64 v90, v90, v49, s[14:15]
	v_cndmask_b32_e64 v90, v90, v51, s[16:17]
	;; [unrolled: 1-line block ×3, first 2 shown]
	v_cmp_eq_u32_e64 s[20:21], 10, v0
	v_cmp_eq_u32_e64 s[22:23], 11, v0
	ds_read_b64 v[92:93], v95
	v_cndmask_b32_e64 v90, v90, v55, s[20:21]
	v_cndmask_b32_e64 v91, v90, v57, s[22:23]
	v_cndmask_b32_e32 v90, v34, v36, vcc
	v_cndmask_b32_e64 v90, v90, v38, s[4:5]
	v_cndmask_b32_e64 v90, v90, v40, s[6:7]
	;; [unrolled: 1-line block ×10, first 2 shown]
	s_waitcnt lgkmcnt(0)
	v_mul_f64 v[90:91], v[90:91], v[92:93]
	s_cbranch_execz .LBB75_133
	s_branch .LBB75_134
.LBB75_132:
                                        ; implicit-def: $vgpr90_vgpr91
.LBB75_133:
	ds_read_b64 v[90:91], v95
.LBB75_134:
	s_and_saveexec_b64 s[6:7], s[0:1]
	s_cbranch_execz .LBB75_144
; %bb.135:
	v_add_u32_e32 v92, -3, v0
	v_add_u32_e32 v93, -2, v0
	v_cmp_lt_u32_e32 vcc, 6, v92
	v_mov_b32_e32 v92, 2
	s_and_saveexec_b64 s[0:1], vcc
	s_cbranch_execz .LBB75_139
; %bb.136:
	v_and_b32_e32 v92, -8, v93
	v_sub_u32_e32 v94, 0, v92
	s_mov_b64 s[4:5], 9
	s_movk_i32 s10, 0x70
	s_mov_b64 s[8:9], 0
.LBB75_137:                             ; =>This Inner Loop Header: Depth=1
	s_lshl_b32 s11, s4, 1
	s_add_i32 s12, s11, -13
	s_add_i32 s13, s11, -14
	s_set_gpr_idx_on s12, gpr_idx(SRC0)
	v_mov_b32_e32 v113, v34
	s_set_gpr_idx_off
	v_mov_b32_e32 v92, s10
	s_add_i32 s14, s11, -11
	s_set_gpr_idx_on s13, gpr_idx(SRC0)
	v_mov_b32_e32 v112, v34
	s_set_gpr_idx_off
	s_add_i32 s15, s11, -12
	ds_read_b128 v[96:99], v92
	ds_read_b128 v[100:103], v92 offset:16
	ds_read_b128 v[104:107], v92 offset:32
	;; [unrolled: 1-line block ×3, first 2 shown]
	s_set_gpr_idx_on s14, gpr_idx(SRC0)
	v_mov_b32_e32 v115, v34
	s_set_gpr_idx_off
	s_add_i32 s16, s11, -9
	s_set_gpr_idx_on s15, gpr_idx(SRC0)
	v_mov_b32_e32 v114, v34
	s_set_gpr_idx_off
	s_add_i32 s17, s11, -10
	;; [unrolled: 4-line block ×4, first 2 shown]
	s_waitcnt lgkmcnt(3)
	v_fmac_f64_e32 v[90:91], v[112:113], v[96:97]
	s_set_gpr_idx_on s18, gpr_idx(SRC0)
	v_mov_b32_e32 v97, v34
	s_set_gpr_idx_off
	s_add_i32 s20, s11, -5
	v_fmac_f64_e32 v[90:91], v[114:115], v[98:99]
	s_set_gpr_idx_on s19, gpr_idx(SRC0)
	v_mov_b32_e32 v96, v34
	s_set_gpr_idx_off
	s_add_i32 s21, s11, -6
	s_waitcnt lgkmcnt(2)
	v_fmac_f64_e32 v[90:91], v[116:117], v[100:101]
	s_set_gpr_idx_on s20, gpr_idx(SRC0)
	v_mov_b32_e32 v99, v34
	s_set_gpr_idx_off
	s_add_i32 s22, s11, -3
	v_fmac_f64_e32 v[90:91], v[96:97], v[102:103]
	s_set_gpr_idx_on s21, gpr_idx(SRC0)
	v_mov_b32_e32 v98, v34
	s_set_gpr_idx_off
	s_add_i32 s23, s11, -4
	s_waitcnt lgkmcnt(1)
	v_fmac_f64_e32 v[90:91], v[98:99], v[104:105]
	s_set_gpr_idx_on s22, gpr_idx(SRC0)
	v_mov_b32_e32 v97, v34
	s_set_gpr_idx_off
	s_add_i32 s28, s11, -1
	s_set_gpr_idx_on s23, gpr_idx(SRC0)
	v_mov_b32_e32 v96, v34
	s_set_gpr_idx_off
	s_add_i32 s29, s11, -2
	v_fmac_f64_e32 v[90:91], v[96:97], v[106:107]
	s_set_gpr_idx_on s28, gpr_idx(SRC0)
	v_mov_b32_e32 v97, v34
	s_set_gpr_idx_off
	s_add_u32 s4, s4, 8
	s_set_gpr_idx_on s29, gpr_idx(SRC0)
	v_mov_b32_e32 v96, v34
	s_set_gpr_idx_off
	v_add_u32_e32 v92, s4, v94
	s_waitcnt lgkmcnt(0)
	v_fmac_f64_e32 v[90:91], v[96:97], v[108:109]
	s_set_gpr_idx_on s11, gpr_idx(SRC0)
	v_mov_b32_e32 v97, v35
	s_set_gpr_idx_off
	s_addc_u32 s5, s5, 0
	s_add_i32 s10, s10, 64
	s_add_i32 s12, s4, -7
	v_cmp_eq_u32_e32 vcc, 9, v92
	s_set_gpr_idx_on s11, gpr_idx(SRC0)
	v_mov_b32_e32 v96, v34
	s_set_gpr_idx_off
	v_mov_b32_e32 v92, s12
	s_or_b64 s[8:9], vcc, s[8:9]
	v_fmac_f64_e32 v[90:91], v[96:97], v[110:111]
	s_andn2_b64 exec, exec, s[8:9]
	s_cbranch_execnz .LBB75_137
; %bb.138:
	s_or_b64 exec, exec, s[8:9]
.LBB75_139:
	s_or_b64 exec, exec, s[0:1]
	v_and_b32_e32 v58, 7, v93
	v_cmp_ne_u32_e32 vcc, 0, v58
	s_and_saveexec_b64 s[8:9], vcc
	s_cbranch_execz .LBB75_143
; %bb.140:
	v_mov_b32_e32 v59, 0x60
	v_lshl_add_u32 v59, v92, 3, v59
	v_mov_b32_e32 v93, 0
	s_mov_b64 s[10:11], 0
.LBB75_141:                             ; =>This Inner Loop Header: Depth=1
	v_cmp_eq_u32_e32 vcc, 1, v92
	v_add_u32_e32 v58, -1, v58
	v_cmp_eq_u32_e64 s[0:1], 2, v92
	v_cndmask_b32_e32 v62, v35, v37, vcc
	v_cndmask_b32_e32 v63, v34, v36, vcc
	v_cndmask_b32_e64 v62, v62, v39, s[0:1]
	v_cmp_eq_u32_e32 vcc, 0, v58
	v_cmp_eq_u32_e64 s[4:5], 3, v92
	v_cndmask_b32_e64 v63, v63, v38, s[0:1]
	s_or_b64 s[10:11], vcc, s[10:11]
	v_cndmask_b32_e64 v62, v62, v41, s[4:5]
	v_cmp_eq_u32_e32 vcc, 4, v92
	v_cndmask_b32_e64 v63, v63, v40, s[4:5]
	v_cmp_eq_u32_e64 s[0:1], 5, v92
	v_cndmask_b32_e32 v62, v62, v43, vcc
	v_cndmask_b32_e32 v63, v63, v42, vcc
	v_cndmask_b32_e64 v62, v62, v45, s[0:1]
	v_cmp_eq_u32_e32 vcc, 6, v92
	v_cndmask_b32_e64 v63, v63, v44, s[0:1]
	v_cmp_eq_u32_e64 s[0:1], 7, v92
	v_cndmask_b32_e32 v62, v62, v47, vcc
	v_cndmask_b32_e32 v63, v63, v46, vcc
	v_cndmask_b32_e64 v62, v62, v49, s[0:1]
	v_cmp_eq_u32_e32 vcc, 8, v92
	ds_read_b64 v[60:61], v59
	v_cndmask_b32_e64 v63, v63, v48, s[0:1]
	v_cndmask_b32_e32 v62, v62, v51, vcc
	v_cmp_eq_u32_e64 s[0:1], 9, v92
	v_cndmask_b32_e32 v63, v63, v50, vcc
	v_cmp_eq_u32_e32 vcc, 10, v92
	v_cndmask_b32_e64 v62, v62, v53, s[0:1]
	v_cmp_eq_u32_e64 s[4:5], 11, v92
	v_cndmask_b32_e32 v62, v62, v55, vcc
	v_cndmask_b32_e64 v64, v63, v52, s[0:1]
	v_cndmask_b32_e64 v63, v62, v57, s[4:5]
	v_cndmask_b32_e32 v62, v64, v54, vcc
	v_cndmask_b32_e64 v62, v62, v56, s[4:5]
	v_add_u32_e32 v59, 8, v59
	v_lshl_add_u64 v[92:93], v[92:93], 0, 1
	s_waitcnt lgkmcnt(0)
	v_fmac_f64_e32 v[90:91], v[62:63], v[60:61]
	s_andn2_b64 exec, exec, s[10:11]
	s_cbranch_execnz .LBB75_141
; %bb.142:
	s_or_b64 exec, exec, s[10:11]
.LBB75_143:
	s_or_b64 exec, exec, s[8:9]
.LBB75_144:
	s_or_b64 exec, exec, s[6:7]
	v_mov_b32_e32 v36, 0
	ds_read_b64 v[36:37], v36 offset:8
	s_waitcnt lgkmcnt(0)
	v_mul_f64 v[36:37], v[90:91], v[36:37]
.LBB75_145:
	s_or_b64 exec, exec, s[24:25]
	v_cmp_ne_u32_e32 vcc, 0, v0
	ds_write_b64 v95, v[34:35]
	s_waitcnt lgkmcnt(0)
	; wave barrier
	s_and_saveexec_b64 s[22:23], vcc
	s_cbranch_execz .LBB75_161
; %bb.146:
	s_andn2_b64 vcc, exec, s[26:27]
	s_cbranch_vccnz .LBB75_148
; %bb.147:
	v_cmp_eq_u32_e32 vcc, 1, v0
	v_cmp_eq_u32_e64 s[0:1], 2, v0
	v_cmp_eq_u32_e64 s[4:5], 3, v0
	v_cndmask_b32_e32 v90, v35, v37, vcc
	v_cndmask_b32_e64 v90, v90, v39, s[0:1]
	v_cndmask_b32_e64 v90, v90, v41, s[4:5]
	v_cmp_eq_u32_e64 s[6:7], 4, v0
	v_cmp_eq_u32_e64 s[8:9], 5, v0
	v_cmp_eq_u32_e64 s[10:11], 6, v0
	v_cndmask_b32_e64 v90, v90, v43, s[6:7]
	v_cndmask_b32_e64 v90, v90, v45, s[8:9]
	;; [unrolled: 1-line block ×3, first 2 shown]
	v_cmp_eq_u32_e64 s[12:13], 7, v0
	v_cmp_eq_u32_e64 s[14:15], 8, v0
	;; [unrolled: 1-line block ×3, first 2 shown]
	v_cndmask_b32_e64 v90, v90, v49, s[12:13]
	v_cndmask_b32_e64 v90, v90, v51, s[14:15]
	;; [unrolled: 1-line block ×3, first 2 shown]
	v_cmp_eq_u32_e64 s[18:19], 10, v0
	v_cmp_eq_u32_e64 s[20:21], 11, v0
	ds_read_b64 v[92:93], v95
	v_cndmask_b32_e64 v90, v90, v55, s[18:19]
	v_cndmask_b32_e64 v91, v90, v57, s[20:21]
	v_cndmask_b32_e32 v90, v34, v36, vcc
	v_cndmask_b32_e64 v90, v90, v38, s[0:1]
	v_cndmask_b32_e64 v90, v90, v40, s[4:5]
	;; [unrolled: 1-line block ×10, first 2 shown]
	s_waitcnt lgkmcnt(0)
	v_mul_f64 v[90:91], v[90:91], v[92:93]
	s_cbranch_execz .LBB75_149
	s_branch .LBB75_150
.LBB75_148:
                                        ; implicit-def: $vgpr90_vgpr91
.LBB75_149:
	ds_read_b64 v[90:91], v95
.LBB75_150:
	s_and_saveexec_b64 s[4:5], s[2:3]
	s_cbranch_execz .LBB75_160
; %bb.151:
	v_add_u32_e32 v92, -2, v0
	v_add_u32_e32 v93, -1, v0
	v_cmp_lt_u32_e32 vcc, 6, v92
	v_mov_b32_e32 v92, 1
	s_and_saveexec_b64 s[0:1], vcc
	s_cbranch_execz .LBB75_155
; %bb.152:
	v_and_b32_e32 v92, -8, v93
	v_sub_u32_e32 v94, 0, v92
	s_mov_b64 s[2:3], 8
	s_movk_i32 s8, 0x68
	s_mov_b64 s[6:7], 0
.LBB75_153:                             ; =>This Inner Loop Header: Depth=1
	s_lshl_b32 s9, s2, 1
	s_add_i32 s10, s9, -13
	v_mov_b32_e32 v110, s8
	s_add_i32 s11, s9, -14
	s_set_gpr_idx_on s10, gpr_idx(SRC0)
	v_mov_b32_e32 v105, v34
	s_set_gpr_idx_off
	s_add_i32 s12, s9, -11
	s_set_gpr_idx_on s11, gpr_idx(SRC0)
	v_mov_b32_e32 v104, v34
	s_set_gpr_idx_off
	ds_read2_b64 v[96:99], v110 offset1:1
	s_add_i32 s13, s9, -12
	s_set_gpr_idx_on s12, gpr_idx(SRC0)
	v_mov_b32_e32 v107, v34
	s_set_gpr_idx_off
	s_add_i32 s14, s9, -9
	s_set_gpr_idx_on s13, gpr_idx(SRC0)
	v_mov_b32_e32 v106, v34
	s_set_gpr_idx_off
	s_add_i32 s15, s9, -10
	s_set_gpr_idx_on s14, gpr_idx(SRC0)
	v_mov_b32_e32 v109, v34
	s_set_gpr_idx_off
	s_add_i32 s16, s9, -7
	s_set_gpr_idx_on s15, gpr_idx(SRC0)
	v_mov_b32_e32 v108, v34
	s_set_gpr_idx_off
	ds_read2_b64 v[100:103], v110 offset0:2 offset1:3
	s_add_i32 s17, s9, -8
	s_waitcnt lgkmcnt(1)
	v_fmac_f64_e32 v[90:91], v[104:105], v[96:97]
	s_set_gpr_idx_on s16, gpr_idx(SRC0)
	v_mov_b32_e32 v105, v34
	s_set_gpr_idx_off
	s_add_i32 s18, s9, -5
	v_fmac_f64_e32 v[90:91], v[106:107], v[98:99]
	s_set_gpr_idx_on s17, gpr_idx(SRC0)
	v_mov_b32_e32 v104, v34
	s_set_gpr_idx_off
	s_add_i32 s19, s9, -6
	s_set_gpr_idx_on s18, gpr_idx(SRC0)
	v_mov_b32_e32 v107, v34
	s_set_gpr_idx_off
	s_add_i32 s20, s9, -3
	;; [unrolled: 4-line block ×3, first 2 shown]
	ds_read2_b64 v[96:99], v110 offset0:4 offset1:5
	s_waitcnt lgkmcnt(1)
	v_fmac_f64_e32 v[90:91], v[108:109], v[100:101]
	s_set_gpr_idx_on s20, gpr_idx(SRC0)
	v_mov_b32_e32 v109, v34
	s_set_gpr_idx_off
	s_add_i32 s24, s9, -1
	v_fmac_f64_e32 v[90:91], v[104:105], v[102:103]
	s_set_gpr_idx_on s21, gpr_idx(SRC0)
	v_mov_b32_e32 v108, v34
	s_set_gpr_idx_off
	s_add_i32 s25, s9, -2
	s_set_gpr_idx_on s24, gpr_idx(SRC0)
	v_mov_b32_e32 v105, v34
	s_set_gpr_idx_off
	s_set_gpr_idx_on s25, gpr_idx(SRC0)
	v_mov_b32_e32 v104, v34
	s_set_gpr_idx_off
	ds_read2_b64 v[100:103], v110 offset0:6 offset1:7
	s_add_u32 s2, s2, 8
	s_waitcnt lgkmcnt(1)
	v_fmac_f64_e32 v[90:91], v[106:107], v[96:97]
	s_set_gpr_idx_on s9, gpr_idx(SRC0)
	v_mov_b32_e32 v97, v35
	s_set_gpr_idx_off
	v_add_u32_e32 v92, s2, v94
	v_fmac_f64_e32 v[90:91], v[108:109], v[98:99]
	s_set_gpr_idx_on s9, gpr_idx(SRC0)
	v_mov_b32_e32 v96, v34
	s_set_gpr_idx_off
	s_addc_u32 s3, s3, 0
	s_add_i32 s8, s8, 64
	s_add_i32 s10, s2, -7
	v_cmp_eq_u32_e32 vcc, 8, v92
	s_waitcnt lgkmcnt(0)
	v_fmac_f64_e32 v[90:91], v[104:105], v[100:101]
	v_mov_b32_e32 v92, s10
	s_or_b64 s[6:7], vcc, s[6:7]
	v_fmac_f64_e32 v[90:91], v[96:97], v[102:103]
	s_andn2_b64 exec, exec, s[6:7]
	s_cbranch_execnz .LBB75_153
; %bb.154:
	s_or_b64 exec, exec, s[6:7]
.LBB75_155:
	s_or_b64 exec, exec, s[0:1]
	v_and_b32_e32 v58, 7, v93
	v_cmp_ne_u32_e32 vcc, 0, v58
	s_and_saveexec_b64 s[6:7], vcc
	s_cbranch_execz .LBB75_159
; %bb.156:
	v_mov_b32_e32 v59, 0x60
	v_lshl_add_u32 v59, v92, 3, v59
	v_mov_b32_e32 v93, 0
	s_mov_b64 s[8:9], 0
.LBB75_157:                             ; =>This Inner Loop Header: Depth=1
	v_cmp_eq_u32_e32 vcc, 1, v92
	v_add_u32_e32 v58, -1, v58
	v_cmp_eq_u32_e64 s[0:1], 2, v92
	v_cndmask_b32_e32 v62, v35, v37, vcc
	v_cndmask_b32_e32 v63, v34, v36, vcc
	v_cndmask_b32_e64 v62, v62, v39, s[0:1]
	v_cmp_eq_u32_e32 vcc, 0, v58
	v_cmp_eq_u32_e64 s[2:3], 3, v92
	v_cndmask_b32_e64 v63, v63, v38, s[0:1]
	s_or_b64 s[8:9], vcc, s[8:9]
	v_cndmask_b32_e64 v62, v62, v41, s[2:3]
	v_cmp_eq_u32_e32 vcc, 4, v92
	v_cndmask_b32_e64 v63, v63, v40, s[2:3]
	v_cmp_eq_u32_e64 s[0:1], 5, v92
	v_cndmask_b32_e32 v62, v62, v43, vcc
	v_cndmask_b32_e32 v63, v63, v42, vcc
	v_cndmask_b32_e64 v62, v62, v45, s[0:1]
	v_cmp_eq_u32_e32 vcc, 6, v92
	v_cndmask_b32_e64 v63, v63, v44, s[0:1]
	v_cmp_eq_u32_e64 s[0:1], 7, v92
	v_cndmask_b32_e32 v62, v62, v47, vcc
	v_cndmask_b32_e32 v63, v63, v46, vcc
	v_cndmask_b32_e64 v62, v62, v49, s[0:1]
	v_cmp_eq_u32_e32 vcc, 8, v92
	ds_read_b64 v[60:61], v59
	v_cndmask_b32_e64 v63, v63, v48, s[0:1]
	v_cndmask_b32_e32 v62, v62, v51, vcc
	v_cmp_eq_u32_e64 s[0:1], 9, v92
	v_cndmask_b32_e32 v63, v63, v50, vcc
	v_cmp_eq_u32_e32 vcc, 10, v92
	v_cndmask_b32_e64 v62, v62, v53, s[0:1]
	v_cmp_eq_u32_e64 s[2:3], 11, v92
	v_cndmask_b32_e32 v62, v62, v55, vcc
	v_cndmask_b32_e64 v64, v63, v52, s[0:1]
	v_cndmask_b32_e64 v63, v62, v57, s[2:3]
	v_cndmask_b32_e32 v62, v64, v54, vcc
	v_cndmask_b32_e64 v62, v62, v56, s[2:3]
	v_add_u32_e32 v59, 8, v59
	v_lshl_add_u64 v[92:93], v[92:93], 0, 1
	s_waitcnt lgkmcnt(0)
	v_fmac_f64_e32 v[90:91], v[62:63], v[60:61]
	s_andn2_b64 exec, exec, s[8:9]
	s_cbranch_execnz .LBB75_157
; %bb.158:
	s_or_b64 exec, exec, s[8:9]
.LBB75_159:
	s_or_b64 exec, exec, s[6:7]
.LBB75_160:
	s_or_b64 exec, exec, s[4:5]
	v_mov_b32_e32 v34, 0
	ds_read_b64 v[34:35], v34
	s_waitcnt lgkmcnt(0)
	v_mul_f64 v[34:35], v[90:91], v[34:35]
.LBB75_161:
	s_or_b64 exec, exec, s[22:23]
	s_branch .LBB75_275
.LBB75_162:
	v_cmp_eq_u32_e64 s[2:3], 0, v0
	s_waitcnt vmcnt(0) lgkmcnt(0)
	ds_write_b64 v95, v[4:5]
	s_waitcnt lgkmcnt(0)
	; wave barrier
	s_and_saveexec_b64 s[22:23], s[2:3]
	s_cbranch_execz .LBB75_168
; %bb.163:
	s_and_b64 vcc, exec, s[26:27]
	s_cbranch_vccz .LBB75_165
; %bb.164:
	v_cmp_eq_u32_e32 vcc, 1, v0
	v_cmp_eq_u32_e64 s[0:1], 2, v0
	v_cmp_eq_u32_e64 s[4:5], 3, v0
	v_cndmask_b32_e32 v5, v3, v5, vcc
	v_cndmask_b32_e32 v4, v2, v4, vcc
	v_cndmask_b32_e64 v5, v5, v7, s[0:1]
	v_cndmask_b32_e64 v4, v4, v6, s[0:1]
	;; [unrolled: 1-line block ×3, first 2 shown]
	v_cmp_eq_u32_e64 s[6:7], 4, v0
	v_cndmask_b32_e64 v4, v4, v8, s[4:5]
	v_cmp_eq_u32_e64 s[8:9], 5, v0
	v_cndmask_b32_e64 v5, v5, v11, s[6:7]
	v_cndmask_b32_e64 v4, v4, v10, s[6:7]
	;; [unrolled: 1-line block ×3, first 2 shown]
	v_cmp_eq_u32_e64 s[10:11], 6, v0
	v_cndmask_b32_e64 v4, v4, v12, s[8:9]
	v_cmp_eq_u32_e64 s[12:13], 7, v0
	v_cndmask_b32_e64 v5, v5, v15, s[10:11]
	v_cndmask_b32_e64 v4, v4, v14, s[10:11]
	v_cndmask_b32_e64 v5, v5, v17, s[12:13]
	v_cmp_eq_u32_e64 s[14:15], 8, v0
	v_cndmask_b32_e64 v4, v4, v16, s[12:13]
	ds_read_b64 v[26:27], v95
	v_cndmask_b32_e64 v5, v5, v19, s[14:15]
	v_cmp_eq_u32_e64 s[16:17], 9, v0
	v_cndmask_b32_e64 v4, v4, v18, s[14:15]
	v_cmp_eq_u32_e64 s[18:19], 10, v0
	v_cndmask_b32_e64 v5, v5, v21, s[16:17]
	v_cndmask_b32_e64 v4, v4, v20, s[16:17]
	;; [unrolled: 1-line block ×3, first 2 shown]
	v_cmp_eq_u32_e64 s[20:21], 11, v0
	v_cndmask_b32_e64 v4, v4, v22, s[18:19]
	s_nop 0
	v_cndmask_b32_e64 v5, v5, v25, s[20:21]
	v_cndmask_b32_e64 v4, v4, v24, s[20:21]
	s_waitcnt lgkmcnt(0)
	v_mul_f64 v[4:5], v[4:5], v[26:27]
	s_cbranch_execz .LBB75_166
	s_branch .LBB75_167
.LBB75_165:
                                        ; implicit-def: $vgpr4_vgpr5
.LBB75_166:
	ds_read_b64 v[4:5], v95
.LBB75_167:
	v_mov_b32_e32 v26, 0
	ds_read_b64 v[26:27], v26 offset:8
	s_waitcnt lgkmcnt(0)
	v_mul_f64 v[4:5], v[4:5], v[26:27]
.LBB75_168:
	s_or_b64 exec, exec, s[22:23]
	v_cndmask_b32_e64 v34, 0, 1, s[26:27]
	v_cmp_gt_u32_e32 vcc, 2, v0
	v_cmp_ne_u32_e64 s[0:1], 1, v34
	ds_write_b64 v95, v[6:7]
	s_waitcnt lgkmcnt(0)
	; wave barrier
	s_and_saveexec_b64 s[24:25], vcc
	s_cbranch_execz .LBB75_174
; %bb.169:
	s_and_b64 vcc, exec, s[0:1]
	s_cbranch_vccnz .LBB75_171
; %bb.170:
	v_cmp_eq_u32_e32 vcc, 1, v0
	v_cmp_eq_u32_e64 s[4:5], 2, v0
	v_cmp_eq_u32_e64 s[6:7], 3, v0
	v_cndmask_b32_e32 v26, v3, v5, vcc
	v_cndmask_b32_e64 v7, v26, v7, s[4:5]
	v_cndmask_b32_e32 v26, v2, v4, vcc
	v_cndmask_b32_e64 v6, v26, v6, s[4:5]
	v_cndmask_b32_e64 v7, v7, v9, s[6:7]
	v_cmp_eq_u32_e64 s[8:9], 4, v0
	v_cndmask_b32_e64 v6, v6, v8, s[6:7]
	v_cmp_eq_u32_e64 s[10:11], 5, v0
	v_cndmask_b32_e64 v7, v7, v11, s[8:9]
	v_cndmask_b32_e64 v6, v6, v10, s[8:9]
	;; [unrolled: 1-line block ×3, first 2 shown]
	v_cmp_eq_u32_e64 s[12:13], 6, v0
	v_cndmask_b32_e64 v6, v6, v12, s[10:11]
	v_cmp_eq_u32_e64 s[14:15], 7, v0
	v_cndmask_b32_e64 v7, v7, v15, s[12:13]
	v_cndmask_b32_e64 v6, v6, v14, s[12:13]
	;; [unrolled: 1-line block ×3, first 2 shown]
	v_cmp_eq_u32_e64 s[16:17], 8, v0
	v_cndmask_b32_e64 v6, v6, v16, s[14:15]
	ds_read_b64 v[26:27], v95
	v_cndmask_b32_e64 v7, v7, v19, s[16:17]
	v_cmp_eq_u32_e64 s[18:19], 9, v0
	v_cndmask_b32_e64 v6, v6, v18, s[16:17]
	v_cmp_eq_u32_e64 s[20:21], 10, v0
	v_cndmask_b32_e64 v7, v7, v21, s[18:19]
	v_cndmask_b32_e64 v6, v6, v20, s[18:19]
	;; [unrolled: 1-line block ×3, first 2 shown]
	v_cmp_eq_u32_e64 s[22:23], 11, v0
	v_cndmask_b32_e64 v6, v6, v22, s[20:21]
	s_nop 0
	v_cndmask_b32_e64 v7, v7, v25, s[22:23]
	v_cndmask_b32_e64 v6, v6, v24, s[22:23]
	s_waitcnt lgkmcnt(0)
	v_mul_f64 v[6:7], v[6:7], v[26:27]
	s_cbranch_execz .LBB75_172
	s_branch .LBB75_173
.LBB75_171:
                                        ; implicit-def: $vgpr6_vgpr7
.LBB75_172:
	ds_read_b64 v[6:7], v95
.LBB75_173:
	v_mov_b32_e32 v26, 0
	ds_read2_b64 v[26:29], v26 offset0:2 offset1:13
	s_waitcnt lgkmcnt(0)
	v_fma_f64 v[28:29], v[4:5], v[28:29], v[6:7]
	v_cndmask_b32_e64 v7, v7, v29, s[2:3]
	v_cndmask_b32_e64 v6, v6, v28, s[2:3]
	v_mul_f64 v[6:7], v[6:7], v[26:27]
.LBB75_174:
	s_or_b64 exec, exec, s[24:25]
	v_add_u32_e32 v34, 1, v0
	v_cmp_gt_u32_e64 s[4:5], 3, v0
	ds_write_b64 v95, v[8:9]
	s_waitcnt lgkmcnt(0)
	; wave barrier
	s_and_saveexec_b64 s[26:27], s[4:5]
	s_cbranch_execz .LBB75_182
; %bb.175:
	s_and_b64 vcc, exec, s[0:1]
	s_cbranch_vccnz .LBB75_177
; %bb.176:
	v_cmp_eq_u32_e32 vcc, 1, v0
	v_cmp_eq_u32_e64 s[6:7], 2, v0
	v_cmp_eq_u32_e64 s[8:9], 3, v0
	v_cndmask_b32_e32 v26, v3, v5, vcc
	v_cndmask_b32_e64 v26, v26, v7, s[6:7]
	v_cndmask_b32_e64 v26, v26, v9, s[8:9]
	v_cmp_eq_u32_e64 s[10:11], 4, v0
	v_cmp_eq_u32_e64 s[12:13], 5, v0
	;; [unrolled: 1-line block ×3, first 2 shown]
	v_cndmask_b32_e64 v26, v26, v11, s[10:11]
	v_cndmask_b32_e64 v26, v26, v13, s[12:13]
	;; [unrolled: 1-line block ×3, first 2 shown]
	v_cmp_eq_u32_e64 s[16:17], 7, v0
	v_cmp_eq_u32_e64 s[18:19], 8, v0
	;; [unrolled: 1-line block ×3, first 2 shown]
	v_cndmask_b32_e64 v26, v26, v17, s[16:17]
	v_cndmask_b32_e64 v26, v26, v19, s[18:19]
	;; [unrolled: 1-line block ×3, first 2 shown]
	v_cmp_eq_u32_e64 s[22:23], 10, v0
	v_cmp_eq_u32_e64 s[24:25], 11, v0
	ds_read_b64 v[28:29], v95
	v_cndmask_b32_e64 v26, v26, v23, s[22:23]
	v_cndmask_b32_e64 v27, v26, v25, s[24:25]
	v_cndmask_b32_e32 v26, v2, v4, vcc
	v_cndmask_b32_e64 v26, v26, v6, s[6:7]
	v_cndmask_b32_e64 v26, v26, v8, s[8:9]
	;; [unrolled: 1-line block ×10, first 2 shown]
	s_waitcnt lgkmcnt(0)
	v_mul_f64 v[26:27], v[26:27], v[28:29]
	s_cbranch_execz .LBB75_178
	s_branch .LBB75_179
.LBB75_177:
                                        ; implicit-def: $vgpr26_vgpr27
.LBB75_178:
	ds_read_b64 v[26:27], v95
.LBB75_179:
	v_cmp_ne_u32_e32 vcc, 2, v0
	s_and_saveexec_b64 s[28:29], vcc
	s_cbranch_execz .LBB75_181
; %bb.180:
	v_cmp_eq_u32_e32 vcc, 1, v34
	v_cmp_eq_u32_e64 s[6:7], 2, v34
	v_cmp_eq_u32_e64 s[8:9], 3, v34
	v_cndmask_b32_e32 v28, v3, v5, vcc
	v_cndmask_b32_e64 v28, v28, v7, s[6:7]
	v_cndmask_b32_e64 v9, v28, v9, s[8:9]
	v_cndmask_b32_e32 v28, v2, v4, vcc
	v_cndmask_b32_e64 v28, v28, v6, s[6:7]
	v_cmp_eq_u32_e64 s[10:11], 4, v34
	v_cndmask_b32_e64 v8, v28, v8, s[8:9]
	v_cmp_eq_u32_e64 s[12:13], 5, v34
	v_cndmask_b32_e64 v9, v9, v11, s[10:11]
	v_cndmask_b32_e64 v8, v8, v10, s[10:11]
	;; [unrolled: 1-line block ×3, first 2 shown]
	v_cmp_eq_u32_e64 s[14:15], 6, v34
	v_cndmask_b32_e64 v8, v8, v12, s[12:13]
	v_cmp_eq_u32_e64 s[16:17], 7, v34
	v_cndmask_b32_e64 v9, v9, v15, s[14:15]
	v_cndmask_b32_e64 v8, v8, v14, s[14:15]
	;; [unrolled: 1-line block ×3, first 2 shown]
	v_cmp_eq_u32_e64 s[18:19], 8, v34
	v_cndmask_b32_e64 v8, v8, v16, s[16:17]
	v_mov_b32_e32 v30, 0
	v_cndmask_b32_e64 v9, v9, v19, s[18:19]
	v_cmp_eq_u32_e64 s[20:21], 9, v34
	v_cndmask_b32_e64 v8, v8, v18, s[18:19]
	ds_read_b64 v[28:29], v95 offset:8
	ds_read_b64 v[30:31], v30 offset:112
	v_cndmask_b32_e64 v9, v9, v21, s[20:21]
	v_cmp_eq_u32_e64 s[22:23], 10, v34
	v_cndmask_b32_e64 v8, v8, v20, s[20:21]
	v_cmp_eq_u32_e64 s[24:25], 11, v34
	v_cndmask_b32_e64 v9, v9, v23, s[22:23]
	v_cndmask_b32_e64 v8, v8, v22, s[22:23]
	;; [unrolled: 1-line block ×4, first 2 shown]
	s_waitcnt lgkmcnt(1)
	v_fmac_f64_e32 v[26:27], v[8:9], v[28:29]
	s_waitcnt lgkmcnt(0)
	v_fma_f64 v[8:9], v[6:7], v[30:31], v[26:27]
	v_cndmask_b32_e64 v27, v27, v9, s[2:3]
	v_cndmask_b32_e64 v26, v26, v8, s[2:3]
.LBB75_181:
	s_or_b64 exec, exec, s[28:29]
	v_mov_b32_e32 v8, 0
	ds_read_b64 v[8:9], v8 offset:24
	s_waitcnt lgkmcnt(0)
	v_mul_f64 v[8:9], v[26:27], v[8:9]
.LBB75_182:
	s_or_b64 exec, exec, s[26:27]
	v_cmp_gt_u32_e32 vcc, 4, v0
	ds_write_b64 v95, v[10:11]
	s_waitcnt lgkmcnt(0)
	; wave barrier
	s_and_saveexec_b64 s[26:27], vcc
	s_cbranch_execz .LBB75_192
; %bb.183:
	s_and_b64 vcc, exec, s[0:1]
	s_cbranch_vccnz .LBB75_185
; %bb.184:
	v_cmp_eq_u32_e32 vcc, 1, v0
	v_cmp_eq_u32_e64 s[6:7], 2, v0
	v_cmp_eq_u32_e64 s[8:9], 3, v0
	v_cndmask_b32_e32 v26, v3, v5, vcc
	v_cndmask_b32_e64 v26, v26, v7, s[6:7]
	v_cndmask_b32_e64 v26, v26, v9, s[8:9]
	v_cmp_eq_u32_e64 s[10:11], 4, v0
	v_cmp_eq_u32_e64 s[12:13], 5, v0
	;; [unrolled: 1-line block ×3, first 2 shown]
	v_cndmask_b32_e64 v26, v26, v11, s[10:11]
	v_cndmask_b32_e64 v26, v26, v13, s[12:13]
	;; [unrolled: 1-line block ×3, first 2 shown]
	v_cmp_eq_u32_e64 s[16:17], 7, v0
	v_cmp_eq_u32_e64 s[18:19], 8, v0
	;; [unrolled: 1-line block ×3, first 2 shown]
	v_cndmask_b32_e64 v26, v26, v17, s[16:17]
	v_cndmask_b32_e64 v26, v26, v19, s[18:19]
	;; [unrolled: 1-line block ×3, first 2 shown]
	v_cmp_eq_u32_e64 s[22:23], 10, v0
	v_cmp_eq_u32_e64 s[24:25], 11, v0
	ds_read_b64 v[28:29], v95
	v_cndmask_b32_e64 v26, v26, v23, s[22:23]
	v_cndmask_b32_e64 v27, v26, v25, s[24:25]
	v_cndmask_b32_e32 v26, v2, v4, vcc
	v_cndmask_b32_e64 v26, v26, v6, s[6:7]
	v_cndmask_b32_e64 v26, v26, v8, s[8:9]
	;; [unrolled: 1-line block ×10, first 2 shown]
	s_waitcnt lgkmcnt(0)
	v_mul_f64 v[26:27], v[26:27], v[28:29]
	s_cbranch_execz .LBB75_186
	s_branch .LBB75_187
.LBB75_185:
                                        ; implicit-def: $vgpr26_vgpr27
.LBB75_186:
	ds_read_b64 v[26:27], v95
.LBB75_187:
	v_cmp_ne_u32_e32 vcc, 3, v0
	s_and_saveexec_b64 s[10:11], vcc
	s_cbranch_execz .LBB75_191
; %bb.188:
	v_mov_b32_e32 v28, 0x68
	v_lshl_add_u32 v30, v0, 3, v28
	s_mov_b64 s[12:13], 0
	v_mov_b64_e32 v[28:29], v[0:1]
.LBB75_189:                             ; =>This Inner Loop Header: Depth=1
	v_lshl_add_u64 v[28:29], v[28:29], 0, 1
	v_cmp_eq_u32_e32 vcc, 1, v28
	v_cmp_eq_u32_e64 s[8:9], 2, v28
	v_cmp_lt_u32_e64 s[6:7], 2, v28
	v_cndmask_b32_e32 v31, v3, v5, vcc
	v_cndmask_b32_e64 v31, v31, v7, s[8:9]
	v_cndmask_b32_e32 v35, v2, v4, vcc
	v_cmp_eq_u32_e32 vcc, 3, v28
	s_or_b64 s[12:13], s[6:7], s[12:13]
	v_cndmask_b32_e64 v35, v35, v6, s[8:9]
	v_cndmask_b32_e32 v31, v31, v9, vcc
	v_cmp_eq_u32_e64 s[6:7], 4, v28
	v_cndmask_b32_e32 v35, v35, v8, vcc
	v_cmp_eq_u32_e32 vcc, 5, v28
	v_cndmask_b32_e64 v31, v31, v11, s[6:7]
	v_cndmask_b32_e64 v35, v35, v10, s[6:7]
	v_cndmask_b32_e32 v31, v31, v13, vcc
	v_cmp_eq_u32_e64 s[6:7], 6, v28
	v_cndmask_b32_e32 v35, v35, v12, vcc
	v_cmp_eq_u32_e32 vcc, 7, v28
	v_cndmask_b32_e64 v31, v31, v15, s[6:7]
	v_cndmask_b32_e64 v35, v35, v14, s[6:7]
	v_cndmask_b32_e32 v31, v31, v17, vcc
	v_cmp_eq_u32_e64 s[6:7], 8, v28
	ds_read_b64 v[32:33], v30
	v_cndmask_b32_e32 v35, v35, v16, vcc
	v_cndmask_b32_e64 v31, v31, v19, s[6:7]
	v_cmp_eq_u32_e32 vcc, 9, v28
	v_cndmask_b32_e64 v35, v35, v18, s[6:7]
	v_cmp_eq_u32_e64 s[6:7], 10, v28
	v_cndmask_b32_e32 v31, v31, v21, vcc
	v_cndmask_b32_e32 v35, v35, v20, vcc
	v_cndmask_b32_e64 v31, v31, v23, s[6:7]
	v_cmp_eq_u32_e32 vcc, 11, v28
	v_add_u32_e32 v30, 8, v30
	s_nop 0
	v_cndmask_b32_e32 v37, v31, v25, vcc
	v_cndmask_b32_e64 v31, v35, v22, s[6:7]
	v_cndmask_b32_e32 v36, v31, v24, vcc
	s_waitcnt lgkmcnt(0)
	v_fmac_f64_e32 v[26:27], v[36:37], v[32:33]
	s_andn2_b64 exec, exec, s[12:13]
	s_cbranch_execnz .LBB75_189
; %bb.190:
	s_or_b64 exec, exec, s[12:13]
.LBB75_191:
	s_or_b64 exec, exec, s[10:11]
	v_mov_b32_e32 v10, 0
	ds_read_b64 v[10:11], v10 offset:32
	s_waitcnt lgkmcnt(0)
	v_mul_f64 v[10:11], v[26:27], v[10:11]
.LBB75_192:
	s_or_b64 exec, exec, s[26:27]
	v_cmp_gt_u32_e64 s[6:7], 5, v0
	ds_write_b64 v95, v[12:13]
	s_waitcnt lgkmcnt(0)
	; wave barrier
	s_and_saveexec_b64 s[28:29], s[6:7]
	s_cbranch_execz .LBB75_202
; %bb.193:
	s_and_b64 vcc, exec, s[0:1]
	s_cbranch_vccnz .LBB75_195
; %bb.194:
	v_cmp_eq_u32_e32 vcc, 1, v0
	v_cmp_eq_u32_e64 s[8:9], 2, v0
	v_cmp_eq_u32_e64 s[10:11], 3, v0
	v_cndmask_b32_e32 v26, v3, v5, vcc
	v_cndmask_b32_e64 v26, v26, v7, s[8:9]
	v_cndmask_b32_e64 v26, v26, v9, s[10:11]
	v_cmp_eq_u32_e64 s[12:13], 4, v0
	v_cmp_eq_u32_e64 s[14:15], 5, v0
	;; [unrolled: 1-line block ×3, first 2 shown]
	v_cndmask_b32_e64 v26, v26, v11, s[12:13]
	v_cndmask_b32_e64 v26, v26, v13, s[14:15]
	;; [unrolled: 1-line block ×3, first 2 shown]
	v_cmp_eq_u32_e64 s[18:19], 7, v0
	v_cmp_eq_u32_e64 s[20:21], 8, v0
	;; [unrolled: 1-line block ×3, first 2 shown]
	v_cndmask_b32_e64 v26, v26, v17, s[18:19]
	v_cndmask_b32_e64 v26, v26, v19, s[20:21]
	;; [unrolled: 1-line block ×3, first 2 shown]
	v_cmp_eq_u32_e64 s[24:25], 10, v0
	v_cmp_eq_u32_e64 s[26:27], 11, v0
	ds_read_b64 v[28:29], v95
	v_cndmask_b32_e64 v26, v26, v23, s[24:25]
	v_cndmask_b32_e64 v27, v26, v25, s[26:27]
	v_cndmask_b32_e32 v26, v2, v4, vcc
	v_cndmask_b32_e64 v26, v26, v6, s[8:9]
	v_cndmask_b32_e64 v26, v26, v8, s[10:11]
	;; [unrolled: 1-line block ×10, first 2 shown]
	s_waitcnt lgkmcnt(0)
	v_mul_f64 v[26:27], v[26:27], v[28:29]
	s_cbranch_execz .LBB75_196
	s_branch .LBB75_197
.LBB75_195:
                                        ; implicit-def: $vgpr26_vgpr27
.LBB75_196:
	ds_read_b64 v[26:27], v95
.LBB75_197:
	v_cmp_ne_u32_e32 vcc, 4, v0
	s_and_saveexec_b64 s[12:13], vcc
	s_cbranch_execz .LBB75_201
; %bb.198:
	v_mov_b32_e32 v28, 0x68
	v_lshl_add_u32 v30, v0, 3, v28
	s_mov_b64 s[14:15], 0
	v_mov_b64_e32 v[28:29], v[0:1]
.LBB75_199:                             ; =>This Inner Loop Header: Depth=1
	v_lshl_add_u64 v[28:29], v[28:29], 0, 1
	v_cmp_eq_u32_e32 vcc, 1, v28
	v_cmp_eq_u32_e64 s[10:11], 2, v28
	v_cmp_lt_u32_e64 s[8:9], 3, v28
	v_cndmask_b32_e32 v31, v3, v5, vcc
	v_cndmask_b32_e64 v31, v31, v7, s[10:11]
	v_cndmask_b32_e32 v35, v2, v4, vcc
	v_cmp_eq_u32_e32 vcc, 3, v28
	s_or_b64 s[14:15], s[8:9], s[14:15]
	v_cndmask_b32_e64 v35, v35, v6, s[10:11]
	v_cndmask_b32_e32 v31, v31, v9, vcc
	v_cmp_eq_u32_e64 s[8:9], 4, v28
	v_cndmask_b32_e32 v35, v35, v8, vcc
	v_cmp_eq_u32_e32 vcc, 5, v28
	v_cndmask_b32_e64 v31, v31, v11, s[8:9]
	v_cndmask_b32_e64 v35, v35, v10, s[8:9]
	v_cndmask_b32_e32 v31, v31, v13, vcc
	v_cmp_eq_u32_e64 s[8:9], 6, v28
	v_cndmask_b32_e32 v35, v35, v12, vcc
	v_cmp_eq_u32_e32 vcc, 7, v28
	v_cndmask_b32_e64 v31, v31, v15, s[8:9]
	v_cndmask_b32_e64 v35, v35, v14, s[8:9]
	v_cndmask_b32_e32 v31, v31, v17, vcc
	v_cmp_eq_u32_e64 s[8:9], 8, v28
	ds_read_b64 v[32:33], v30
	v_cndmask_b32_e32 v35, v35, v16, vcc
	v_cndmask_b32_e64 v31, v31, v19, s[8:9]
	v_cmp_eq_u32_e32 vcc, 9, v28
	v_cndmask_b32_e64 v35, v35, v18, s[8:9]
	v_cmp_eq_u32_e64 s[8:9], 10, v28
	v_cndmask_b32_e32 v31, v31, v21, vcc
	v_cndmask_b32_e32 v35, v35, v20, vcc
	v_cndmask_b32_e64 v31, v31, v23, s[8:9]
	v_cmp_eq_u32_e32 vcc, 11, v28
	v_add_u32_e32 v30, 8, v30
	s_nop 0
	v_cndmask_b32_e32 v37, v31, v25, vcc
	v_cndmask_b32_e64 v31, v35, v22, s[8:9]
	v_cndmask_b32_e32 v36, v31, v24, vcc
	s_waitcnt lgkmcnt(0)
	v_fmac_f64_e32 v[26:27], v[36:37], v[32:33]
	s_andn2_b64 exec, exec, s[14:15]
	s_cbranch_execnz .LBB75_199
; %bb.200:
	s_or_b64 exec, exec, s[14:15]
.LBB75_201:
	s_or_b64 exec, exec, s[12:13]
	v_mov_b32_e32 v12, 0
	ds_read_b64 v[12:13], v12 offset:40
	s_waitcnt lgkmcnt(0)
	v_mul_f64 v[12:13], v[26:27], v[12:13]
.LBB75_202:
	s_or_b64 exec, exec, s[28:29]
	v_cmp_gt_u32_e32 vcc, 6, v0
	ds_write_b64 v95, v[14:15]
	s_waitcnt lgkmcnt(0)
	; wave barrier
	s_and_saveexec_b64 s[28:29], vcc
	s_cbranch_execz .LBB75_212
; %bb.203:
	s_and_b64 vcc, exec, s[0:1]
	s_cbranch_vccnz .LBB75_205
; %bb.204:
	v_cmp_eq_u32_e32 vcc, 1, v0
	v_cmp_eq_u32_e64 s[8:9], 2, v0
	v_cmp_eq_u32_e64 s[10:11], 3, v0
	v_cndmask_b32_e32 v26, v3, v5, vcc
	v_cndmask_b32_e64 v26, v26, v7, s[8:9]
	v_cndmask_b32_e64 v26, v26, v9, s[10:11]
	v_cmp_eq_u32_e64 s[12:13], 4, v0
	v_cmp_eq_u32_e64 s[14:15], 5, v0
	;; [unrolled: 1-line block ×3, first 2 shown]
	v_cndmask_b32_e64 v26, v26, v11, s[12:13]
	v_cndmask_b32_e64 v26, v26, v13, s[14:15]
	;; [unrolled: 1-line block ×3, first 2 shown]
	v_cmp_eq_u32_e64 s[18:19], 7, v0
	v_cmp_eq_u32_e64 s[20:21], 8, v0
	v_cmp_eq_u32_e64 s[22:23], 9, v0
	v_cndmask_b32_e64 v26, v26, v17, s[18:19]
	v_cndmask_b32_e64 v26, v26, v19, s[20:21]
	;; [unrolled: 1-line block ×3, first 2 shown]
	v_cmp_eq_u32_e64 s[24:25], 10, v0
	v_cmp_eq_u32_e64 s[26:27], 11, v0
	ds_read_b64 v[28:29], v95
	v_cndmask_b32_e64 v26, v26, v23, s[24:25]
	v_cndmask_b32_e64 v27, v26, v25, s[26:27]
	v_cndmask_b32_e32 v26, v2, v4, vcc
	v_cndmask_b32_e64 v26, v26, v6, s[8:9]
	v_cndmask_b32_e64 v26, v26, v8, s[10:11]
	;; [unrolled: 1-line block ×10, first 2 shown]
	s_waitcnt lgkmcnt(0)
	v_mul_f64 v[26:27], v[26:27], v[28:29]
	s_cbranch_execz .LBB75_206
	s_branch .LBB75_207
.LBB75_205:
                                        ; implicit-def: $vgpr26_vgpr27
.LBB75_206:
	ds_read_b64 v[26:27], v95
.LBB75_207:
	v_cmp_ne_u32_e32 vcc, 5, v0
	s_and_saveexec_b64 s[12:13], vcc
	s_cbranch_execz .LBB75_211
; %bb.208:
	v_mov_b32_e32 v28, 0x68
	v_lshl_add_u32 v30, v0, 3, v28
	s_mov_b64 s[14:15], 0
	v_mov_b64_e32 v[28:29], v[0:1]
.LBB75_209:                             ; =>This Inner Loop Header: Depth=1
	v_lshl_add_u64 v[28:29], v[28:29], 0, 1
	v_cmp_eq_u32_e32 vcc, 1, v28
	v_cmp_eq_u32_e64 s[10:11], 2, v28
	v_cmp_lt_u32_e64 s[8:9], 4, v28
	v_cndmask_b32_e32 v31, v3, v5, vcc
	v_cndmask_b32_e64 v31, v31, v7, s[10:11]
	v_cndmask_b32_e32 v35, v2, v4, vcc
	v_cmp_eq_u32_e32 vcc, 3, v28
	s_or_b64 s[14:15], s[8:9], s[14:15]
	v_cndmask_b32_e64 v35, v35, v6, s[10:11]
	v_cndmask_b32_e32 v31, v31, v9, vcc
	v_cmp_eq_u32_e64 s[8:9], 4, v28
	v_cndmask_b32_e32 v35, v35, v8, vcc
	v_cmp_eq_u32_e32 vcc, 5, v28
	v_cndmask_b32_e64 v31, v31, v11, s[8:9]
	v_cndmask_b32_e64 v35, v35, v10, s[8:9]
	v_cndmask_b32_e32 v31, v31, v13, vcc
	v_cmp_eq_u32_e64 s[8:9], 6, v28
	v_cndmask_b32_e32 v35, v35, v12, vcc
	v_cmp_eq_u32_e32 vcc, 7, v28
	v_cndmask_b32_e64 v31, v31, v15, s[8:9]
	v_cndmask_b32_e64 v35, v35, v14, s[8:9]
	v_cndmask_b32_e32 v31, v31, v17, vcc
	v_cmp_eq_u32_e64 s[8:9], 8, v28
	ds_read_b64 v[32:33], v30
	v_cndmask_b32_e32 v35, v35, v16, vcc
	v_cndmask_b32_e64 v31, v31, v19, s[8:9]
	v_cmp_eq_u32_e32 vcc, 9, v28
	v_cndmask_b32_e64 v35, v35, v18, s[8:9]
	v_cmp_eq_u32_e64 s[8:9], 10, v28
	v_cndmask_b32_e32 v31, v31, v21, vcc
	v_cndmask_b32_e32 v35, v35, v20, vcc
	v_cndmask_b32_e64 v31, v31, v23, s[8:9]
	v_cmp_eq_u32_e32 vcc, 11, v28
	v_add_u32_e32 v30, 8, v30
	s_nop 0
	v_cndmask_b32_e32 v37, v31, v25, vcc
	v_cndmask_b32_e64 v31, v35, v22, s[8:9]
	v_cndmask_b32_e32 v36, v31, v24, vcc
	s_waitcnt lgkmcnt(0)
	v_fmac_f64_e32 v[26:27], v[36:37], v[32:33]
	s_andn2_b64 exec, exec, s[14:15]
	s_cbranch_execnz .LBB75_209
; %bb.210:
	s_or_b64 exec, exec, s[14:15]
.LBB75_211:
	s_or_b64 exec, exec, s[12:13]
	v_mov_b32_e32 v14, 0
	ds_read_b64 v[14:15], v14 offset:48
	s_waitcnt lgkmcnt(0)
	v_mul_f64 v[14:15], v[26:27], v[14:15]
.LBB75_212:
	s_or_b64 exec, exec, s[28:29]
	v_cmp_gt_u32_e64 s[8:9], 7, v0
	ds_write_b64 v95, v[16:17]
	s_waitcnt lgkmcnt(0)
	; wave barrier
	s_and_saveexec_b64 s[30:31], s[8:9]
	s_cbranch_execz .LBB75_222
; %bb.213:
	s_and_b64 vcc, exec, s[0:1]
	s_cbranch_vccnz .LBB75_215
; %bb.214:
	v_cmp_eq_u32_e32 vcc, 1, v0
	v_cmp_eq_u32_e64 s[10:11], 2, v0
	v_cmp_eq_u32_e64 s[12:13], 3, v0
	v_cndmask_b32_e32 v26, v3, v5, vcc
	v_cndmask_b32_e64 v26, v26, v7, s[10:11]
	v_cndmask_b32_e64 v26, v26, v9, s[12:13]
	v_cmp_eq_u32_e64 s[14:15], 4, v0
	v_cmp_eq_u32_e64 s[16:17], 5, v0
	;; [unrolled: 1-line block ×3, first 2 shown]
	v_cndmask_b32_e64 v26, v26, v11, s[14:15]
	v_cndmask_b32_e64 v26, v26, v13, s[16:17]
	;; [unrolled: 1-line block ×3, first 2 shown]
	v_cmp_eq_u32_e64 s[20:21], 7, v0
	v_cmp_eq_u32_e64 s[22:23], 8, v0
	;; [unrolled: 1-line block ×3, first 2 shown]
	v_cndmask_b32_e64 v26, v26, v17, s[20:21]
	v_cndmask_b32_e64 v26, v26, v19, s[22:23]
	;; [unrolled: 1-line block ×3, first 2 shown]
	v_cmp_eq_u32_e64 s[26:27], 10, v0
	v_cmp_eq_u32_e64 s[28:29], 11, v0
	ds_read_b64 v[28:29], v95
	v_cndmask_b32_e64 v26, v26, v23, s[26:27]
	v_cndmask_b32_e64 v27, v26, v25, s[28:29]
	v_cndmask_b32_e32 v26, v2, v4, vcc
	v_cndmask_b32_e64 v26, v26, v6, s[10:11]
	v_cndmask_b32_e64 v26, v26, v8, s[12:13]
	;; [unrolled: 1-line block ×10, first 2 shown]
	s_waitcnt lgkmcnt(0)
	v_mul_f64 v[26:27], v[26:27], v[28:29]
	s_cbranch_execz .LBB75_216
	s_branch .LBB75_217
.LBB75_215:
                                        ; implicit-def: $vgpr26_vgpr27
.LBB75_216:
	ds_read_b64 v[26:27], v95
.LBB75_217:
	v_cmp_ne_u32_e32 vcc, 6, v0
	s_and_saveexec_b64 s[14:15], vcc
	s_cbranch_execz .LBB75_221
; %bb.218:
	v_mov_b32_e32 v28, 0x68
	v_lshl_add_u32 v30, v0, 3, v28
	s_mov_b64 s[16:17], 0
	v_mov_b64_e32 v[28:29], v[0:1]
.LBB75_219:                             ; =>This Inner Loop Header: Depth=1
	v_lshl_add_u64 v[28:29], v[28:29], 0, 1
	v_cmp_eq_u32_e32 vcc, 1, v28
	v_cmp_eq_u32_e64 s[12:13], 2, v28
	v_cmp_lt_u32_e64 s[10:11], 5, v28
	v_cndmask_b32_e32 v31, v3, v5, vcc
	v_cndmask_b32_e64 v31, v31, v7, s[12:13]
	v_cndmask_b32_e32 v35, v2, v4, vcc
	v_cmp_eq_u32_e32 vcc, 3, v28
	s_or_b64 s[16:17], s[10:11], s[16:17]
	v_cndmask_b32_e64 v35, v35, v6, s[12:13]
	v_cndmask_b32_e32 v31, v31, v9, vcc
	v_cmp_eq_u32_e64 s[10:11], 4, v28
	v_cndmask_b32_e32 v35, v35, v8, vcc
	v_cmp_eq_u32_e32 vcc, 5, v28
	v_cndmask_b32_e64 v31, v31, v11, s[10:11]
	v_cndmask_b32_e64 v35, v35, v10, s[10:11]
	v_cndmask_b32_e32 v31, v31, v13, vcc
	v_cmp_eq_u32_e64 s[10:11], 6, v28
	v_cndmask_b32_e32 v35, v35, v12, vcc
	v_cmp_eq_u32_e32 vcc, 7, v28
	v_cndmask_b32_e64 v31, v31, v15, s[10:11]
	v_cndmask_b32_e64 v35, v35, v14, s[10:11]
	v_cndmask_b32_e32 v31, v31, v17, vcc
	v_cmp_eq_u32_e64 s[10:11], 8, v28
	ds_read_b64 v[32:33], v30
	v_cndmask_b32_e32 v35, v35, v16, vcc
	v_cndmask_b32_e64 v31, v31, v19, s[10:11]
	v_cmp_eq_u32_e32 vcc, 9, v28
	v_cndmask_b32_e64 v35, v35, v18, s[10:11]
	v_cmp_eq_u32_e64 s[10:11], 10, v28
	v_cndmask_b32_e32 v31, v31, v21, vcc
	v_cndmask_b32_e32 v35, v35, v20, vcc
	v_cndmask_b32_e64 v31, v31, v23, s[10:11]
	v_cmp_eq_u32_e32 vcc, 11, v28
	v_add_u32_e32 v30, 8, v30
	s_nop 0
	v_cndmask_b32_e32 v37, v31, v25, vcc
	v_cndmask_b32_e64 v31, v35, v22, s[10:11]
	v_cndmask_b32_e32 v36, v31, v24, vcc
	s_waitcnt lgkmcnt(0)
	v_fmac_f64_e32 v[26:27], v[36:37], v[32:33]
	s_andn2_b64 exec, exec, s[16:17]
	s_cbranch_execnz .LBB75_219
; %bb.220:
	s_or_b64 exec, exec, s[16:17]
.LBB75_221:
	s_or_b64 exec, exec, s[14:15]
	v_mov_b32_e32 v16, 0
	ds_read_b64 v[16:17], v16 offset:56
	s_waitcnt lgkmcnt(0)
	v_mul_f64 v[16:17], v[26:27], v[16:17]
.LBB75_222:
	s_or_b64 exec, exec, s[30:31]
	v_cmp_gt_u32_e32 vcc, 8, v0
	ds_write_b64 v95, v[18:19]
	s_waitcnt lgkmcnt(0)
	; wave barrier
	s_and_saveexec_b64 s[30:31], vcc
	s_cbranch_execz .LBB75_232
; %bb.223:
	s_and_b64 vcc, exec, s[0:1]
	s_cbranch_vccnz .LBB75_225
; %bb.224:
	v_cmp_eq_u32_e32 vcc, 1, v0
	v_cmp_eq_u32_e64 s[10:11], 2, v0
	v_cmp_eq_u32_e64 s[12:13], 3, v0
	v_cndmask_b32_e32 v26, v3, v5, vcc
	v_cndmask_b32_e64 v26, v26, v7, s[10:11]
	v_cndmask_b32_e64 v26, v26, v9, s[12:13]
	v_cmp_eq_u32_e64 s[14:15], 4, v0
	v_cmp_eq_u32_e64 s[16:17], 5, v0
	;; [unrolled: 1-line block ×3, first 2 shown]
	v_cndmask_b32_e64 v26, v26, v11, s[14:15]
	v_cndmask_b32_e64 v26, v26, v13, s[16:17]
	;; [unrolled: 1-line block ×3, first 2 shown]
	v_cmp_eq_u32_e64 s[20:21], 7, v0
	v_cmp_eq_u32_e64 s[22:23], 8, v0
	v_cmp_eq_u32_e64 s[24:25], 9, v0
	v_cndmask_b32_e64 v26, v26, v17, s[20:21]
	v_cndmask_b32_e64 v26, v26, v19, s[22:23]
	v_cndmask_b32_e64 v26, v26, v21, s[24:25]
	v_cmp_eq_u32_e64 s[26:27], 10, v0
	v_cmp_eq_u32_e64 s[28:29], 11, v0
	ds_read_b64 v[28:29], v95
	v_cndmask_b32_e64 v26, v26, v23, s[26:27]
	v_cndmask_b32_e64 v27, v26, v25, s[28:29]
	v_cndmask_b32_e32 v26, v2, v4, vcc
	v_cndmask_b32_e64 v26, v26, v6, s[10:11]
	v_cndmask_b32_e64 v26, v26, v8, s[12:13]
	;; [unrolled: 1-line block ×10, first 2 shown]
	s_waitcnt lgkmcnt(0)
	v_mul_f64 v[26:27], v[26:27], v[28:29]
	s_cbranch_execz .LBB75_226
	s_branch .LBB75_227
.LBB75_225:
                                        ; implicit-def: $vgpr26_vgpr27
.LBB75_226:
	ds_read_b64 v[26:27], v95
.LBB75_227:
	v_cmp_ne_u32_e32 vcc, 7, v0
	s_and_saveexec_b64 s[14:15], vcc
	s_cbranch_execz .LBB75_231
; %bb.228:
	v_mov_b32_e32 v28, 0x68
	v_lshl_add_u32 v30, v0, 3, v28
	s_mov_b64 s[16:17], 0
	v_mov_b64_e32 v[28:29], v[0:1]
.LBB75_229:                             ; =>This Inner Loop Header: Depth=1
	v_lshl_add_u64 v[28:29], v[28:29], 0, 1
	v_cmp_eq_u32_e32 vcc, 1, v28
	v_cmp_eq_u32_e64 s[12:13], 2, v28
	v_cmp_lt_u32_e64 s[10:11], 6, v28
	v_cndmask_b32_e32 v31, v3, v5, vcc
	v_cndmask_b32_e64 v31, v31, v7, s[12:13]
	v_cndmask_b32_e32 v35, v2, v4, vcc
	v_cmp_eq_u32_e32 vcc, 3, v28
	s_or_b64 s[16:17], s[10:11], s[16:17]
	v_cndmask_b32_e64 v35, v35, v6, s[12:13]
	v_cndmask_b32_e32 v31, v31, v9, vcc
	v_cmp_eq_u32_e64 s[10:11], 4, v28
	v_cndmask_b32_e32 v35, v35, v8, vcc
	v_cmp_eq_u32_e32 vcc, 5, v28
	v_cndmask_b32_e64 v31, v31, v11, s[10:11]
	v_cndmask_b32_e64 v35, v35, v10, s[10:11]
	v_cndmask_b32_e32 v31, v31, v13, vcc
	v_cmp_eq_u32_e64 s[10:11], 6, v28
	v_cndmask_b32_e32 v35, v35, v12, vcc
	v_cmp_eq_u32_e32 vcc, 7, v28
	v_cndmask_b32_e64 v31, v31, v15, s[10:11]
	v_cndmask_b32_e64 v35, v35, v14, s[10:11]
	v_cndmask_b32_e32 v31, v31, v17, vcc
	v_cmp_eq_u32_e64 s[10:11], 8, v28
	ds_read_b64 v[32:33], v30
	v_cndmask_b32_e32 v35, v35, v16, vcc
	v_cndmask_b32_e64 v31, v31, v19, s[10:11]
	v_cmp_eq_u32_e32 vcc, 9, v28
	v_cndmask_b32_e64 v35, v35, v18, s[10:11]
	v_cmp_eq_u32_e64 s[10:11], 10, v28
	v_cndmask_b32_e32 v31, v31, v21, vcc
	v_cndmask_b32_e32 v35, v35, v20, vcc
	v_cndmask_b32_e64 v31, v31, v23, s[10:11]
	v_cmp_eq_u32_e32 vcc, 11, v28
	v_add_u32_e32 v30, 8, v30
	s_nop 0
	v_cndmask_b32_e32 v37, v31, v25, vcc
	v_cndmask_b32_e64 v31, v35, v22, s[10:11]
	v_cndmask_b32_e32 v36, v31, v24, vcc
	s_waitcnt lgkmcnt(0)
	v_fmac_f64_e32 v[26:27], v[36:37], v[32:33]
	s_andn2_b64 exec, exec, s[16:17]
	s_cbranch_execnz .LBB75_229
; %bb.230:
	s_or_b64 exec, exec, s[16:17]
.LBB75_231:
	s_or_b64 exec, exec, s[14:15]
	v_mov_b32_e32 v18, 0
	ds_read_b64 v[18:19], v18 offset:64
	s_waitcnt lgkmcnt(0)
	v_mul_f64 v[18:19], v[26:27], v[18:19]
.LBB75_232:
	s_or_b64 exec, exec, s[30:31]
	v_cmp_gt_u32_e32 vcc, 9, v0
	ds_write_b64 v95, v[20:21]
	s_waitcnt lgkmcnt(0)
	; wave barrier
	s_and_saveexec_b64 s[30:31], vcc
	s_cbranch_execz .LBB75_254
; %bb.233:
	s_and_b64 vcc, exec, s[0:1]
	s_cbranch_vccnz .LBB75_235
; %bb.234:
	v_cmp_eq_u32_e32 vcc, 1, v0
	v_cmp_eq_u32_e64 s[10:11], 2, v0
	v_cmp_eq_u32_e64 s[12:13], 3, v0
	v_cndmask_b32_e32 v26, v3, v5, vcc
	v_cndmask_b32_e64 v26, v26, v7, s[10:11]
	v_cndmask_b32_e64 v26, v26, v9, s[12:13]
	v_cmp_eq_u32_e64 s[14:15], 4, v0
	v_cmp_eq_u32_e64 s[16:17], 5, v0
	v_cmp_eq_u32_e64 s[18:19], 6, v0
	v_cndmask_b32_e64 v26, v26, v11, s[14:15]
	v_cndmask_b32_e64 v26, v26, v13, s[16:17]
	;; [unrolled: 1-line block ×3, first 2 shown]
	v_cmp_eq_u32_e64 s[20:21], 7, v0
	v_cmp_eq_u32_e64 s[22:23], 8, v0
	;; [unrolled: 1-line block ×3, first 2 shown]
	v_cndmask_b32_e64 v26, v26, v17, s[20:21]
	v_cndmask_b32_e64 v26, v26, v19, s[22:23]
	;; [unrolled: 1-line block ×3, first 2 shown]
	v_cmp_eq_u32_e64 s[26:27], 10, v0
	v_cmp_eq_u32_e64 s[28:29], 11, v0
	ds_read_b64 v[28:29], v95
	v_cndmask_b32_e64 v26, v26, v23, s[26:27]
	v_cndmask_b32_e64 v27, v26, v25, s[28:29]
	v_cndmask_b32_e32 v26, v2, v4, vcc
	v_cndmask_b32_e64 v26, v26, v6, s[10:11]
	v_cndmask_b32_e64 v26, v26, v8, s[12:13]
	;; [unrolled: 1-line block ×10, first 2 shown]
	s_waitcnt lgkmcnt(0)
	v_mul_f64 v[26:27], v[26:27], v[28:29]
	s_cbranch_execz .LBB75_236
	s_branch .LBB75_237
.LBB75_235:
                                        ; implicit-def: $vgpr26_vgpr27
.LBB75_236:
	ds_read_b64 v[26:27], v95
.LBB75_237:
	v_cmp_ne_u32_e32 vcc, 8, v0
	s_and_saveexec_b64 s[34:35], vcc
	s_cbranch_execz .LBB75_253
; %bb.238:
	v_cmp_eq_u32_e32 vcc, 1, v34
	v_cmp_eq_u32_e64 s[10:11], 2, v34
	v_cmp_eq_u32_e64 s[12:13], 3, v34
	v_cndmask_b32_e32 v28, v3, v5, vcc
	v_cndmask_b32_e64 v28, v28, v7, s[10:11]
	v_cndmask_b32_e64 v28, v28, v9, s[12:13]
	v_cmp_eq_u32_e64 s[14:15], 4, v34
	v_cmp_eq_u32_e64 s[16:17], 5, v34
	;; [unrolled: 1-line block ×3, first 2 shown]
	v_cndmask_b32_e64 v28, v28, v11, s[14:15]
	v_cndmask_b32_e64 v28, v28, v13, s[16:17]
	;; [unrolled: 1-line block ×3, first 2 shown]
	v_cmp_eq_u32_e64 s[20:21], 7, v34
	v_cmp_eq_u32_e64 s[22:23], 8, v34
	v_cmp_eq_u32_e64 s[24:25], 9, v34
	v_cndmask_b32_e64 v28, v28, v17, s[20:21]
	v_cndmask_b32_e64 v28, v28, v19, s[22:23]
	;; [unrolled: 1-line block ×3, first 2 shown]
	v_cmp_eq_u32_e64 s[26:27], 10, v34
	v_cmp_eq_u32_e64 s[28:29], 11, v34
	ds_read_b64 v[30:31], v95 offset:8
	v_cndmask_b32_e64 v28, v28, v23, s[26:27]
	v_cndmask_b32_e64 v29, v28, v25, s[28:29]
	v_cndmask_b32_e32 v28, v2, v4, vcc
	v_cndmask_b32_e64 v28, v28, v6, s[10:11]
	v_cndmask_b32_e64 v28, v28, v8, s[12:13]
	;; [unrolled: 1-line block ×10, first 2 shown]
	s_waitcnt lgkmcnt(0)
	v_fmac_f64_e32 v[26:27], v[28:29], v[30:31]
	s_and_saveexec_b64 s[28:29], s[8:9]
	s_cbranch_execz .LBB75_252
; %bb.239:
	v_add_u32_e32 v28, 2, v0
	v_cmp_eq_u32_e32 vcc, 1, v28
	v_cmp_eq_u32_e64 s[8:9], 2, v28
	v_cmp_eq_u32_e64 s[10:11], 3, v28
	v_cndmask_b32_e32 v29, v3, v5, vcc
	v_cmp_eq_u32_e64 s[12:13], 4, v28
	v_cmp_eq_u32_e64 s[14:15], 5, v28
	;; [unrolled: 1-line block ×8, first 2 shown]
	v_cndmask_b32_e32 v28, v2, v4, vcc
	v_cndmask_b32_e64 v29, v29, v7, s[8:9]
	v_cndmask_b32_e64 v28, v28, v6, s[8:9]
	;; [unrolled: 1-line block ×12, first 2 shown]
	ds_read_b64 v[30:31], v95 offset:16
	v_cndmask_b32_e64 v29, v29, v19, s[20:21]
	v_cndmask_b32_e64 v28, v28, v18, s[20:21]
	;; [unrolled: 1-line block ×8, first 2 shown]
	s_waitcnt lgkmcnt(0)
	v_fmac_f64_e32 v[26:27], v[28:29], v[30:31]
	v_cmp_ne_u32_e32 vcc, 6, v0
	s_and_saveexec_b64 s[36:37], vcc
	s_cbranch_execz .LBB75_251
; %bb.240:
	v_add_u32_e32 v28, 3, v0
	v_cmp_eq_u32_e32 vcc, 1, v28
	v_cmp_eq_u32_e64 s[8:9], 2, v28
	v_cmp_eq_u32_e64 s[10:11], 3, v28
	v_cndmask_b32_e32 v29, v3, v5, vcc
	v_cmp_eq_u32_e64 s[12:13], 4, v28
	v_cmp_eq_u32_e64 s[14:15], 5, v28
	;; [unrolled: 1-line block ×8, first 2 shown]
	v_cndmask_b32_e32 v28, v2, v4, vcc
	v_cndmask_b32_e64 v29, v29, v7, s[8:9]
	v_cndmask_b32_e64 v28, v28, v6, s[8:9]
	;; [unrolled: 1-line block ×12, first 2 shown]
	ds_read_b64 v[30:31], v95 offset:24
	v_cndmask_b32_e64 v29, v29, v19, s[20:21]
	v_cndmask_b32_e64 v28, v28, v18, s[20:21]
	;; [unrolled: 1-line block ×8, first 2 shown]
	s_waitcnt lgkmcnt(0)
	v_fmac_f64_e32 v[26:27], v[28:29], v[30:31]
	s_and_saveexec_b64 s[26:27], s[6:7]
	s_cbranch_execz .LBB75_250
; %bb.241:
	v_add_u32_e32 v28, 4, v0
	v_cmp_eq_u32_e32 vcc, 1, v28
	v_cmp_eq_u32_e64 s[6:7], 2, v28
	v_cmp_eq_u32_e64 s[8:9], 3, v28
	v_cndmask_b32_e32 v29, v3, v5, vcc
	v_cmp_eq_u32_e64 s[10:11], 4, v28
	v_cmp_eq_u32_e64 s[12:13], 5, v28
	;; [unrolled: 1-line block ×8, first 2 shown]
	v_cndmask_b32_e32 v28, v2, v4, vcc
	v_cndmask_b32_e64 v29, v29, v7, s[6:7]
	v_cndmask_b32_e64 v28, v28, v6, s[6:7]
	;; [unrolled: 1-line block ×12, first 2 shown]
	ds_read_b64 v[30:31], v95 offset:32
	v_cndmask_b32_e64 v29, v29, v19, s[18:19]
	v_cndmask_b32_e64 v28, v28, v18, s[18:19]
	;; [unrolled: 1-line block ×8, first 2 shown]
	s_waitcnt lgkmcnt(0)
	v_fmac_f64_e32 v[26:27], v[28:29], v[30:31]
	v_cmp_ne_u32_e32 vcc, 4, v0
	s_and_saveexec_b64 s[38:39], vcc
	s_cbranch_execz .LBB75_249
; %bb.242:
	v_add_u32_e32 v28, 5, v0
	v_cmp_eq_u32_e32 vcc, 1, v28
	v_cmp_eq_u32_e64 s[6:7], 2, v28
	v_cmp_eq_u32_e64 s[8:9], 3, v28
	v_cndmask_b32_e32 v29, v3, v5, vcc
	v_cmp_eq_u32_e64 s[10:11], 4, v28
	v_cmp_eq_u32_e64 s[12:13], 5, v28
	v_cmp_eq_u32_e64 s[14:15], 6, v28
	v_cmp_eq_u32_e64 s[16:17], 7, v28
	v_cmp_eq_u32_e64 s[18:19], 8, v28
	v_cmp_eq_u32_e64 s[20:21], 9, v28
	v_cmp_eq_u32_e64 s[22:23], 10, v28
	v_cmp_eq_u32_e64 s[24:25], 11, v28
	v_cndmask_b32_e32 v28, v2, v4, vcc
	v_cndmask_b32_e64 v29, v29, v7, s[6:7]
	v_cndmask_b32_e64 v28, v28, v6, s[6:7]
	;; [unrolled: 1-line block ×12, first 2 shown]
	ds_read_b64 v[30:31], v95 offset:40
	v_cndmask_b32_e64 v29, v29, v19, s[18:19]
	v_cndmask_b32_e64 v28, v28, v18, s[18:19]
	;; [unrolled: 1-line block ×8, first 2 shown]
	s_waitcnt lgkmcnt(0)
	v_fmac_f64_e32 v[26:27], v[28:29], v[30:31]
	s_and_saveexec_b64 s[24:25], s[4:5]
	s_cbranch_execz .LBB75_248
; %bb.243:
	v_add_u32_e32 v28, 6, v0
	v_cmp_eq_u32_e32 vcc, 1, v28
	v_cmp_eq_u32_e64 s[4:5], 2, v28
	v_cmp_eq_u32_e64 s[6:7], 3, v28
	v_cndmask_b32_e32 v29, v3, v5, vcc
	v_cmp_eq_u32_e64 s[8:9], 4, v28
	v_cmp_eq_u32_e64 s[10:11], 5, v28
	;; [unrolled: 1-line block ×8, first 2 shown]
	v_cndmask_b32_e32 v28, v2, v4, vcc
	v_cndmask_b32_e64 v29, v29, v7, s[4:5]
	v_cndmask_b32_e64 v28, v28, v6, s[4:5]
	;; [unrolled: 1-line block ×12, first 2 shown]
	ds_read_b64 v[30:31], v95 offset:48
	v_cndmask_b32_e64 v29, v29, v19, s[16:17]
	v_cndmask_b32_e64 v28, v28, v18, s[16:17]
	;; [unrolled: 1-line block ×8, first 2 shown]
	s_waitcnt lgkmcnt(0)
	v_fmac_f64_e32 v[26:27], v[28:29], v[30:31]
	v_cmp_ne_u32_e32 vcc, 2, v0
	s_and_saveexec_b64 s[40:41], vcc
	s_cbranch_execz .LBB75_247
; %bb.244:
	v_add_u32_e32 v28, 7, v0
	v_cmp_eq_u32_e32 vcc, 1, v28
	v_cmp_eq_u32_e64 s[4:5], 2, v28
	v_cmp_eq_u32_e64 s[6:7], 3, v28
	v_cndmask_b32_e32 v29, v3, v5, vcc
	v_cndmask_b32_e64 v29, v29, v7, s[4:5]
	v_cndmask_b32_e64 v29, v29, v9, s[6:7]
	v_cmp_eq_u32_e64 s[8:9], 4, v28
	v_cmp_eq_u32_e64 s[10:11], 5, v28
	;; [unrolled: 1-line block ×8, first 2 shown]
	v_cndmask_b32_e32 v28, v2, v4, vcc
	v_cndmask_b32_e64 v29, v29, v11, s[8:9]
	v_cndmask_b32_e64 v28, v28, v6, s[4:5]
	;; [unrolled: 1-line block ×12, first 2 shown]
	ds_read_b64 v[28:29], v95 offset:56
	v_cndmask_b32_e64 v30, v30, v18, s[16:17]
	v_cndmask_b32_e64 v20, v30, v20, s[18:19]
	;; [unrolled: 1-line block ×6, first 2 shown]
	s_waitcnt lgkmcnt(0)
	v_fmac_f64_e32 v[26:27], v[20:21], v[28:29]
	s_and_saveexec_b64 s[4:5], s[2:3]
	s_cbranch_execz .LBB75_246
; %bb.245:
	ds_read_b64 v[20:21], v95 offset:64
	s_waitcnt lgkmcnt(0)
	v_fmac_f64_e32 v[26:27], v[18:19], v[20:21]
.LBB75_246:
	s_or_b64 exec, exec, s[4:5]
.LBB75_247:
	s_or_b64 exec, exec, s[40:41]
.LBB75_248:
	s_or_b64 exec, exec, s[24:25]
.LBB75_249:
	s_or_b64 exec, exec, s[38:39]
.LBB75_250:
	s_or_b64 exec, exec, s[26:27]
.LBB75_251:
	s_or_b64 exec, exec, s[36:37]
.LBB75_252:
	s_or_b64 exec, exec, s[28:29]
.LBB75_253:
	s_or_b64 exec, exec, s[34:35]
	v_mov_b32_e32 v20, 0
	ds_read_b64 v[20:21], v20 offset:72
	s_waitcnt lgkmcnt(0)
	v_mul_f64 v[20:21], v[26:27], v[20:21]
.LBB75_254:
	s_or_b64 exec, exec, s[30:31]
	v_cmp_gt_u32_e64 s[2:3], 10, v0
	ds_write_b64 v95, v[22:23]
	s_waitcnt lgkmcnt(0)
	; wave barrier
	s_and_saveexec_b64 s[24:25], s[2:3]
	s_cbranch_execz .LBB75_264
; %bb.255:
	s_and_b64 vcc, exec, s[0:1]
	s_cbranch_vccnz .LBB75_257
; %bb.256:
	v_cmp_eq_u32_e32 vcc, 1, v0
	v_cmp_eq_u32_e64 s[4:5], 2, v0
	v_cmp_eq_u32_e64 s[6:7], 3, v0
	v_cndmask_b32_e32 v26, v3, v5, vcc
	v_cndmask_b32_e64 v26, v26, v7, s[4:5]
	v_cndmask_b32_e64 v26, v26, v9, s[6:7]
	v_cmp_eq_u32_e64 s[8:9], 4, v0
	v_cmp_eq_u32_e64 s[10:11], 5, v0
	;; [unrolled: 1-line block ×3, first 2 shown]
	v_cndmask_b32_e64 v26, v26, v11, s[8:9]
	v_cndmask_b32_e64 v26, v26, v13, s[10:11]
	;; [unrolled: 1-line block ×3, first 2 shown]
	v_cmp_eq_u32_e64 s[14:15], 7, v0
	v_cmp_eq_u32_e64 s[16:17], 8, v0
	v_cmp_eq_u32_e64 s[18:19], 9, v0
	v_cndmask_b32_e64 v26, v26, v17, s[14:15]
	v_cndmask_b32_e64 v26, v26, v19, s[16:17]
	;; [unrolled: 1-line block ×3, first 2 shown]
	v_cmp_eq_u32_e64 s[20:21], 10, v0
	v_cmp_eq_u32_e64 s[22:23], 11, v0
	ds_read_b64 v[28:29], v95
	v_cndmask_b32_e64 v26, v26, v23, s[20:21]
	v_cndmask_b32_e64 v27, v26, v25, s[22:23]
	v_cndmask_b32_e32 v26, v2, v4, vcc
	v_cndmask_b32_e64 v26, v26, v6, s[4:5]
	v_cndmask_b32_e64 v26, v26, v8, s[6:7]
	;; [unrolled: 1-line block ×10, first 2 shown]
	s_waitcnt lgkmcnt(0)
	v_mul_f64 v[26:27], v[26:27], v[28:29]
	s_cbranch_execz .LBB75_258
	s_branch .LBB75_259
.LBB75_257:
                                        ; implicit-def: $vgpr26_vgpr27
.LBB75_258:
	ds_read_b64 v[26:27], v95
.LBB75_259:
	v_cmp_ne_u32_e32 vcc, 9, v0
	s_and_saveexec_b64 s[8:9], vcc
	s_cbranch_execz .LBB75_263
; %bb.260:
	v_mov_b32_e32 v28, 0x68
	v_lshl_add_u32 v30, v0, 3, v28
	s_mov_b64 s[10:11], 0
	v_mov_b64_e32 v[28:29], v[0:1]
.LBB75_261:                             ; =>This Inner Loop Header: Depth=1
	v_lshl_add_u64 v[28:29], v[28:29], 0, 1
	v_cmp_eq_u32_e32 vcc, 1, v28
	v_cmp_eq_u32_e64 s[6:7], 2, v28
	v_cmp_lt_u32_e64 s[4:5], 8, v28
	v_cndmask_b32_e32 v31, v3, v5, vcc
	v_cndmask_b32_e64 v31, v31, v7, s[6:7]
	v_cndmask_b32_e32 v34, v2, v4, vcc
	v_cmp_eq_u32_e32 vcc, 3, v28
	s_or_b64 s[10:11], s[4:5], s[10:11]
	v_cndmask_b32_e64 v34, v34, v6, s[6:7]
	v_cndmask_b32_e32 v31, v31, v9, vcc
	v_cmp_eq_u32_e64 s[4:5], 4, v28
	v_cndmask_b32_e32 v34, v34, v8, vcc
	v_cmp_eq_u32_e32 vcc, 5, v28
	v_cndmask_b32_e64 v31, v31, v11, s[4:5]
	v_cndmask_b32_e64 v34, v34, v10, s[4:5]
	v_cndmask_b32_e32 v31, v31, v13, vcc
	v_cmp_eq_u32_e64 s[4:5], 6, v28
	v_cndmask_b32_e32 v34, v34, v12, vcc
	v_cmp_eq_u32_e32 vcc, 7, v28
	v_cndmask_b32_e64 v31, v31, v15, s[4:5]
	v_cndmask_b32_e64 v34, v34, v14, s[4:5]
	v_cndmask_b32_e32 v31, v31, v17, vcc
	v_cmp_eq_u32_e64 s[4:5], 8, v28
	ds_read_b64 v[32:33], v30
	v_cndmask_b32_e32 v34, v34, v16, vcc
	v_cndmask_b32_e64 v31, v31, v19, s[4:5]
	v_cmp_eq_u32_e32 vcc, 9, v28
	v_cndmask_b32_e64 v34, v34, v18, s[4:5]
	v_cmp_eq_u32_e64 s[4:5], 10, v28
	v_cndmask_b32_e32 v31, v31, v21, vcc
	v_cndmask_b32_e32 v34, v34, v20, vcc
	v_cndmask_b32_e64 v31, v31, v23, s[4:5]
	v_cmp_eq_u32_e32 vcc, 11, v28
	v_add_u32_e32 v30, 8, v30
	s_nop 0
	v_cndmask_b32_e32 v35, v31, v25, vcc
	v_cndmask_b32_e64 v31, v34, v22, s[4:5]
	v_cndmask_b32_e32 v34, v31, v24, vcc
	s_waitcnt lgkmcnt(0)
	v_fmac_f64_e32 v[26:27], v[34:35], v[32:33]
	s_andn2_b64 exec, exec, s[10:11]
	s_cbranch_execnz .LBB75_261
; %bb.262:
	s_or_b64 exec, exec, s[10:11]
.LBB75_263:
	s_or_b64 exec, exec, s[8:9]
	v_mov_b32_e32 v22, 0
	ds_read_b64 v[22:23], v22 offset:80
	s_waitcnt lgkmcnt(0)
	v_mul_f64 v[22:23], v[26:27], v[22:23]
.LBB75_264:
	s_or_b64 exec, exec, s[24:25]
	v_cmp_ne_u32_e32 vcc, 11, v0
	ds_write_b64 v95, v[24:25]
	s_waitcnt lgkmcnt(0)
	; wave barrier
	s_and_saveexec_b64 s[22:23], vcc
	s_cbranch_execz .LBB75_274
; %bb.265:
	s_and_b64 vcc, exec, s[0:1]
	s_cbranch_vccnz .LBB75_267
; %bb.266:
	v_cmp_eq_u32_e32 vcc, 1, v0
	v_cmp_eq_u32_e64 s[0:1], 2, v0
	v_cmp_eq_u32_e64 s[4:5], 3, v0
	v_cndmask_b32_e32 v26, v3, v5, vcc
	v_cndmask_b32_e64 v26, v26, v7, s[0:1]
	v_cndmask_b32_e64 v26, v26, v9, s[4:5]
	v_cmp_eq_u32_e64 s[6:7], 4, v0
	v_cmp_eq_u32_e64 s[8:9], 5, v0
	;; [unrolled: 1-line block ×3, first 2 shown]
	v_cndmask_b32_e64 v26, v26, v11, s[6:7]
	v_cndmask_b32_e64 v26, v26, v13, s[8:9]
	;; [unrolled: 1-line block ×3, first 2 shown]
	v_cmp_eq_u32_e64 s[12:13], 7, v0
	v_cmp_eq_u32_e64 s[14:15], 8, v0
	;; [unrolled: 1-line block ×3, first 2 shown]
	v_cndmask_b32_e64 v26, v26, v17, s[12:13]
	v_cndmask_b32_e64 v26, v26, v19, s[14:15]
	;; [unrolled: 1-line block ×3, first 2 shown]
	v_cmp_eq_u32_e64 s[18:19], 10, v0
	v_cmp_eq_u32_e64 s[20:21], 11, v0
	ds_read_b64 v[28:29], v95
	v_cndmask_b32_e64 v26, v26, v23, s[18:19]
	v_cndmask_b32_e64 v27, v26, v25, s[20:21]
	v_cndmask_b32_e32 v26, v2, v4, vcc
	v_cndmask_b32_e64 v26, v26, v6, s[0:1]
	v_cndmask_b32_e64 v26, v26, v8, s[4:5]
	;; [unrolled: 1-line block ×10, first 2 shown]
	s_waitcnt lgkmcnt(0)
	v_mul_f64 v[26:27], v[26:27], v[28:29]
	s_cbranch_execz .LBB75_268
	s_branch .LBB75_269
.LBB75_267:
                                        ; implicit-def: $vgpr26_vgpr27
.LBB75_268:
	ds_read_b64 v[26:27], v95
.LBB75_269:
	s_and_saveexec_b64 s[4:5], s[2:3]
	s_cbranch_execz .LBB75_273
; %bb.270:
	v_mov_b32_e32 v28, 0x68
	v_lshl_add_u32 v28, v0, 3, v28
	s_mov_b64 s[6:7], 0
.LBB75_271:                             ; =>This Inner Loop Header: Depth=1
	v_lshl_add_u64 v[0:1], v[0:1], 0, 1
	v_cmp_eq_u32_e32 vcc, 1, v0
	v_cmp_eq_u32_e64 s[2:3], 2, v0
	v_cmp_lt_u32_e64 s[0:1], 9, v0
	v_cndmask_b32_e32 v29, v3, v5, vcc
	v_cndmask_b32_e64 v29, v29, v7, s[2:3]
	v_cndmask_b32_e32 v32, v2, v4, vcc
	v_cmp_eq_u32_e32 vcc, 3, v0
	s_or_b64 s[6:7], s[0:1], s[6:7]
	v_cndmask_b32_e64 v32, v32, v6, s[2:3]
	v_cndmask_b32_e32 v29, v29, v9, vcc
	v_cmp_eq_u32_e64 s[0:1], 4, v0
	v_cndmask_b32_e32 v32, v32, v8, vcc
	v_cmp_eq_u32_e32 vcc, 5, v0
	v_cndmask_b32_e64 v29, v29, v11, s[0:1]
	v_cndmask_b32_e64 v32, v32, v10, s[0:1]
	v_cndmask_b32_e32 v29, v29, v13, vcc
	v_cmp_eq_u32_e64 s[0:1], 6, v0
	v_cndmask_b32_e32 v32, v32, v12, vcc
	v_cmp_eq_u32_e32 vcc, 7, v0
	v_cndmask_b32_e64 v29, v29, v15, s[0:1]
	v_cndmask_b32_e64 v32, v32, v14, s[0:1]
	v_cndmask_b32_e32 v29, v29, v17, vcc
	v_cmp_eq_u32_e64 s[0:1], 8, v0
	ds_read_b64 v[30:31], v28
	v_cndmask_b32_e32 v32, v32, v16, vcc
	v_cndmask_b32_e64 v29, v29, v19, s[0:1]
	v_cmp_eq_u32_e32 vcc, 9, v0
	v_cndmask_b32_e64 v32, v32, v18, s[0:1]
	v_cmp_eq_u32_e64 s[0:1], 10, v0
	v_cndmask_b32_e32 v29, v29, v21, vcc
	v_cndmask_b32_e32 v32, v32, v20, vcc
	v_cndmask_b32_e64 v29, v29, v23, s[0:1]
	v_cmp_eq_u32_e32 vcc, 11, v0
	v_add_u32_e32 v28, 8, v28
	s_nop 0
	v_cndmask_b32_e32 v33, v29, v25, vcc
	v_cndmask_b32_e64 v29, v32, v22, s[0:1]
	v_cndmask_b32_e32 v32, v29, v24, vcc
	s_waitcnt lgkmcnt(0)
	v_fmac_f64_e32 v[26:27], v[32:33], v[30:31]
	s_andn2_b64 exec, exec, s[6:7]
	s_cbranch_execnz .LBB75_271
; %bb.272:
	s_or_b64 exec, exec, s[6:7]
.LBB75_273:
	s_or_b64 exec, exec, s[4:5]
	v_mov_b32_e32 v0, 0
	ds_read_b64 v[0:1], v0 offset:88
	s_waitcnt lgkmcnt(0)
	v_mul_f64 v[24:25], v[26:27], v[0:1]
.LBB75_274:
	s_or_b64 exec, exec, s[22:23]
	v_mov_b64_e32 v[64:65], v[32:33]
	v_mov_b64_e32 v[62:63], v[30:31]
	;; [unrolled: 1-line block ×16, first 2 shown]
.LBB75_275:
	flat_store_dwordx2 v[66:67], v[34:35]
	flat_store_dwordx2 v[68:69], v[36:37]
	;; [unrolled: 1-line block ×12, first 2 shown]
.LBB75_276:
	s_endpgm
	.section	.rodata,"a",@progbits
	.p2align	6, 0x0
	.amdhsa_kernel _ZN9rocsolver6v33100L18trti2_kernel_smallILi12EdPKPdEEv13rocblas_fill_17rocblas_diagonal_T1_iil
		.amdhsa_group_segment_fixed_size 192
		.amdhsa_private_segment_fixed_size 0
		.amdhsa_kernarg_size 32
		.amdhsa_user_sgpr_count 2
		.amdhsa_user_sgpr_dispatch_ptr 0
		.amdhsa_user_sgpr_queue_ptr 0
		.amdhsa_user_sgpr_kernarg_segment_ptr 1
		.amdhsa_user_sgpr_dispatch_id 0
		.amdhsa_user_sgpr_kernarg_preload_length 0
		.amdhsa_user_sgpr_kernarg_preload_offset 0
		.amdhsa_user_sgpr_private_segment_size 0
		.amdhsa_uses_dynamic_stack 0
		.amdhsa_enable_private_segment 0
		.amdhsa_system_sgpr_workgroup_id_x 1
		.amdhsa_system_sgpr_workgroup_id_y 0
		.amdhsa_system_sgpr_workgroup_id_z 0
		.amdhsa_system_sgpr_workgroup_info 0
		.amdhsa_system_vgpr_workitem_id 0
		.amdhsa_next_free_vgpr 118
		.amdhsa_next_free_sgpr 42
		.amdhsa_accum_offset 120
		.amdhsa_reserve_vcc 1
		.amdhsa_float_round_mode_32 0
		.amdhsa_float_round_mode_16_64 0
		.amdhsa_float_denorm_mode_32 3
		.amdhsa_float_denorm_mode_16_64 3
		.amdhsa_dx10_clamp 1
		.amdhsa_ieee_mode 1
		.amdhsa_fp16_overflow 0
		.amdhsa_tg_split 0
		.amdhsa_exception_fp_ieee_invalid_op 0
		.amdhsa_exception_fp_denorm_src 0
		.amdhsa_exception_fp_ieee_div_zero 0
		.amdhsa_exception_fp_ieee_overflow 0
		.amdhsa_exception_fp_ieee_underflow 0
		.amdhsa_exception_fp_ieee_inexact 0
		.amdhsa_exception_int_div_zero 0
	.end_amdhsa_kernel
	.section	.text._ZN9rocsolver6v33100L18trti2_kernel_smallILi12EdPKPdEEv13rocblas_fill_17rocblas_diagonal_T1_iil,"axG",@progbits,_ZN9rocsolver6v33100L18trti2_kernel_smallILi12EdPKPdEEv13rocblas_fill_17rocblas_diagonal_T1_iil,comdat
.Lfunc_end75:
	.size	_ZN9rocsolver6v33100L18trti2_kernel_smallILi12EdPKPdEEv13rocblas_fill_17rocblas_diagonal_T1_iil, .Lfunc_end75-_ZN9rocsolver6v33100L18trti2_kernel_smallILi12EdPKPdEEv13rocblas_fill_17rocblas_diagonal_T1_iil
                                        ; -- End function
	.set _ZN9rocsolver6v33100L18trti2_kernel_smallILi12EdPKPdEEv13rocblas_fill_17rocblas_diagonal_T1_iil.num_vgpr, 118
	.set _ZN9rocsolver6v33100L18trti2_kernel_smallILi12EdPKPdEEv13rocblas_fill_17rocblas_diagonal_T1_iil.num_agpr, 0
	.set _ZN9rocsolver6v33100L18trti2_kernel_smallILi12EdPKPdEEv13rocblas_fill_17rocblas_diagonal_T1_iil.numbered_sgpr, 42
	.set _ZN9rocsolver6v33100L18trti2_kernel_smallILi12EdPKPdEEv13rocblas_fill_17rocblas_diagonal_T1_iil.num_named_barrier, 0
	.set _ZN9rocsolver6v33100L18trti2_kernel_smallILi12EdPKPdEEv13rocblas_fill_17rocblas_diagonal_T1_iil.private_seg_size, 0
	.set _ZN9rocsolver6v33100L18trti2_kernel_smallILi12EdPKPdEEv13rocblas_fill_17rocblas_diagonal_T1_iil.uses_vcc, 1
	.set _ZN9rocsolver6v33100L18trti2_kernel_smallILi12EdPKPdEEv13rocblas_fill_17rocblas_diagonal_T1_iil.uses_flat_scratch, 0
	.set _ZN9rocsolver6v33100L18trti2_kernel_smallILi12EdPKPdEEv13rocblas_fill_17rocblas_diagonal_T1_iil.has_dyn_sized_stack, 0
	.set _ZN9rocsolver6v33100L18trti2_kernel_smallILi12EdPKPdEEv13rocblas_fill_17rocblas_diagonal_T1_iil.has_recursion, 0
	.set _ZN9rocsolver6v33100L18trti2_kernel_smallILi12EdPKPdEEv13rocblas_fill_17rocblas_diagonal_T1_iil.has_indirect_call, 0
	.section	.AMDGPU.csdata,"",@progbits
; Kernel info:
; codeLenInByte = 20108
; TotalNumSgprs: 48
; NumVgprs: 118
; NumAgprs: 0
; TotalNumVgprs: 118
; ScratchSize: 0
; MemoryBound: 0
; FloatMode: 240
; IeeeMode: 1
; LDSByteSize: 192 bytes/workgroup (compile time only)
; SGPRBlocks: 5
; VGPRBlocks: 14
; NumSGPRsForWavesPerEU: 48
; NumVGPRsForWavesPerEU: 118
; AccumOffset: 120
; Occupancy: 4
; WaveLimiterHint : 1
; COMPUTE_PGM_RSRC2:SCRATCH_EN: 0
; COMPUTE_PGM_RSRC2:USER_SGPR: 2
; COMPUTE_PGM_RSRC2:TRAP_HANDLER: 0
; COMPUTE_PGM_RSRC2:TGID_X_EN: 1
; COMPUTE_PGM_RSRC2:TGID_Y_EN: 0
; COMPUTE_PGM_RSRC2:TGID_Z_EN: 0
; COMPUTE_PGM_RSRC2:TIDIG_COMP_CNT: 0
; COMPUTE_PGM_RSRC3_GFX90A:ACCUM_OFFSET: 29
; COMPUTE_PGM_RSRC3_GFX90A:TG_SPLIT: 0
	.section	.text._ZN9rocsolver6v33100L18trti2_kernel_smallILi13EdPKPdEEv13rocblas_fill_17rocblas_diagonal_T1_iil,"axG",@progbits,_ZN9rocsolver6v33100L18trti2_kernel_smallILi13EdPKPdEEv13rocblas_fill_17rocblas_diagonal_T1_iil,comdat
	.globl	_ZN9rocsolver6v33100L18trti2_kernel_smallILi13EdPKPdEEv13rocblas_fill_17rocblas_diagonal_T1_iil ; -- Begin function _ZN9rocsolver6v33100L18trti2_kernel_smallILi13EdPKPdEEv13rocblas_fill_17rocblas_diagonal_T1_iil
	.p2align	8
	.type	_ZN9rocsolver6v33100L18trti2_kernel_smallILi13EdPKPdEEv13rocblas_fill_17rocblas_diagonal_T1_iil,@function
_ZN9rocsolver6v33100L18trti2_kernel_smallILi13EdPKPdEEv13rocblas_fill_17rocblas_diagonal_T1_iil: ; @_ZN9rocsolver6v33100L18trti2_kernel_smallILi13EdPKPdEEv13rocblas_fill_17rocblas_diagonal_T1_iil
; %bb.0:
	v_cmp_gt_u32_e32 vcc, 13, v0
	s_and_saveexec_b64 s[4:5], vcc
	s_cbranch_execz .LBB76_302
; %bb.1:
	s_load_dwordx2 s[4:5], s[0:1], 0x10
	s_load_dwordx4 s[24:27], s[0:1], 0x0
	s_ashr_i32 s3, s2, 31
	s_lshl_b64 s[0:1], s[2:3], 3
	v_mov_b32_e32 v1, 0
	s_waitcnt lgkmcnt(0)
	s_ashr_i32 s3, s4, 31
	s_add_u32 s0, s26, s0
	s_addc_u32 s1, s27, s1
	s_load_dwordx2 s[0:1], s[0:1], 0x0
	s_mov_b32 s2, s4
	s_lshl_b64 s[2:3], s[2:3], 3
	v_lshlrev_b32_e32 v34, 3, v0
	v_mov_b32_e32 v35, v1
	s_waitcnt lgkmcnt(0)
	s_add_u32 s0, s0, s2
	s_addc_u32 s1, s1, s3
	v_lshl_add_u64 v[66:67], s[0:1], 0, v[34:35]
	s_ashr_i32 s3, s5, 31
	s_mov_b32 s2, s5
	v_lshl_add_u64 v[68:69], s[2:3], 3, v[66:67]
	s_add_i32 s2, s5, s5
	v_add_u32_e32 v2, s2, v0
	v_add_u32_e32 v10, s5, v2
	v_ashrrev_i32_e32 v11, 31, v10
	v_lshl_add_u64 v[72:73], v[10:11], 3, s[0:1]
	v_add_u32_e32 v10, s5, v10
	v_ashrrev_i32_e32 v11, 31, v10
	v_lshl_add_u64 v[74:75], v[10:11], 3, s[0:1]
	;; [unrolled: 3-line block ×3, first 2 shown]
	v_add_u32_e32 v10, s5, v10
	v_add_u32_e32 v18, s5, v10
	v_ashrrev_i32_e32 v19, 31, v18
	v_lshl_add_u64 v[80:81], v[18:19], 3, s[0:1]
	v_add_u32_e32 v18, s5, v18
	v_ashrrev_i32_e32 v19, 31, v18
	v_lshl_add_u64 v[82:83], v[18:19], 3, s[0:1]
	;; [unrolled: 3-line block ×3, first 2 shown]
	v_add_u32_e32 v18, s5, v18
	v_add_u32_e32 v26, s5, v18
	v_ashrrev_i32_e32 v27, 31, v26
	v_ashrrev_i32_e32 v3, 31, v2
	;; [unrolled: 1-line block ×4, first 2 shown]
	v_lshl_add_u64 v[88:89], v[26:27], 3, s[0:1]
	v_add_u32_e32 v26, s5, v26
	v_lshl_add_u64 v[70:71], v[2:3], 3, s[0:1]
	flat_load_dwordx2 v[2:3], v[66:67]
	flat_load_dwordx2 v[4:5], v[68:69]
	flat_load_dwordx2 v[6:7], v[70:71]
	flat_load_dwordx2 v[8:9], v[72:73]
	v_lshl_add_u64 v[78:79], v[10:11], 3, s[0:1]
	flat_load_dwordx2 v[10:11], v[74:75]
	flat_load_dwordx2 v[12:13], v[76:77]
	flat_load_dwordx2 v[14:15], v[78:79]
	flat_load_dwordx2 v[16:17], v[80:81]
	;; [unrolled: 5-line block ×3, first 2 shown]
	v_ashrrev_i32_e32 v27, 31, v26
	v_lshl_add_u64 v[90:91], v[26:27], 3, s[0:1]
	flat_load_dwordx2 v[26:27], v[90:91]
	s_cmpk_lg_i32 s25, 0x84
	s_cselect_b64 s[26:27], -1, 0
	s_cmpk_eq_i32 s25, 0x84
	v_mov_b64_e32 v[36:37], -1.0
	s_cbranch_scc1 .LBB76_3
; %bb.2:
	v_cmp_eq_u32_e64 s[0:1], 1, v0
	v_cmp_eq_u32_e64 s[2:3], 2, v0
	;; [unrolled: 1-line block ×3, first 2 shown]
	s_waitcnt vmcnt(0) lgkmcnt(0)
	v_cndmask_b32_e64 v28, v3, v5, s[0:1]
	v_cndmask_b32_e64 v28, v28, v7, s[2:3]
	v_cndmask_b32_e64 v28, v28, v9, s[4:5]
	v_cmp_eq_u32_e64 s[6:7], 4, v0
	v_cmp_eq_u32_e64 s[8:9], 5, v0
	v_cmp_eq_u32_e64 s[10:11], 6, v0
	v_cndmask_b32_e64 v28, v28, v11, s[6:7]
	v_cndmask_b32_e64 v28, v28, v13, s[8:9]
	v_cndmask_b32_e64 v28, v28, v15, s[10:11]
	v_cmp_eq_u32_e64 s[12:13], 7, v0
	v_cmp_eq_u32_e64 s[14:15], 8, v0
	v_cmp_eq_u32_e64 s[16:17], 9, v0
	;; [unrolled: 6-line block ×3, first 2 shown]
	v_cndmask_b32_e64 v28, v28, v23, s[18:19]
	v_cndmask_b32_e64 v28, v28, v25, s[20:21]
	v_cndmask_b32_e64 v29, v28, v27, s[22:23]
	v_cndmask_b32_e64 v28, v2, v4, s[0:1]
	v_cndmask_b32_e64 v28, v28, v6, s[2:3]
	v_cndmask_b32_e64 v28, v28, v8, s[4:5]
	v_cndmask_b32_e64 v28, v28, v10, s[6:7]
	v_cndmask_b32_e64 v28, v28, v12, s[8:9]
	v_cndmask_b32_e64 v28, v28, v14, s[10:11]
	v_cndmask_b32_e64 v28, v28, v16, s[12:13]
	v_cndmask_b32_e64 v28, v28, v18, s[14:15]
	v_cndmask_b32_e64 v28, v28, v20, s[16:17]
	v_cndmask_b32_e64 v28, v28, v22, s[18:19]
	v_cndmask_b32_e64 v28, v28, v24, s[20:21]
	v_cndmask_b32_e64 v28, v28, v26, s[22:23]
	v_div_scale_f64 v[30:31], s[28:29], v[28:29], v[28:29], 1.0
	v_rcp_f64_e32 v[32:33], v[30:31]
	s_nop 0
	v_fma_f64 v[36:37], -v[30:31], v[32:33], 1.0
	v_fmac_f64_e32 v[32:33], v[32:33], v[36:37]
	v_fma_f64 v[36:37], -v[30:31], v[32:33], 1.0
	v_fmac_f64_e32 v[32:33], v[32:33], v[36:37]
	v_div_scale_f64 v[36:37], vcc, 1.0, v[28:29], 1.0
	v_mul_f64 v[38:39], v[36:37], v[32:33]
	v_fma_f64 v[30:31], -v[30:31], v[38:39], v[36:37]
	s_nop 1
	v_div_fmas_f64 v[30:31], v[30:31], v[32:33], v[38:39]
	v_div_fixup_f64 v[36:37], v[30:31], v[28:29], 1.0
	v_cmp_eq_u32_e32 vcc, 0, v0
	v_cndmask_b32_e64 v27, v27, v37, s[22:23]
	v_cndmask_b32_e64 v26, v26, v36, s[22:23]
	;; [unrolled: 1-line block ×24, first 2 shown]
	v_cndmask_b32_e32 v3, v3, v37, vcc
	v_cndmask_b32_e32 v2, v2, v36, vcc
	v_xor_b32_e32 v37, 0x80000000, v37
.LBB76_3:
	s_cmpk_eq_i32 s24, 0x79
	v_add_u32_e32 v97, 0x70, v34
	ds_write_b64 v34, v[36:37]
	s_cbranch_scc1 .LBB76_7
; %bb.4:
	s_waitcnt vmcnt(0) lgkmcnt(0)
	v_mov_b64_e32 v[64:65], v[32:33]
	v_cmp_eq_u32_e64 s[0:1], 12, v0
	v_mov_b64_e32 v[62:63], v[30:31]
	v_mov_b64_e32 v[60:61], v[28:29]
	;; [unrolled: 1-line block ×15, first 2 shown]
	ds_write_b64 v97, v[24:25]
	s_waitcnt lgkmcnt(0)
	; wave barrier
	s_and_saveexec_b64 s[24:25], s[0:1]
	s_cbranch_execz .LBB76_11
; %bb.5:
	s_and_b64 vcc, exec, s[26:27]
	s_cbranch_vccz .LBB76_8
; %bb.6:
	v_cmp_eq_u32_e32 vcc, 1, v0
	v_cmp_eq_u32_e64 s[2:3], 2, v0
	v_cmp_eq_u32_e64 s[4:5], 3, v0
	v_cndmask_b32_e32 v34, v3, v5, vcc
	v_cndmask_b32_e64 v34, v34, v7, s[2:3]
	v_cndmask_b32_e64 v34, v34, v9, s[4:5]
	v_cmp_eq_u32_e64 s[6:7], 4, v0
	v_cmp_eq_u32_e64 s[8:9], 5, v0
	v_cmp_eq_u32_e64 s[10:11], 6, v0
	v_cndmask_b32_e64 v34, v34, v11, s[6:7]
	v_cndmask_b32_e64 v34, v34, v13, s[8:9]
	v_cndmask_b32_e64 v34, v34, v15, s[10:11]
	v_cmp_eq_u32_e64 s[12:13], 7, v0
	v_cmp_eq_u32_e64 s[14:15], 8, v0
	v_cmp_eq_u32_e64 s[16:17], 9, v0
	v_cndmask_b32_e64 v34, v34, v17, s[12:13]
	;; [unrolled: 6-line block ×3, first 2 shown]
	v_cndmask_b32_e64 v34, v34, v25, s[20:21]
	v_cndmask_b32_e64 v35, v34, v27, s[22:23]
	v_cndmask_b32_e32 v34, v2, v4, vcc
	v_cndmask_b32_e64 v34, v34, v6, s[2:3]
	v_cndmask_b32_e64 v34, v34, v8, s[4:5]
	;; [unrolled: 1-line block ×7, first 2 shown]
	ds_read_b64 v[36:37], v97
	v_cndmask_b32_e64 v34, v34, v20, s[16:17]
	v_cndmask_b32_e64 v34, v34, v22, s[18:19]
	;; [unrolled: 1-line block ×4, first 2 shown]
	s_waitcnt lgkmcnt(0)
	v_mul_f64 v[38:39], v[34:35], v[36:37]
	s_cbranch_execz .LBB76_9
	s_branch .LBB76_10
.LBB76_7:
                                        ; implicit-def: $vgpr34_vgpr35_vgpr36_vgpr37_vgpr38_vgpr39_vgpr40_vgpr41_vgpr42_vgpr43_vgpr44_vgpr45_vgpr46_vgpr47_vgpr48_vgpr49_vgpr50_vgpr51_vgpr52_vgpr53_vgpr54_vgpr55_vgpr56_vgpr57_vgpr58_vgpr59_vgpr60_vgpr61_vgpr62_vgpr63_vgpr64_vgpr65
	s_cbranch_execnz .LBB76_178
	s_branch .LBB76_301
.LBB76_8:
                                        ; implicit-def: $vgpr38_vgpr39
.LBB76_9:
	ds_read_b64 v[38:39], v97
.LBB76_10:
	v_mov_b32_e32 v34, 0
	ds_read_b64 v[40:41], v34 offset:88
	v_mov_b32_e32 v34, v2
	v_mov_b32_e32 v35, v3
	;; [unrolled: 1-line block ×4, first 2 shown]
	s_waitcnt lgkmcnt(0)
	v_mul_f64 v[56:57], v[38:39], v[40:41]
	v_mov_b32_e32 v38, v6
	v_mov_b32_e32 v39, v7
	;; [unrolled: 1-line block ×20, first 2 shown]
.LBB76_11:
	s_or_b64 exec, exec, s[24:25]
	v_cmp_lt_u32_e64 s[2:3], 10, v0
	ds_write_b64 v97, v[54:55]
	s_waitcnt lgkmcnt(0)
	; wave barrier
	s_and_saveexec_b64 s[28:29], s[2:3]
	s_cbranch_execz .LBB76_17
; %bb.12:
	s_andn2_b64 vcc, exec, s[26:27]
	s_cbranch_vccnz .LBB76_14
; %bb.13:
	v_cmp_eq_u32_e32 vcc, 1, v0
	v_cmp_eq_u32_e64 s[4:5], 2, v0
	v_cmp_eq_u32_e64 s[6:7], 3, v0
	v_cndmask_b32_e32 v60, v35, v37, vcc
	v_cndmask_b32_e64 v60, v60, v39, s[4:5]
	v_cndmask_b32_e64 v60, v60, v41, s[6:7]
	v_cmp_eq_u32_e64 s[8:9], 4, v0
	v_cmp_eq_u32_e64 s[10:11], 5, v0
	v_cmp_eq_u32_e64 s[12:13], 6, v0
	v_cndmask_b32_e64 v60, v60, v43, s[8:9]
	v_cndmask_b32_e64 v60, v60, v45, s[10:11]
	v_cndmask_b32_e64 v60, v60, v47, s[12:13]
	v_cmp_eq_u32_e64 s[14:15], 7, v0
	v_cmp_eq_u32_e64 s[16:17], 8, v0
	v_cmp_eq_u32_e64 s[18:19], 9, v0
	v_cndmask_b32_e64 v60, v60, v49, s[14:15]
	;; [unrolled: 6-line block ×3, first 2 shown]
	v_cndmask_b32_e32 v60, v34, v36, vcc
	v_cndmask_b32_e64 v60, v60, v38, s[4:5]
	v_cndmask_b32_e64 v60, v60, v40, s[6:7]
	;; [unrolled: 1-line block ×7, first 2 shown]
	ds_read_b64 v[60:61], v97
	v_cndmask_b32_e64 v62, v62, v52, s[18:19]
	v_cndmask_b32_e64 v54, v62, v54, s[20:21]
	;; [unrolled: 1-line block ×6, first 2 shown]
	s_waitcnt lgkmcnt(0)
	v_mul_f64 v[54:55], v[54:55], v[60:61]
	s_cbranch_execz .LBB76_15
	s_branch .LBB76_16
.LBB76_14:
                                        ; implicit-def: $vgpr54_vgpr55
.LBB76_15:
	ds_read_b64 v[54:55], v97
.LBB76_16:
	v_mov_b32_e32 v60, 0
	ds_read2_b64 v[60:63], v60 offset0:10 offset1:25
	s_waitcnt lgkmcnt(0)
	v_fma_f64 v[62:63], v[56:57], v[62:63], v[54:55]
	v_cndmask_b32_e64 v55, v55, v63, s[0:1]
	v_cndmask_b32_e64 v54, v54, v62, s[0:1]
	v_mul_f64 v[54:55], v[54:55], v[60:61]
.LBB76_17:
	s_or_b64 exec, exec, s[28:29]
	v_cmp_lt_u32_e64 s[0:1], 9, v0
	ds_write_b64 v97, v[52:53]
	s_waitcnt lgkmcnt(0)
	; wave barrier
	s_and_saveexec_b64 s[28:29], s[0:1]
	s_cbranch_execz .LBB76_33
; %bb.18:
	s_andn2_b64 vcc, exec, s[26:27]
	s_cbranch_vccnz .LBB76_20
; %bb.19:
	v_cmp_eq_u32_e32 vcc, 1, v0
	v_cmp_eq_u32_e64 s[4:5], 2, v0
	v_cmp_eq_u32_e64 s[6:7], 3, v0
	v_cndmask_b32_e32 v92, v35, v37, vcc
	v_cndmask_b32_e64 v92, v92, v39, s[4:5]
	v_cndmask_b32_e64 v92, v92, v41, s[6:7]
	v_cmp_eq_u32_e64 s[8:9], 4, v0
	v_cmp_eq_u32_e64 s[10:11], 5, v0
	v_cmp_eq_u32_e64 s[12:13], 6, v0
	v_cndmask_b32_e64 v92, v92, v43, s[8:9]
	v_cndmask_b32_e64 v92, v92, v45, s[10:11]
	v_cndmask_b32_e64 v92, v92, v47, s[12:13]
	v_cmp_eq_u32_e64 s[14:15], 7, v0
	v_cmp_eq_u32_e64 s[16:17], 8, v0
	v_cmp_eq_u32_e64 s[18:19], 9, v0
	v_cndmask_b32_e64 v92, v92, v49, s[14:15]
	;; [unrolled: 6-line block ×3, first 2 shown]
	v_cndmask_b32_e64 v92, v92, v57, s[22:23]
	v_cndmask_b32_e64 v93, v92, v59, s[24:25]
	v_cndmask_b32_e32 v92, v34, v36, vcc
	v_cndmask_b32_e64 v92, v92, v38, s[4:5]
	v_cndmask_b32_e64 v92, v92, v40, s[6:7]
	;; [unrolled: 1-line block ×7, first 2 shown]
	ds_read_b64 v[94:95], v97
	v_cndmask_b32_e64 v92, v92, v52, s[18:19]
	v_cndmask_b32_e64 v92, v92, v54, s[20:21]
	;; [unrolled: 1-line block ×4, first 2 shown]
	s_waitcnt lgkmcnt(0)
	v_mul_f64 v[92:93], v[92:93], v[94:95]
	s_cbranch_execz .LBB76_21
	s_branch .LBB76_22
.LBB76_20:
                                        ; implicit-def: $vgpr92_vgpr93
.LBB76_21:
	ds_read_b64 v[92:93], v97
.LBB76_22:
	s_and_saveexec_b64 s[6:7], s[2:3]
	s_cbranch_execz .LBB76_32
; %bb.23:
	v_add_u32_e32 v94, -11, v0
	v_add_u32_e32 v95, -10, v0
	v_cmp_lt_u32_e32 vcc, 6, v94
	v_mov_b32_e32 v94, 10
	s_and_saveexec_b64 s[2:3], vcc
	s_cbranch_execz .LBB76_27
; %bb.24:
	v_and_b32_e32 v94, -8, v95
	v_sub_u32_e32 v96, 0, v94
	s_mov_b64 s[4:5], 17
	s_movk_i32 s10, 0xc0
	s_mov_b64 s[8:9], 0
.LBB76_25:                              ; =>This Inner Loop Header: Depth=1
	s_lshl_b32 s11, s4, 1
	s_add_i32 s12, s11, -13
	s_add_i32 s13, s11, -14
	s_set_gpr_idx_on s12, gpr_idx(SRC0)
	v_mov_b32_e32 v115, v34
	s_set_gpr_idx_off
	v_mov_b32_e32 v94, s10
	s_add_i32 s14, s11, -11
	s_set_gpr_idx_on s13, gpr_idx(SRC0)
	v_mov_b32_e32 v114, v34
	s_set_gpr_idx_off
	s_add_i32 s15, s11, -12
	ds_read_b128 v[98:101], v94
	ds_read_b128 v[102:105], v94 offset:16
	ds_read_b128 v[106:109], v94 offset:32
	;; [unrolled: 1-line block ×3, first 2 shown]
	s_set_gpr_idx_on s14, gpr_idx(SRC0)
	v_mov_b32_e32 v117, v34
	s_set_gpr_idx_off
	s_add_i32 s16, s11, -9
	s_set_gpr_idx_on s15, gpr_idx(SRC0)
	v_mov_b32_e32 v116, v34
	s_set_gpr_idx_off
	s_add_i32 s17, s11, -10
	;; [unrolled: 4-line block ×4, first 2 shown]
	s_waitcnt lgkmcnt(3)
	v_fmac_f64_e32 v[92:93], v[114:115], v[98:99]
	s_set_gpr_idx_on s18, gpr_idx(SRC0)
	v_mov_b32_e32 v99, v34
	s_set_gpr_idx_off
	s_add_i32 s20, s11, -5
	v_fmac_f64_e32 v[92:93], v[116:117], v[100:101]
	s_set_gpr_idx_on s19, gpr_idx(SRC0)
	v_mov_b32_e32 v98, v34
	s_set_gpr_idx_off
	s_add_i32 s21, s11, -6
	s_waitcnt lgkmcnt(2)
	v_fmac_f64_e32 v[92:93], v[118:119], v[102:103]
	s_set_gpr_idx_on s20, gpr_idx(SRC0)
	v_mov_b32_e32 v101, v34
	s_set_gpr_idx_off
	s_add_i32 s22, s11, -3
	v_fmac_f64_e32 v[92:93], v[98:99], v[104:105]
	s_set_gpr_idx_on s21, gpr_idx(SRC0)
	v_mov_b32_e32 v100, v34
	s_set_gpr_idx_off
	s_add_i32 s23, s11, -4
	s_waitcnt lgkmcnt(1)
	v_fmac_f64_e32 v[92:93], v[100:101], v[106:107]
	s_set_gpr_idx_on s22, gpr_idx(SRC0)
	v_mov_b32_e32 v99, v34
	s_set_gpr_idx_off
	s_add_i32 s24, s11, -1
	s_set_gpr_idx_on s23, gpr_idx(SRC0)
	v_mov_b32_e32 v98, v34
	s_set_gpr_idx_off
	s_add_i32 s25, s11, -2
	v_fmac_f64_e32 v[92:93], v[98:99], v[108:109]
	s_set_gpr_idx_on s24, gpr_idx(SRC0)
	v_mov_b32_e32 v99, v34
	s_set_gpr_idx_off
	s_add_u32 s4, s4, 8
	s_set_gpr_idx_on s25, gpr_idx(SRC0)
	v_mov_b32_e32 v98, v34
	s_set_gpr_idx_off
	v_add_u32_e32 v94, s4, v96
	s_waitcnt lgkmcnt(0)
	v_fmac_f64_e32 v[92:93], v[98:99], v[110:111]
	s_set_gpr_idx_on s11, gpr_idx(SRC0)
	v_mov_b32_e32 v99, v35
	s_set_gpr_idx_off
	s_addc_u32 s5, s5, 0
	s_add_i32 s10, s10, 64
	s_add_i32 s12, s4, -7
	v_cmp_eq_u32_e32 vcc, 17, v94
	s_set_gpr_idx_on s11, gpr_idx(SRC0)
	v_mov_b32_e32 v98, v34
	s_set_gpr_idx_off
	v_mov_b32_e32 v94, s12
	s_or_b64 s[8:9], vcc, s[8:9]
	v_fmac_f64_e32 v[92:93], v[98:99], v[112:113]
	s_andn2_b64 exec, exec, s[8:9]
	s_cbranch_execnz .LBB76_25
; %bb.26:
	s_or_b64 exec, exec, s[8:9]
.LBB76_27:
	s_or_b64 exec, exec, s[2:3]
	v_and_b32_e32 v60, 7, v95
	v_cmp_ne_u32_e32 vcc, 0, v60
	s_and_saveexec_b64 s[8:9], vcc
	s_cbranch_execz .LBB76_31
; %bb.28:
	v_mov_b32_e32 v61, 0x70
	v_lshl_add_u32 v61, v94, 3, v61
	v_mov_b32_e32 v95, 0
	s_mov_b64 s[10:11], 0
.LBB76_29:                              ; =>This Inner Loop Header: Depth=1
	v_cmp_eq_u32_e32 vcc, 1, v94
	v_add_u32_e32 v60, -1, v60
	v_cmp_eq_u32_e64 s[2:3], 2, v94
	v_cndmask_b32_e32 v64, v35, v37, vcc
	v_cndmask_b32_e32 v65, v34, v36, vcc
	v_cndmask_b32_e64 v64, v64, v39, s[2:3]
	v_cmp_eq_u32_e32 vcc, 0, v60
	v_cmp_eq_u32_e64 s[4:5], 3, v94
	v_cndmask_b32_e64 v65, v65, v38, s[2:3]
	s_or_b64 s[10:11], vcc, s[10:11]
	v_cndmask_b32_e64 v64, v64, v41, s[4:5]
	v_cmp_eq_u32_e32 vcc, 4, v94
	v_cndmask_b32_e64 v65, v65, v40, s[4:5]
	v_cmp_eq_u32_e64 s[2:3], 5, v94
	v_cndmask_b32_e32 v64, v64, v43, vcc
	v_cndmask_b32_e32 v65, v65, v42, vcc
	v_cndmask_b32_e64 v64, v64, v45, s[2:3]
	v_cmp_eq_u32_e32 vcc, 6, v94
	v_cndmask_b32_e64 v65, v65, v44, s[2:3]
	v_cmp_eq_u32_e64 s[2:3], 7, v94
	v_cndmask_b32_e32 v64, v64, v47, vcc
	v_cndmask_b32_e32 v65, v65, v46, vcc
	v_cndmask_b32_e64 v64, v64, v49, s[2:3]
	v_cmp_eq_u32_e32 vcc, 8, v94
	v_cndmask_b32_e64 v65, v65, v48, s[2:3]
	v_cmp_eq_u32_e64 s[2:3], 9, v94
	v_cndmask_b32_e32 v64, v64, v51, vcc
	ds_read_b64 v[62:63], v61
	v_cndmask_b32_e64 v64, v64, v53, s[2:3]
	v_cndmask_b32_e32 v65, v65, v50, vcc
	v_cmp_eq_u32_e32 vcc, 10, v94
	v_cndmask_b32_e64 v65, v65, v52, s[2:3]
	v_cmp_eq_u32_e64 s[2:3], 11, v94
	v_cndmask_b32_e32 v64, v64, v55, vcc
	v_cmp_eq_u32_e64 s[4:5], 12, v94
	v_cndmask_b32_e64 v64, v64, v57, s[2:3]
	v_cndmask_b32_e32 v96, v65, v54, vcc
	v_cndmask_b32_e64 v65, v64, v59, s[4:5]
	v_cndmask_b32_e64 v64, v96, v56, s[2:3]
	;; [unrolled: 1-line block ×3, first 2 shown]
	v_add_u32_e32 v61, 8, v61
	v_lshl_add_u64 v[94:95], v[94:95], 0, 1
	s_waitcnt lgkmcnt(0)
	v_fmac_f64_e32 v[92:93], v[64:65], v[62:63]
	s_andn2_b64 exec, exec, s[10:11]
	s_cbranch_execnz .LBB76_29
; %bb.30:
	s_or_b64 exec, exec, s[10:11]
.LBB76_31:
	s_or_b64 exec, exec, s[8:9]
.LBB76_32:
	s_or_b64 exec, exec, s[6:7]
	v_mov_b32_e32 v52, 0
	ds_read_b64 v[52:53], v52 offset:72
	s_waitcnt lgkmcnt(0)
	v_mul_f64 v[52:53], v[92:93], v[52:53]
.LBB76_33:
	s_or_b64 exec, exec, s[28:29]
	v_cmp_lt_u32_e64 s[2:3], 8, v0
	ds_write_b64 v97, v[50:51]
	s_waitcnt lgkmcnt(0)
	; wave barrier
	s_and_saveexec_b64 s[28:29], s[2:3]
	s_cbranch_execz .LBB76_49
; %bb.34:
	s_andn2_b64 vcc, exec, s[26:27]
	s_cbranch_vccnz .LBB76_36
; %bb.35:
	v_cmp_eq_u32_e32 vcc, 1, v0
	v_cmp_eq_u32_e64 s[4:5], 2, v0
	v_cmp_eq_u32_e64 s[6:7], 3, v0
	v_cndmask_b32_e32 v92, v35, v37, vcc
	v_cndmask_b32_e64 v92, v92, v39, s[4:5]
	v_cndmask_b32_e64 v92, v92, v41, s[6:7]
	v_cmp_eq_u32_e64 s[8:9], 4, v0
	v_cmp_eq_u32_e64 s[10:11], 5, v0
	v_cmp_eq_u32_e64 s[12:13], 6, v0
	v_cndmask_b32_e64 v92, v92, v43, s[8:9]
	v_cndmask_b32_e64 v92, v92, v45, s[10:11]
	v_cndmask_b32_e64 v92, v92, v47, s[12:13]
	v_cmp_eq_u32_e64 s[14:15], 7, v0
	v_cmp_eq_u32_e64 s[16:17], 8, v0
	v_cmp_eq_u32_e64 s[18:19], 9, v0
	v_cndmask_b32_e64 v92, v92, v49, s[14:15]
	;; [unrolled: 6-line block ×3, first 2 shown]
	v_cndmask_b32_e64 v92, v92, v57, s[22:23]
	v_cndmask_b32_e64 v93, v92, v59, s[24:25]
	v_cndmask_b32_e32 v92, v34, v36, vcc
	v_cndmask_b32_e64 v92, v92, v38, s[4:5]
	v_cndmask_b32_e64 v92, v92, v40, s[6:7]
	;; [unrolled: 1-line block ×7, first 2 shown]
	ds_read_b64 v[94:95], v97
	v_cndmask_b32_e64 v92, v92, v52, s[18:19]
	v_cndmask_b32_e64 v92, v92, v54, s[20:21]
	;; [unrolled: 1-line block ×4, first 2 shown]
	s_waitcnt lgkmcnt(0)
	v_mul_f64 v[92:93], v[92:93], v[94:95]
	s_cbranch_execz .LBB76_37
	s_branch .LBB76_38
.LBB76_36:
                                        ; implicit-def: $vgpr92_vgpr93
.LBB76_37:
	ds_read_b64 v[92:93], v97
.LBB76_38:
	s_and_saveexec_b64 s[6:7], s[0:1]
	s_cbranch_execz .LBB76_48
; %bb.39:
	v_add_u32_e32 v94, -10, v0
	v_add_u32_e32 v95, -9, v0
	v_cmp_lt_u32_e32 vcc, 6, v94
	v_mov_b32_e32 v94, 9
	s_and_saveexec_b64 s[0:1], vcc
	s_cbranch_execz .LBB76_43
; %bb.40:
	v_and_b32_e32 v94, -8, v95
	v_sub_u32_e32 v96, 0, v94
	s_mov_b64 s[4:5], 16
	s_movk_i32 s10, 0xb8
	s_mov_b64 s[8:9], 0
.LBB76_41:                              ; =>This Inner Loop Header: Depth=1
	s_lshl_b32 s11, s4, 1
	s_add_i32 s12, s11, -13
	v_mov_b32_e32 v112, s10
	s_add_i32 s13, s11, -14
	s_set_gpr_idx_on s12, gpr_idx(SRC0)
	v_mov_b32_e32 v107, v34
	s_set_gpr_idx_off
	s_add_i32 s14, s11, -11
	s_set_gpr_idx_on s13, gpr_idx(SRC0)
	v_mov_b32_e32 v106, v34
	s_set_gpr_idx_off
	ds_read2_b64 v[98:101], v112 offset1:1
	s_add_i32 s15, s11, -12
	s_set_gpr_idx_on s14, gpr_idx(SRC0)
	v_mov_b32_e32 v109, v34
	s_set_gpr_idx_off
	s_add_i32 s16, s11, -9
	s_set_gpr_idx_on s15, gpr_idx(SRC0)
	v_mov_b32_e32 v108, v34
	s_set_gpr_idx_off
	;; [unrolled: 4-line block ×4, first 2 shown]
	ds_read2_b64 v[102:105], v112 offset0:2 offset1:3
	s_add_i32 s19, s11, -8
	s_waitcnt lgkmcnt(1)
	v_fmac_f64_e32 v[92:93], v[106:107], v[98:99]
	s_set_gpr_idx_on s18, gpr_idx(SRC0)
	v_mov_b32_e32 v107, v34
	s_set_gpr_idx_off
	s_add_i32 s20, s11, -5
	v_fmac_f64_e32 v[92:93], v[108:109], v[100:101]
	s_set_gpr_idx_on s19, gpr_idx(SRC0)
	v_mov_b32_e32 v106, v34
	s_set_gpr_idx_off
	s_add_i32 s21, s11, -6
	s_set_gpr_idx_on s20, gpr_idx(SRC0)
	v_mov_b32_e32 v109, v34
	s_set_gpr_idx_off
	s_add_i32 s22, s11, -3
	;; [unrolled: 4-line block ×3, first 2 shown]
	ds_read2_b64 v[98:101], v112 offset0:4 offset1:5
	s_waitcnt lgkmcnt(1)
	v_fmac_f64_e32 v[92:93], v[110:111], v[102:103]
	s_set_gpr_idx_on s22, gpr_idx(SRC0)
	v_mov_b32_e32 v111, v34
	s_set_gpr_idx_off
	s_add_i32 s24, s11, -1
	v_fmac_f64_e32 v[92:93], v[106:107], v[104:105]
	s_set_gpr_idx_on s23, gpr_idx(SRC0)
	v_mov_b32_e32 v110, v34
	s_set_gpr_idx_off
	s_add_i32 s25, s11, -2
	s_set_gpr_idx_on s24, gpr_idx(SRC0)
	v_mov_b32_e32 v107, v34
	s_set_gpr_idx_off
	s_set_gpr_idx_on s25, gpr_idx(SRC0)
	v_mov_b32_e32 v106, v34
	s_set_gpr_idx_off
	ds_read2_b64 v[102:105], v112 offset0:6 offset1:7
	s_add_u32 s4, s4, 8
	s_waitcnt lgkmcnt(1)
	v_fmac_f64_e32 v[92:93], v[108:109], v[98:99]
	s_set_gpr_idx_on s11, gpr_idx(SRC0)
	v_mov_b32_e32 v99, v35
	s_set_gpr_idx_off
	v_add_u32_e32 v94, s4, v96
	v_fmac_f64_e32 v[92:93], v[110:111], v[100:101]
	s_set_gpr_idx_on s11, gpr_idx(SRC0)
	v_mov_b32_e32 v98, v34
	s_set_gpr_idx_off
	s_addc_u32 s5, s5, 0
	s_add_i32 s10, s10, 64
	s_add_i32 s12, s4, -7
	v_cmp_eq_u32_e32 vcc, 16, v94
	s_waitcnt lgkmcnt(0)
	v_fmac_f64_e32 v[92:93], v[106:107], v[102:103]
	v_mov_b32_e32 v94, s12
	s_or_b64 s[8:9], vcc, s[8:9]
	v_fmac_f64_e32 v[92:93], v[98:99], v[104:105]
	s_andn2_b64 exec, exec, s[8:9]
	s_cbranch_execnz .LBB76_41
; %bb.42:
	s_or_b64 exec, exec, s[8:9]
.LBB76_43:
	s_or_b64 exec, exec, s[0:1]
	v_and_b32_e32 v60, 7, v95
	v_cmp_ne_u32_e32 vcc, 0, v60
	s_and_saveexec_b64 s[8:9], vcc
	s_cbranch_execz .LBB76_47
; %bb.44:
	v_mov_b32_e32 v61, 0x70
	v_lshl_add_u32 v61, v94, 3, v61
	v_mov_b32_e32 v95, 0
	s_mov_b64 s[10:11], 0
.LBB76_45:                              ; =>This Inner Loop Header: Depth=1
	v_cmp_eq_u32_e32 vcc, 1, v94
	v_add_u32_e32 v60, -1, v60
	v_cmp_eq_u32_e64 s[0:1], 2, v94
	v_cndmask_b32_e32 v64, v35, v37, vcc
	v_cndmask_b32_e32 v65, v34, v36, vcc
	v_cndmask_b32_e64 v64, v64, v39, s[0:1]
	v_cmp_eq_u32_e32 vcc, 0, v60
	v_cmp_eq_u32_e64 s[4:5], 3, v94
	v_cndmask_b32_e64 v65, v65, v38, s[0:1]
	s_or_b64 s[10:11], vcc, s[10:11]
	v_cndmask_b32_e64 v64, v64, v41, s[4:5]
	v_cmp_eq_u32_e32 vcc, 4, v94
	v_cndmask_b32_e64 v65, v65, v40, s[4:5]
	v_cmp_eq_u32_e64 s[0:1], 5, v94
	v_cndmask_b32_e32 v64, v64, v43, vcc
	v_cndmask_b32_e32 v65, v65, v42, vcc
	v_cndmask_b32_e64 v64, v64, v45, s[0:1]
	v_cmp_eq_u32_e32 vcc, 6, v94
	v_cndmask_b32_e64 v65, v65, v44, s[0:1]
	v_cmp_eq_u32_e64 s[0:1], 7, v94
	v_cndmask_b32_e32 v64, v64, v47, vcc
	v_cndmask_b32_e32 v65, v65, v46, vcc
	v_cndmask_b32_e64 v64, v64, v49, s[0:1]
	v_cmp_eq_u32_e32 vcc, 8, v94
	v_cndmask_b32_e64 v65, v65, v48, s[0:1]
	v_cmp_eq_u32_e64 s[0:1], 9, v94
	v_cndmask_b32_e32 v64, v64, v51, vcc
	ds_read_b64 v[62:63], v61
	v_cndmask_b32_e64 v64, v64, v53, s[0:1]
	v_cndmask_b32_e32 v65, v65, v50, vcc
	v_cmp_eq_u32_e32 vcc, 10, v94
	v_cndmask_b32_e64 v65, v65, v52, s[0:1]
	v_cmp_eq_u32_e64 s[0:1], 11, v94
	v_cndmask_b32_e32 v64, v64, v55, vcc
	v_cmp_eq_u32_e64 s[4:5], 12, v94
	v_cndmask_b32_e64 v64, v64, v57, s[0:1]
	v_cndmask_b32_e32 v96, v65, v54, vcc
	v_cndmask_b32_e64 v65, v64, v59, s[4:5]
	v_cndmask_b32_e64 v64, v96, v56, s[0:1]
	;; [unrolled: 1-line block ×3, first 2 shown]
	v_add_u32_e32 v61, 8, v61
	v_lshl_add_u64 v[94:95], v[94:95], 0, 1
	s_waitcnt lgkmcnt(0)
	v_fmac_f64_e32 v[92:93], v[64:65], v[62:63]
	s_andn2_b64 exec, exec, s[10:11]
	s_cbranch_execnz .LBB76_45
; %bb.46:
	s_or_b64 exec, exec, s[10:11]
.LBB76_47:
	s_or_b64 exec, exec, s[8:9]
.LBB76_48:
	s_or_b64 exec, exec, s[6:7]
	v_mov_b32_e32 v50, 0
	ds_read_b64 v[50:51], v50 offset:64
	s_waitcnt lgkmcnt(0)
	v_mul_f64 v[50:51], v[92:93], v[50:51]
.LBB76_49:
	s_or_b64 exec, exec, s[28:29]
	v_cmp_lt_u32_e64 s[4:5], 7, v0
	ds_write_b64 v97, v[48:49]
	s_waitcnt lgkmcnt(0)
	; wave barrier
	s_and_saveexec_b64 s[28:29], s[4:5]
	s_cbranch_execz .LBB76_65
; %bb.50:
	s_andn2_b64 vcc, exec, s[26:27]
	s_cbranch_vccnz .LBB76_52
; %bb.51:
	v_cmp_eq_u32_e32 vcc, 1, v0
	v_cmp_eq_u32_e64 s[0:1], 2, v0
	v_cmp_eq_u32_e64 s[6:7], 3, v0
	v_cndmask_b32_e32 v92, v35, v37, vcc
	v_cndmask_b32_e64 v92, v92, v39, s[0:1]
	v_cndmask_b32_e64 v92, v92, v41, s[6:7]
	v_cmp_eq_u32_e64 s[8:9], 4, v0
	v_cmp_eq_u32_e64 s[10:11], 5, v0
	v_cmp_eq_u32_e64 s[12:13], 6, v0
	v_cndmask_b32_e64 v92, v92, v43, s[8:9]
	v_cndmask_b32_e64 v92, v92, v45, s[10:11]
	v_cndmask_b32_e64 v92, v92, v47, s[12:13]
	v_cmp_eq_u32_e64 s[14:15], 7, v0
	v_cmp_eq_u32_e64 s[16:17], 8, v0
	v_cmp_eq_u32_e64 s[18:19], 9, v0
	v_cndmask_b32_e64 v92, v92, v49, s[14:15]
	;; [unrolled: 6-line block ×3, first 2 shown]
	v_cndmask_b32_e64 v92, v92, v57, s[22:23]
	v_cndmask_b32_e64 v93, v92, v59, s[24:25]
	v_cndmask_b32_e32 v92, v34, v36, vcc
	v_cndmask_b32_e64 v92, v92, v38, s[0:1]
	v_cndmask_b32_e64 v92, v92, v40, s[6:7]
	;; [unrolled: 1-line block ×7, first 2 shown]
	ds_read_b64 v[94:95], v97
	v_cndmask_b32_e64 v92, v92, v52, s[18:19]
	v_cndmask_b32_e64 v92, v92, v54, s[20:21]
	;; [unrolled: 1-line block ×4, first 2 shown]
	s_waitcnt lgkmcnt(0)
	v_mul_f64 v[92:93], v[92:93], v[94:95]
	s_cbranch_execz .LBB76_53
	s_branch .LBB76_54
.LBB76_52:
                                        ; implicit-def: $vgpr92_vgpr93
.LBB76_53:
	ds_read_b64 v[92:93], v97
.LBB76_54:
	s_and_saveexec_b64 s[6:7], s[2:3]
	s_cbranch_execz .LBB76_64
; %bb.55:
	v_add_u32_e32 v94, -9, v0
	v_cmp_lt_u32_e32 vcc, 6, v94
	v_mov_b32_e32 v94, 8
	s_and_saveexec_b64 s[0:1], vcc
	s_cbranch_execz .LBB76_59
; %bb.56:
	v_and_b32_e32 v94, 8, v0
	v_sub_u32_e32 v96, 0, v94
	s_mov_b64 s[2:3], 15
	s_movk_i32 s10, 0xb0
	s_mov_b64 s[8:9], 0
.LBB76_57:                              ; =>This Inner Loop Header: Depth=1
	s_lshl_b32 s11, s2, 1
	s_add_i32 s12, s11, -13
	s_add_i32 s13, s11, -14
	s_set_gpr_idx_on s12, gpr_idx(SRC0)
	v_mov_b32_e32 v115, v34
	s_set_gpr_idx_off
	v_mov_b32_e32 v94, s10
	s_add_i32 s14, s11, -11
	s_set_gpr_idx_on s13, gpr_idx(SRC0)
	v_mov_b32_e32 v114, v34
	s_set_gpr_idx_off
	s_add_i32 s15, s11, -12
	ds_read_b128 v[98:101], v94
	ds_read_b128 v[102:105], v94 offset:16
	ds_read_b128 v[106:109], v94 offset:32
	;; [unrolled: 1-line block ×3, first 2 shown]
	s_set_gpr_idx_on s14, gpr_idx(SRC0)
	v_mov_b32_e32 v117, v34
	s_set_gpr_idx_off
	s_add_i32 s16, s11, -9
	s_set_gpr_idx_on s15, gpr_idx(SRC0)
	v_mov_b32_e32 v116, v34
	s_set_gpr_idx_off
	s_add_i32 s17, s11, -10
	;; [unrolled: 4-line block ×4, first 2 shown]
	s_waitcnt lgkmcnt(3)
	v_fmac_f64_e32 v[92:93], v[114:115], v[98:99]
	s_set_gpr_idx_on s18, gpr_idx(SRC0)
	v_mov_b32_e32 v99, v34
	s_set_gpr_idx_off
	s_add_i32 s20, s11, -5
	v_fmac_f64_e32 v[92:93], v[116:117], v[100:101]
	s_set_gpr_idx_on s19, gpr_idx(SRC0)
	v_mov_b32_e32 v98, v34
	s_set_gpr_idx_off
	s_add_i32 s21, s11, -6
	s_waitcnt lgkmcnt(2)
	v_fmac_f64_e32 v[92:93], v[118:119], v[102:103]
	s_set_gpr_idx_on s20, gpr_idx(SRC0)
	v_mov_b32_e32 v101, v34
	s_set_gpr_idx_off
	s_add_i32 s22, s11, -3
	v_fmac_f64_e32 v[92:93], v[98:99], v[104:105]
	s_set_gpr_idx_on s21, gpr_idx(SRC0)
	v_mov_b32_e32 v100, v34
	s_set_gpr_idx_off
	s_add_i32 s23, s11, -4
	s_waitcnt lgkmcnt(1)
	v_fmac_f64_e32 v[92:93], v[100:101], v[106:107]
	s_set_gpr_idx_on s22, gpr_idx(SRC0)
	v_mov_b32_e32 v99, v34
	s_set_gpr_idx_off
	s_add_i32 s24, s11, -1
	s_set_gpr_idx_on s23, gpr_idx(SRC0)
	v_mov_b32_e32 v98, v34
	s_set_gpr_idx_off
	s_add_i32 s25, s11, -2
	v_fmac_f64_e32 v[92:93], v[98:99], v[108:109]
	s_set_gpr_idx_on s24, gpr_idx(SRC0)
	v_mov_b32_e32 v99, v34
	s_set_gpr_idx_off
	s_add_u32 s2, s2, 8
	s_set_gpr_idx_on s25, gpr_idx(SRC0)
	v_mov_b32_e32 v98, v34
	s_set_gpr_idx_off
	v_add_u32_e32 v94, s2, v96
	s_waitcnt lgkmcnt(0)
	v_fmac_f64_e32 v[92:93], v[98:99], v[110:111]
	s_set_gpr_idx_on s11, gpr_idx(SRC0)
	v_mov_b32_e32 v99, v35
	s_set_gpr_idx_off
	s_addc_u32 s3, s3, 0
	s_add_i32 s10, s10, 64
	s_add_i32 s12, s2, -7
	v_cmp_eq_u32_e32 vcc, 7, v94
	s_set_gpr_idx_on s11, gpr_idx(SRC0)
	v_mov_b32_e32 v98, v34
	s_set_gpr_idx_off
	v_mov_b32_e32 v94, s12
	s_or_b64 s[8:9], vcc, s[8:9]
	v_fmac_f64_e32 v[92:93], v[98:99], v[112:113]
	s_andn2_b64 exec, exec, s[8:9]
	s_cbranch_execnz .LBB76_57
; %bb.58:
	s_or_b64 exec, exec, s[8:9]
.LBB76_59:
	s_or_b64 exec, exec, s[0:1]
	v_and_b32_e32 v60, 7, v0
	v_cmp_ne_u32_e32 vcc, 0, v60
	s_and_saveexec_b64 s[8:9], vcc
	s_cbranch_execz .LBB76_63
; %bb.60:
	v_mov_b32_e32 v61, 0x70
	v_lshl_add_u32 v61, v94, 3, v61
	v_mov_b32_e32 v95, 0
	s_mov_b64 s[10:11], 0
.LBB76_61:                              ; =>This Inner Loop Header: Depth=1
	v_cmp_eq_u32_e32 vcc, 1, v94
	v_add_u32_e32 v60, -1, v60
	v_cmp_eq_u32_e64 s[0:1], 2, v94
	v_cndmask_b32_e32 v64, v35, v37, vcc
	v_cndmask_b32_e32 v65, v34, v36, vcc
	v_cndmask_b32_e64 v64, v64, v39, s[0:1]
	v_cmp_eq_u32_e32 vcc, 0, v60
	v_cmp_eq_u32_e64 s[2:3], 3, v94
	v_cndmask_b32_e64 v65, v65, v38, s[0:1]
	s_or_b64 s[10:11], vcc, s[10:11]
	v_cndmask_b32_e64 v64, v64, v41, s[2:3]
	v_cmp_eq_u32_e32 vcc, 4, v94
	v_cndmask_b32_e64 v65, v65, v40, s[2:3]
	v_cmp_eq_u32_e64 s[0:1], 5, v94
	v_cndmask_b32_e32 v64, v64, v43, vcc
	v_cndmask_b32_e32 v65, v65, v42, vcc
	v_cndmask_b32_e64 v64, v64, v45, s[0:1]
	v_cmp_eq_u32_e32 vcc, 6, v94
	v_cndmask_b32_e64 v65, v65, v44, s[0:1]
	v_cmp_eq_u32_e64 s[0:1], 7, v94
	v_cndmask_b32_e32 v64, v64, v47, vcc
	v_cndmask_b32_e32 v65, v65, v46, vcc
	v_cndmask_b32_e64 v64, v64, v49, s[0:1]
	v_cmp_eq_u32_e32 vcc, 8, v94
	v_cndmask_b32_e64 v65, v65, v48, s[0:1]
	v_cmp_eq_u32_e64 s[0:1], 9, v94
	v_cndmask_b32_e32 v64, v64, v51, vcc
	ds_read_b64 v[62:63], v61
	v_cndmask_b32_e64 v64, v64, v53, s[0:1]
	v_cndmask_b32_e32 v65, v65, v50, vcc
	v_cmp_eq_u32_e32 vcc, 10, v94
	v_cndmask_b32_e64 v65, v65, v52, s[0:1]
	v_cmp_eq_u32_e64 s[0:1], 11, v94
	v_cndmask_b32_e32 v64, v64, v55, vcc
	v_cmp_eq_u32_e64 s[2:3], 12, v94
	v_cndmask_b32_e64 v64, v64, v57, s[0:1]
	v_cndmask_b32_e32 v96, v65, v54, vcc
	v_cndmask_b32_e64 v65, v64, v59, s[2:3]
	v_cndmask_b32_e64 v64, v96, v56, s[0:1]
	;; [unrolled: 1-line block ×3, first 2 shown]
	v_add_u32_e32 v61, 8, v61
	v_lshl_add_u64 v[94:95], v[94:95], 0, 1
	s_waitcnt lgkmcnt(0)
	v_fmac_f64_e32 v[92:93], v[64:65], v[62:63]
	s_andn2_b64 exec, exec, s[10:11]
	s_cbranch_execnz .LBB76_61
; %bb.62:
	s_or_b64 exec, exec, s[10:11]
.LBB76_63:
	s_or_b64 exec, exec, s[8:9]
.LBB76_64:
	s_or_b64 exec, exec, s[6:7]
	v_mov_b32_e32 v48, 0
	ds_read_b64 v[48:49], v48 offset:56
	s_waitcnt lgkmcnt(0)
	v_mul_f64 v[48:49], v[92:93], v[48:49]
.LBB76_65:
	s_or_b64 exec, exec, s[28:29]
	v_cmp_lt_u32_e64 s[0:1], 6, v0
	ds_write_b64 v97, v[46:47]
	s_waitcnt lgkmcnt(0)
	; wave barrier
	s_and_saveexec_b64 s[28:29], s[0:1]
	s_cbranch_execz .LBB76_81
; %bb.66:
	s_andn2_b64 vcc, exec, s[26:27]
	s_cbranch_vccnz .LBB76_68
; %bb.67:
	v_cmp_eq_u32_e32 vcc, 1, v0
	v_cmp_eq_u32_e64 s[2:3], 2, v0
	v_cmp_eq_u32_e64 s[6:7], 3, v0
	v_cndmask_b32_e32 v92, v35, v37, vcc
	v_cndmask_b32_e64 v92, v92, v39, s[2:3]
	v_cndmask_b32_e64 v92, v92, v41, s[6:7]
	v_cmp_eq_u32_e64 s[8:9], 4, v0
	v_cmp_eq_u32_e64 s[10:11], 5, v0
	v_cmp_eq_u32_e64 s[12:13], 6, v0
	v_cndmask_b32_e64 v92, v92, v43, s[8:9]
	v_cndmask_b32_e64 v92, v92, v45, s[10:11]
	v_cndmask_b32_e64 v92, v92, v47, s[12:13]
	v_cmp_eq_u32_e64 s[14:15], 7, v0
	v_cmp_eq_u32_e64 s[16:17], 8, v0
	v_cmp_eq_u32_e64 s[18:19], 9, v0
	v_cndmask_b32_e64 v92, v92, v49, s[14:15]
	;; [unrolled: 6-line block ×3, first 2 shown]
	v_cndmask_b32_e64 v92, v92, v57, s[22:23]
	v_cndmask_b32_e64 v93, v92, v59, s[24:25]
	v_cndmask_b32_e32 v92, v34, v36, vcc
	v_cndmask_b32_e64 v92, v92, v38, s[2:3]
	v_cndmask_b32_e64 v92, v92, v40, s[6:7]
	;; [unrolled: 1-line block ×7, first 2 shown]
	ds_read_b64 v[94:95], v97
	v_cndmask_b32_e64 v92, v92, v52, s[18:19]
	v_cndmask_b32_e64 v92, v92, v54, s[20:21]
	;; [unrolled: 1-line block ×4, first 2 shown]
	s_waitcnt lgkmcnt(0)
	v_mul_f64 v[92:93], v[92:93], v[94:95]
	s_cbranch_execz .LBB76_69
	s_branch .LBB76_70
.LBB76_68:
                                        ; implicit-def: $vgpr92_vgpr93
.LBB76_69:
	ds_read_b64 v[92:93], v97
.LBB76_70:
	s_and_saveexec_b64 s[6:7], s[4:5]
	s_cbranch_execz .LBB76_80
; %bb.71:
	v_add_u32_e32 v94, -8, v0
	v_add_u32_e32 v95, -7, v0
	v_cmp_lt_u32_e32 vcc, 6, v94
	v_mov_b32_e32 v94, 7
	s_and_saveexec_b64 s[2:3], vcc
	s_cbranch_execz .LBB76_75
; %bb.72:
	v_and_b32_e32 v94, -8, v95
	v_sub_u32_e32 v96, 0, v94
	s_mov_b64 s[4:5], 14
	s_movk_i32 s10, 0xa8
	s_mov_b64 s[8:9], 0
.LBB76_73:                              ; =>This Inner Loop Header: Depth=1
	s_lshl_b32 s11, s4, 1
	s_add_i32 s12, s11, -13
	v_mov_b32_e32 v112, s10
	s_add_i32 s13, s11, -14
	s_set_gpr_idx_on s12, gpr_idx(SRC0)
	v_mov_b32_e32 v107, v34
	s_set_gpr_idx_off
	s_add_i32 s14, s11, -11
	s_set_gpr_idx_on s13, gpr_idx(SRC0)
	v_mov_b32_e32 v106, v34
	s_set_gpr_idx_off
	ds_read2_b64 v[98:101], v112 offset1:1
	s_add_i32 s15, s11, -12
	s_set_gpr_idx_on s14, gpr_idx(SRC0)
	v_mov_b32_e32 v109, v34
	s_set_gpr_idx_off
	s_add_i32 s16, s11, -9
	s_set_gpr_idx_on s15, gpr_idx(SRC0)
	v_mov_b32_e32 v108, v34
	s_set_gpr_idx_off
	s_add_i32 s17, s11, -10
	s_set_gpr_idx_on s16, gpr_idx(SRC0)
	v_mov_b32_e32 v111, v34
	s_set_gpr_idx_off
	s_add_i32 s18, s11, -7
	s_set_gpr_idx_on s17, gpr_idx(SRC0)
	v_mov_b32_e32 v110, v34
	s_set_gpr_idx_off
	ds_read2_b64 v[102:105], v112 offset0:2 offset1:3
	s_add_i32 s19, s11, -8
	s_waitcnt lgkmcnt(1)
	v_fmac_f64_e32 v[92:93], v[106:107], v[98:99]
	s_set_gpr_idx_on s18, gpr_idx(SRC0)
	v_mov_b32_e32 v107, v34
	s_set_gpr_idx_off
	s_add_i32 s20, s11, -5
	v_fmac_f64_e32 v[92:93], v[108:109], v[100:101]
	s_set_gpr_idx_on s19, gpr_idx(SRC0)
	v_mov_b32_e32 v106, v34
	s_set_gpr_idx_off
	s_add_i32 s21, s11, -6
	s_set_gpr_idx_on s20, gpr_idx(SRC0)
	v_mov_b32_e32 v109, v34
	s_set_gpr_idx_off
	s_add_i32 s22, s11, -3
	;; [unrolled: 4-line block ×3, first 2 shown]
	ds_read2_b64 v[98:101], v112 offset0:4 offset1:5
	s_waitcnt lgkmcnt(1)
	v_fmac_f64_e32 v[92:93], v[110:111], v[102:103]
	s_set_gpr_idx_on s22, gpr_idx(SRC0)
	v_mov_b32_e32 v111, v34
	s_set_gpr_idx_off
	s_add_i32 s24, s11, -1
	v_fmac_f64_e32 v[92:93], v[106:107], v[104:105]
	s_set_gpr_idx_on s23, gpr_idx(SRC0)
	v_mov_b32_e32 v110, v34
	s_set_gpr_idx_off
	s_add_i32 s25, s11, -2
	s_set_gpr_idx_on s24, gpr_idx(SRC0)
	v_mov_b32_e32 v107, v34
	s_set_gpr_idx_off
	s_set_gpr_idx_on s25, gpr_idx(SRC0)
	v_mov_b32_e32 v106, v34
	s_set_gpr_idx_off
	ds_read2_b64 v[102:105], v112 offset0:6 offset1:7
	s_add_u32 s4, s4, 8
	s_waitcnt lgkmcnt(1)
	v_fmac_f64_e32 v[92:93], v[108:109], v[98:99]
	s_set_gpr_idx_on s11, gpr_idx(SRC0)
	v_mov_b32_e32 v99, v35
	s_set_gpr_idx_off
	v_add_u32_e32 v94, s4, v96
	v_fmac_f64_e32 v[92:93], v[110:111], v[100:101]
	s_set_gpr_idx_on s11, gpr_idx(SRC0)
	v_mov_b32_e32 v98, v34
	s_set_gpr_idx_off
	s_addc_u32 s5, s5, 0
	s_add_i32 s10, s10, 64
	s_add_i32 s12, s4, -7
	v_cmp_eq_u32_e32 vcc, 14, v94
	s_waitcnt lgkmcnt(0)
	v_fmac_f64_e32 v[92:93], v[106:107], v[102:103]
	v_mov_b32_e32 v94, s12
	s_or_b64 s[8:9], vcc, s[8:9]
	v_fmac_f64_e32 v[92:93], v[98:99], v[104:105]
	s_andn2_b64 exec, exec, s[8:9]
	s_cbranch_execnz .LBB76_73
; %bb.74:
	s_or_b64 exec, exec, s[8:9]
.LBB76_75:
	s_or_b64 exec, exec, s[2:3]
	v_and_b32_e32 v60, 7, v95
	v_cmp_ne_u32_e32 vcc, 0, v60
	s_and_saveexec_b64 s[8:9], vcc
	s_cbranch_execz .LBB76_79
; %bb.76:
	v_mov_b32_e32 v61, 0x70
	v_lshl_add_u32 v61, v94, 3, v61
	v_mov_b32_e32 v95, 0
	s_mov_b64 s[10:11], 0
.LBB76_77:                              ; =>This Inner Loop Header: Depth=1
	v_cmp_eq_u32_e32 vcc, 1, v94
	v_add_u32_e32 v60, -1, v60
	v_cmp_eq_u32_e64 s[2:3], 2, v94
	v_cndmask_b32_e32 v64, v35, v37, vcc
	v_cndmask_b32_e32 v65, v34, v36, vcc
	v_cndmask_b32_e64 v64, v64, v39, s[2:3]
	v_cmp_eq_u32_e32 vcc, 0, v60
	v_cmp_eq_u32_e64 s[4:5], 3, v94
	v_cndmask_b32_e64 v65, v65, v38, s[2:3]
	s_or_b64 s[10:11], vcc, s[10:11]
	v_cndmask_b32_e64 v64, v64, v41, s[4:5]
	v_cmp_eq_u32_e32 vcc, 4, v94
	v_cndmask_b32_e64 v65, v65, v40, s[4:5]
	v_cmp_eq_u32_e64 s[2:3], 5, v94
	v_cndmask_b32_e32 v64, v64, v43, vcc
	v_cndmask_b32_e32 v65, v65, v42, vcc
	v_cndmask_b32_e64 v64, v64, v45, s[2:3]
	v_cmp_eq_u32_e32 vcc, 6, v94
	v_cndmask_b32_e64 v65, v65, v44, s[2:3]
	v_cmp_eq_u32_e64 s[2:3], 7, v94
	v_cndmask_b32_e32 v64, v64, v47, vcc
	v_cndmask_b32_e32 v65, v65, v46, vcc
	v_cndmask_b32_e64 v64, v64, v49, s[2:3]
	v_cmp_eq_u32_e32 vcc, 8, v94
	v_cndmask_b32_e64 v65, v65, v48, s[2:3]
	v_cmp_eq_u32_e64 s[2:3], 9, v94
	v_cndmask_b32_e32 v64, v64, v51, vcc
	ds_read_b64 v[62:63], v61
	v_cndmask_b32_e64 v64, v64, v53, s[2:3]
	v_cndmask_b32_e32 v65, v65, v50, vcc
	v_cmp_eq_u32_e32 vcc, 10, v94
	v_cndmask_b32_e64 v65, v65, v52, s[2:3]
	v_cmp_eq_u32_e64 s[2:3], 11, v94
	v_cndmask_b32_e32 v64, v64, v55, vcc
	v_cmp_eq_u32_e64 s[4:5], 12, v94
	v_cndmask_b32_e64 v64, v64, v57, s[2:3]
	v_cndmask_b32_e32 v96, v65, v54, vcc
	v_cndmask_b32_e64 v65, v64, v59, s[4:5]
	v_cndmask_b32_e64 v64, v96, v56, s[2:3]
	;; [unrolled: 1-line block ×3, first 2 shown]
	v_add_u32_e32 v61, 8, v61
	v_lshl_add_u64 v[94:95], v[94:95], 0, 1
	s_waitcnt lgkmcnt(0)
	v_fmac_f64_e32 v[92:93], v[64:65], v[62:63]
	s_andn2_b64 exec, exec, s[10:11]
	s_cbranch_execnz .LBB76_77
; %bb.78:
	s_or_b64 exec, exec, s[10:11]
.LBB76_79:
	s_or_b64 exec, exec, s[8:9]
.LBB76_80:
	s_or_b64 exec, exec, s[6:7]
	v_mov_b32_e32 v46, 0
	ds_read_b64 v[46:47], v46 offset:48
	s_waitcnt lgkmcnt(0)
	v_mul_f64 v[46:47], v[92:93], v[46:47]
.LBB76_81:
	s_or_b64 exec, exec, s[28:29]
	v_cmp_lt_u32_e64 s[2:3], 5, v0
	ds_write_b64 v97, v[44:45]
	s_waitcnt lgkmcnt(0)
	; wave barrier
	s_and_saveexec_b64 s[28:29], s[2:3]
	s_cbranch_execz .LBB76_97
; %bb.82:
	s_andn2_b64 vcc, exec, s[26:27]
	s_cbranch_vccnz .LBB76_84
; %bb.83:
	v_cmp_eq_u32_e32 vcc, 1, v0
	v_cmp_eq_u32_e64 s[4:5], 2, v0
	v_cmp_eq_u32_e64 s[6:7], 3, v0
	v_cndmask_b32_e32 v92, v35, v37, vcc
	v_cndmask_b32_e64 v92, v92, v39, s[4:5]
	v_cndmask_b32_e64 v92, v92, v41, s[6:7]
	v_cmp_eq_u32_e64 s[8:9], 4, v0
	v_cmp_eq_u32_e64 s[10:11], 5, v0
	v_cmp_eq_u32_e64 s[12:13], 6, v0
	v_cndmask_b32_e64 v92, v92, v43, s[8:9]
	v_cndmask_b32_e64 v92, v92, v45, s[10:11]
	v_cndmask_b32_e64 v92, v92, v47, s[12:13]
	v_cmp_eq_u32_e64 s[14:15], 7, v0
	v_cmp_eq_u32_e64 s[16:17], 8, v0
	v_cmp_eq_u32_e64 s[18:19], 9, v0
	v_cndmask_b32_e64 v92, v92, v49, s[14:15]
	;; [unrolled: 6-line block ×3, first 2 shown]
	v_cndmask_b32_e64 v92, v92, v57, s[22:23]
	v_cndmask_b32_e64 v93, v92, v59, s[24:25]
	v_cndmask_b32_e32 v92, v34, v36, vcc
	v_cndmask_b32_e64 v92, v92, v38, s[4:5]
	v_cndmask_b32_e64 v92, v92, v40, s[6:7]
	;; [unrolled: 1-line block ×7, first 2 shown]
	ds_read_b64 v[94:95], v97
	v_cndmask_b32_e64 v92, v92, v52, s[18:19]
	v_cndmask_b32_e64 v92, v92, v54, s[20:21]
	;; [unrolled: 1-line block ×4, first 2 shown]
	s_waitcnt lgkmcnt(0)
	v_mul_f64 v[92:93], v[92:93], v[94:95]
	s_cbranch_execz .LBB76_85
	s_branch .LBB76_86
.LBB76_84:
                                        ; implicit-def: $vgpr92_vgpr93
.LBB76_85:
	ds_read_b64 v[92:93], v97
.LBB76_86:
	s_and_saveexec_b64 s[6:7], s[0:1]
	s_cbranch_execz .LBB76_96
; %bb.87:
	v_add_u32_e32 v96, -7, v0
	v_add_u32_e32 v95, -6, v0
	v_mov_b32_e32 v94, 6
	v_cmp_lt_u32_e32 vcc, 6, v96
	s_and_saveexec_b64 s[0:1], vcc
	s_cbranch_execz .LBB76_91
; %bb.88:
	v_and_b32_e32 v94, -8, v95
	v_sub_u32_e32 v96, 0, v94
	s_mov_b64 s[4:5], 13
	s_movk_i32 s10, 0xa0
	s_mov_b64 s[8:9], 0
.LBB76_89:                              ; =>This Inner Loop Header: Depth=1
	s_lshl_b32 s11, s4, 1
	s_add_i32 s12, s11, -13
	s_add_i32 s13, s11, -14
	s_set_gpr_idx_on s12, gpr_idx(SRC0)
	v_mov_b32_e32 v115, v34
	s_set_gpr_idx_off
	v_mov_b32_e32 v94, s10
	s_add_i32 s14, s11, -11
	s_set_gpr_idx_on s13, gpr_idx(SRC0)
	v_mov_b32_e32 v114, v34
	s_set_gpr_idx_off
	s_add_i32 s15, s11, -12
	ds_read_b128 v[98:101], v94
	ds_read_b128 v[102:105], v94 offset:16
	ds_read_b128 v[106:109], v94 offset:32
	;; [unrolled: 1-line block ×3, first 2 shown]
	s_set_gpr_idx_on s14, gpr_idx(SRC0)
	v_mov_b32_e32 v117, v34
	s_set_gpr_idx_off
	s_add_i32 s16, s11, -9
	s_set_gpr_idx_on s15, gpr_idx(SRC0)
	v_mov_b32_e32 v116, v34
	s_set_gpr_idx_off
	s_add_i32 s17, s11, -10
	;; [unrolled: 4-line block ×4, first 2 shown]
	s_waitcnt lgkmcnt(3)
	v_fmac_f64_e32 v[92:93], v[114:115], v[98:99]
	s_set_gpr_idx_on s18, gpr_idx(SRC0)
	v_mov_b32_e32 v99, v34
	s_set_gpr_idx_off
	s_add_i32 s20, s11, -5
	v_fmac_f64_e32 v[92:93], v[116:117], v[100:101]
	s_set_gpr_idx_on s19, gpr_idx(SRC0)
	v_mov_b32_e32 v98, v34
	s_set_gpr_idx_off
	s_add_i32 s21, s11, -6
	s_waitcnt lgkmcnt(2)
	v_fmac_f64_e32 v[92:93], v[118:119], v[102:103]
	s_set_gpr_idx_on s20, gpr_idx(SRC0)
	v_mov_b32_e32 v101, v34
	s_set_gpr_idx_off
	s_add_i32 s22, s11, -3
	v_fmac_f64_e32 v[92:93], v[98:99], v[104:105]
	s_set_gpr_idx_on s21, gpr_idx(SRC0)
	v_mov_b32_e32 v100, v34
	s_set_gpr_idx_off
	s_add_i32 s23, s11, -4
	s_waitcnt lgkmcnt(1)
	v_fmac_f64_e32 v[92:93], v[100:101], v[106:107]
	s_set_gpr_idx_on s22, gpr_idx(SRC0)
	v_mov_b32_e32 v99, v34
	s_set_gpr_idx_off
	s_add_i32 s24, s11, -1
	s_set_gpr_idx_on s23, gpr_idx(SRC0)
	v_mov_b32_e32 v98, v34
	s_set_gpr_idx_off
	s_add_i32 s25, s11, -2
	v_fmac_f64_e32 v[92:93], v[98:99], v[108:109]
	s_set_gpr_idx_on s24, gpr_idx(SRC0)
	v_mov_b32_e32 v99, v34
	s_set_gpr_idx_off
	s_add_u32 s4, s4, 8
	s_set_gpr_idx_on s25, gpr_idx(SRC0)
	v_mov_b32_e32 v98, v34
	s_set_gpr_idx_off
	v_add_u32_e32 v94, s4, v96
	s_waitcnt lgkmcnt(0)
	v_fmac_f64_e32 v[92:93], v[98:99], v[110:111]
	s_set_gpr_idx_on s11, gpr_idx(SRC0)
	v_mov_b32_e32 v99, v35
	s_set_gpr_idx_off
	s_addc_u32 s5, s5, 0
	s_add_i32 s10, s10, 64
	s_add_i32 s12, s4, -7
	v_cmp_eq_u32_e32 vcc, 13, v94
	s_set_gpr_idx_on s11, gpr_idx(SRC0)
	v_mov_b32_e32 v98, v34
	s_set_gpr_idx_off
	v_mov_b32_e32 v94, s12
	s_or_b64 s[8:9], vcc, s[8:9]
	v_fmac_f64_e32 v[92:93], v[98:99], v[112:113]
	s_andn2_b64 exec, exec, s[8:9]
	s_cbranch_execnz .LBB76_89
; %bb.90:
	s_or_b64 exec, exec, s[8:9]
.LBB76_91:
	s_or_b64 exec, exec, s[0:1]
	v_and_b32_e32 v60, 7, v95
	v_cmp_ne_u32_e32 vcc, 0, v60
	s_and_saveexec_b64 s[8:9], vcc
	s_cbranch_execz .LBB76_95
; %bb.92:
	v_mov_b32_e32 v61, 0x70
	v_lshl_add_u32 v61, v94, 3, v61
	v_mov_b32_e32 v95, 0
	s_mov_b64 s[10:11], 0
.LBB76_93:                              ; =>This Inner Loop Header: Depth=1
	v_cmp_eq_u32_e32 vcc, 1, v94
	v_add_u32_e32 v60, -1, v60
	v_cmp_eq_u32_e64 s[0:1], 2, v94
	v_cndmask_b32_e32 v64, v35, v37, vcc
	v_cndmask_b32_e32 v65, v34, v36, vcc
	v_cndmask_b32_e64 v64, v64, v39, s[0:1]
	v_cmp_eq_u32_e32 vcc, 0, v60
	v_cmp_eq_u32_e64 s[4:5], 3, v94
	v_cndmask_b32_e64 v65, v65, v38, s[0:1]
	s_or_b64 s[10:11], vcc, s[10:11]
	v_cndmask_b32_e64 v64, v64, v41, s[4:5]
	v_cmp_eq_u32_e32 vcc, 4, v94
	v_cndmask_b32_e64 v65, v65, v40, s[4:5]
	v_cmp_eq_u32_e64 s[0:1], 5, v94
	v_cndmask_b32_e32 v64, v64, v43, vcc
	v_cndmask_b32_e32 v65, v65, v42, vcc
	v_cndmask_b32_e64 v64, v64, v45, s[0:1]
	v_cmp_eq_u32_e32 vcc, 6, v94
	v_cndmask_b32_e64 v65, v65, v44, s[0:1]
	v_cmp_eq_u32_e64 s[0:1], 7, v94
	v_cndmask_b32_e32 v64, v64, v47, vcc
	v_cndmask_b32_e32 v65, v65, v46, vcc
	v_cndmask_b32_e64 v64, v64, v49, s[0:1]
	v_cmp_eq_u32_e32 vcc, 8, v94
	v_cndmask_b32_e64 v65, v65, v48, s[0:1]
	v_cmp_eq_u32_e64 s[0:1], 9, v94
	v_cndmask_b32_e32 v64, v64, v51, vcc
	ds_read_b64 v[62:63], v61
	v_cndmask_b32_e64 v64, v64, v53, s[0:1]
	v_cndmask_b32_e32 v65, v65, v50, vcc
	v_cmp_eq_u32_e32 vcc, 10, v94
	v_cndmask_b32_e64 v65, v65, v52, s[0:1]
	v_cmp_eq_u32_e64 s[0:1], 11, v94
	v_cndmask_b32_e32 v64, v64, v55, vcc
	v_cmp_eq_u32_e64 s[4:5], 12, v94
	v_cndmask_b32_e64 v64, v64, v57, s[0:1]
	v_cndmask_b32_e32 v96, v65, v54, vcc
	v_cndmask_b32_e64 v65, v64, v59, s[4:5]
	v_cndmask_b32_e64 v64, v96, v56, s[0:1]
	;; [unrolled: 1-line block ×3, first 2 shown]
	v_add_u32_e32 v61, 8, v61
	v_lshl_add_u64 v[94:95], v[94:95], 0, 1
	s_waitcnt lgkmcnt(0)
	v_fmac_f64_e32 v[92:93], v[64:65], v[62:63]
	s_andn2_b64 exec, exec, s[10:11]
	s_cbranch_execnz .LBB76_93
; %bb.94:
	s_or_b64 exec, exec, s[10:11]
.LBB76_95:
	s_or_b64 exec, exec, s[8:9]
.LBB76_96:
	s_or_b64 exec, exec, s[6:7]
	v_mov_b32_e32 v44, 0
	ds_read_b64 v[44:45], v44 offset:40
	s_waitcnt lgkmcnt(0)
	v_mul_f64 v[44:45], v[92:93], v[44:45]
.LBB76_97:
	s_or_b64 exec, exec, s[28:29]
	v_cmp_lt_u32_e64 s[0:1], 4, v0
	ds_write_b64 v97, v[42:43]
	s_waitcnt lgkmcnt(0)
	; wave barrier
	s_and_saveexec_b64 s[28:29], s[0:1]
	s_cbranch_execz .LBB76_113
; %bb.98:
	s_andn2_b64 vcc, exec, s[26:27]
	s_cbranch_vccnz .LBB76_100
; %bb.99:
	v_cmp_eq_u32_e32 vcc, 1, v0
	v_cmp_eq_u32_e64 s[4:5], 2, v0
	v_cmp_eq_u32_e64 s[6:7], 3, v0
	v_cndmask_b32_e32 v92, v35, v37, vcc
	v_cndmask_b32_e64 v92, v92, v39, s[4:5]
	v_cndmask_b32_e64 v92, v92, v41, s[6:7]
	v_cmp_eq_u32_e64 s[8:9], 4, v0
	v_cmp_eq_u32_e64 s[10:11], 5, v0
	v_cmp_eq_u32_e64 s[12:13], 6, v0
	v_cndmask_b32_e64 v92, v92, v43, s[8:9]
	v_cndmask_b32_e64 v92, v92, v45, s[10:11]
	v_cndmask_b32_e64 v92, v92, v47, s[12:13]
	v_cmp_eq_u32_e64 s[14:15], 7, v0
	v_cmp_eq_u32_e64 s[16:17], 8, v0
	v_cmp_eq_u32_e64 s[18:19], 9, v0
	v_cndmask_b32_e64 v92, v92, v49, s[14:15]
	;; [unrolled: 6-line block ×3, first 2 shown]
	v_cndmask_b32_e64 v92, v92, v57, s[22:23]
	v_cndmask_b32_e64 v93, v92, v59, s[24:25]
	v_cndmask_b32_e32 v92, v34, v36, vcc
	v_cndmask_b32_e64 v92, v92, v38, s[4:5]
	v_cndmask_b32_e64 v92, v92, v40, s[6:7]
	;; [unrolled: 1-line block ×7, first 2 shown]
	ds_read_b64 v[94:95], v97
	v_cndmask_b32_e64 v92, v92, v52, s[18:19]
	v_cndmask_b32_e64 v92, v92, v54, s[20:21]
	v_cndmask_b32_e64 v92, v92, v56, s[22:23]
	v_cndmask_b32_e64 v92, v92, v58, s[24:25]
	s_waitcnt lgkmcnt(0)
	v_mul_f64 v[92:93], v[92:93], v[94:95]
	s_cbranch_execz .LBB76_101
	s_branch .LBB76_102
.LBB76_100:
                                        ; implicit-def: $vgpr92_vgpr93
.LBB76_101:
	ds_read_b64 v[92:93], v97
.LBB76_102:
	s_and_saveexec_b64 s[6:7], s[2:3]
	s_cbranch_execz .LBB76_112
; %bb.103:
	v_add_u32_e32 v94, -6, v0
	v_add_u32_e32 v95, -5, v0
	v_cmp_lt_u32_e32 vcc, 6, v94
	v_mov_b32_e32 v94, 5
	s_and_saveexec_b64 s[2:3], vcc
	s_cbranch_execz .LBB76_107
; %bb.104:
	v_and_b32_e32 v94, -8, v95
	v_sub_u32_e32 v96, 0, v94
	s_mov_b64 s[4:5], 12
	s_movk_i32 s10, 0x98
	s_mov_b64 s[8:9], 0
.LBB76_105:                             ; =>This Inner Loop Header: Depth=1
	s_lshl_b32 s11, s4, 1
	s_add_i32 s12, s11, -13
	v_mov_b32_e32 v112, s10
	s_add_i32 s13, s11, -14
	s_set_gpr_idx_on s12, gpr_idx(SRC0)
	v_mov_b32_e32 v107, v34
	s_set_gpr_idx_off
	s_add_i32 s14, s11, -11
	s_set_gpr_idx_on s13, gpr_idx(SRC0)
	v_mov_b32_e32 v106, v34
	s_set_gpr_idx_off
	ds_read2_b64 v[98:101], v112 offset1:1
	s_add_i32 s15, s11, -12
	s_set_gpr_idx_on s14, gpr_idx(SRC0)
	v_mov_b32_e32 v109, v34
	s_set_gpr_idx_off
	s_add_i32 s16, s11, -9
	s_set_gpr_idx_on s15, gpr_idx(SRC0)
	v_mov_b32_e32 v108, v34
	s_set_gpr_idx_off
	;; [unrolled: 4-line block ×4, first 2 shown]
	ds_read2_b64 v[102:105], v112 offset0:2 offset1:3
	s_add_i32 s19, s11, -8
	s_waitcnt lgkmcnt(1)
	v_fmac_f64_e32 v[92:93], v[106:107], v[98:99]
	s_set_gpr_idx_on s18, gpr_idx(SRC0)
	v_mov_b32_e32 v107, v34
	s_set_gpr_idx_off
	s_add_i32 s20, s11, -5
	v_fmac_f64_e32 v[92:93], v[108:109], v[100:101]
	s_set_gpr_idx_on s19, gpr_idx(SRC0)
	v_mov_b32_e32 v106, v34
	s_set_gpr_idx_off
	s_add_i32 s21, s11, -6
	s_set_gpr_idx_on s20, gpr_idx(SRC0)
	v_mov_b32_e32 v109, v34
	s_set_gpr_idx_off
	s_add_i32 s22, s11, -3
	;; [unrolled: 4-line block ×3, first 2 shown]
	ds_read2_b64 v[98:101], v112 offset0:4 offset1:5
	s_waitcnt lgkmcnt(1)
	v_fmac_f64_e32 v[92:93], v[110:111], v[102:103]
	s_set_gpr_idx_on s22, gpr_idx(SRC0)
	v_mov_b32_e32 v111, v34
	s_set_gpr_idx_off
	s_add_i32 s24, s11, -1
	v_fmac_f64_e32 v[92:93], v[106:107], v[104:105]
	s_set_gpr_idx_on s23, gpr_idx(SRC0)
	v_mov_b32_e32 v110, v34
	s_set_gpr_idx_off
	s_add_i32 s25, s11, -2
	s_set_gpr_idx_on s24, gpr_idx(SRC0)
	v_mov_b32_e32 v107, v34
	s_set_gpr_idx_off
	s_set_gpr_idx_on s25, gpr_idx(SRC0)
	v_mov_b32_e32 v106, v34
	s_set_gpr_idx_off
	ds_read2_b64 v[102:105], v112 offset0:6 offset1:7
	s_add_u32 s4, s4, 8
	s_waitcnt lgkmcnt(1)
	v_fmac_f64_e32 v[92:93], v[108:109], v[98:99]
	s_set_gpr_idx_on s11, gpr_idx(SRC0)
	v_mov_b32_e32 v99, v35
	s_set_gpr_idx_off
	v_add_u32_e32 v94, s4, v96
	v_fmac_f64_e32 v[92:93], v[110:111], v[100:101]
	s_set_gpr_idx_on s11, gpr_idx(SRC0)
	v_mov_b32_e32 v98, v34
	s_set_gpr_idx_off
	s_addc_u32 s5, s5, 0
	s_add_i32 s10, s10, 64
	s_add_i32 s12, s4, -7
	v_cmp_eq_u32_e32 vcc, 12, v94
	s_waitcnt lgkmcnt(0)
	v_fmac_f64_e32 v[92:93], v[106:107], v[102:103]
	v_mov_b32_e32 v94, s12
	s_or_b64 s[8:9], vcc, s[8:9]
	v_fmac_f64_e32 v[92:93], v[98:99], v[104:105]
	s_andn2_b64 exec, exec, s[8:9]
	s_cbranch_execnz .LBB76_105
; %bb.106:
	s_or_b64 exec, exec, s[8:9]
.LBB76_107:
	s_or_b64 exec, exec, s[2:3]
	v_and_b32_e32 v60, 7, v95
	v_cmp_ne_u32_e32 vcc, 0, v60
	s_and_saveexec_b64 s[8:9], vcc
	s_cbranch_execz .LBB76_111
; %bb.108:
	v_mov_b32_e32 v61, 0x70
	v_lshl_add_u32 v61, v94, 3, v61
	v_mov_b32_e32 v95, 0
	s_mov_b64 s[10:11], 0
.LBB76_109:                             ; =>This Inner Loop Header: Depth=1
	v_cmp_eq_u32_e32 vcc, 1, v94
	v_add_u32_e32 v60, -1, v60
	v_cmp_eq_u32_e64 s[2:3], 2, v94
	v_cndmask_b32_e32 v64, v35, v37, vcc
	v_cndmask_b32_e32 v65, v34, v36, vcc
	v_cndmask_b32_e64 v64, v64, v39, s[2:3]
	v_cmp_eq_u32_e32 vcc, 0, v60
	v_cmp_eq_u32_e64 s[4:5], 3, v94
	v_cndmask_b32_e64 v65, v65, v38, s[2:3]
	s_or_b64 s[10:11], vcc, s[10:11]
	v_cndmask_b32_e64 v64, v64, v41, s[4:5]
	v_cmp_eq_u32_e32 vcc, 4, v94
	v_cndmask_b32_e64 v65, v65, v40, s[4:5]
	v_cmp_eq_u32_e64 s[2:3], 5, v94
	v_cndmask_b32_e32 v64, v64, v43, vcc
	v_cndmask_b32_e32 v65, v65, v42, vcc
	v_cndmask_b32_e64 v64, v64, v45, s[2:3]
	v_cmp_eq_u32_e32 vcc, 6, v94
	v_cndmask_b32_e64 v65, v65, v44, s[2:3]
	v_cmp_eq_u32_e64 s[2:3], 7, v94
	v_cndmask_b32_e32 v64, v64, v47, vcc
	v_cndmask_b32_e32 v65, v65, v46, vcc
	v_cndmask_b32_e64 v64, v64, v49, s[2:3]
	v_cmp_eq_u32_e32 vcc, 8, v94
	v_cndmask_b32_e64 v65, v65, v48, s[2:3]
	v_cmp_eq_u32_e64 s[2:3], 9, v94
	v_cndmask_b32_e32 v64, v64, v51, vcc
	ds_read_b64 v[62:63], v61
	v_cndmask_b32_e64 v64, v64, v53, s[2:3]
	v_cndmask_b32_e32 v65, v65, v50, vcc
	v_cmp_eq_u32_e32 vcc, 10, v94
	v_cndmask_b32_e64 v65, v65, v52, s[2:3]
	v_cmp_eq_u32_e64 s[2:3], 11, v94
	v_cndmask_b32_e32 v64, v64, v55, vcc
	v_cmp_eq_u32_e64 s[4:5], 12, v94
	v_cndmask_b32_e64 v64, v64, v57, s[2:3]
	v_cndmask_b32_e32 v96, v65, v54, vcc
	v_cndmask_b32_e64 v65, v64, v59, s[4:5]
	v_cndmask_b32_e64 v64, v96, v56, s[2:3]
	;; [unrolled: 1-line block ×3, first 2 shown]
	v_add_u32_e32 v61, 8, v61
	v_lshl_add_u64 v[94:95], v[94:95], 0, 1
	s_waitcnt lgkmcnt(0)
	v_fmac_f64_e32 v[92:93], v[64:65], v[62:63]
	s_andn2_b64 exec, exec, s[10:11]
	s_cbranch_execnz .LBB76_109
; %bb.110:
	s_or_b64 exec, exec, s[10:11]
.LBB76_111:
	s_or_b64 exec, exec, s[8:9]
.LBB76_112:
	s_or_b64 exec, exec, s[6:7]
	v_mov_b32_e32 v42, 0
	ds_read_b64 v[42:43], v42 offset:32
	s_waitcnt lgkmcnt(0)
	v_mul_f64 v[42:43], v[92:93], v[42:43]
.LBB76_113:
	s_or_b64 exec, exec, s[28:29]
	v_cmp_lt_u32_e64 s[2:3], 3, v0
	ds_write_b64 v97, v[40:41]
	s_waitcnt lgkmcnt(0)
	; wave barrier
	s_and_saveexec_b64 s[28:29], s[2:3]
	s_cbranch_execz .LBB76_129
; %bb.114:
	s_andn2_b64 vcc, exec, s[26:27]
	s_cbranch_vccnz .LBB76_116
; %bb.115:
	v_cmp_eq_u32_e32 vcc, 1, v0
	v_cmp_eq_u32_e64 s[4:5], 2, v0
	v_cmp_eq_u32_e64 s[6:7], 3, v0
	v_cndmask_b32_e32 v92, v35, v37, vcc
	v_cndmask_b32_e64 v92, v92, v39, s[4:5]
	v_cndmask_b32_e64 v92, v92, v41, s[6:7]
	v_cmp_eq_u32_e64 s[8:9], 4, v0
	v_cmp_eq_u32_e64 s[10:11], 5, v0
	v_cmp_eq_u32_e64 s[12:13], 6, v0
	v_cndmask_b32_e64 v92, v92, v43, s[8:9]
	v_cndmask_b32_e64 v92, v92, v45, s[10:11]
	v_cndmask_b32_e64 v92, v92, v47, s[12:13]
	v_cmp_eq_u32_e64 s[14:15], 7, v0
	v_cmp_eq_u32_e64 s[16:17], 8, v0
	v_cmp_eq_u32_e64 s[18:19], 9, v0
	v_cndmask_b32_e64 v92, v92, v49, s[14:15]
	;; [unrolled: 6-line block ×3, first 2 shown]
	v_cndmask_b32_e64 v92, v92, v57, s[22:23]
	v_cndmask_b32_e64 v93, v92, v59, s[24:25]
	v_cndmask_b32_e32 v92, v34, v36, vcc
	v_cndmask_b32_e64 v92, v92, v38, s[4:5]
	v_cndmask_b32_e64 v92, v92, v40, s[6:7]
	v_cndmask_b32_e64 v92, v92, v42, s[8:9]
	v_cndmask_b32_e64 v92, v92, v44, s[10:11]
	v_cndmask_b32_e64 v92, v92, v46, s[12:13]
	v_cndmask_b32_e64 v92, v92, v48, s[14:15]
	v_cndmask_b32_e64 v92, v92, v50, s[16:17]
	ds_read_b64 v[94:95], v97
	v_cndmask_b32_e64 v92, v92, v52, s[18:19]
	v_cndmask_b32_e64 v92, v92, v54, s[20:21]
	;; [unrolled: 1-line block ×4, first 2 shown]
	s_waitcnt lgkmcnt(0)
	v_mul_f64 v[92:93], v[92:93], v[94:95]
	s_cbranch_execz .LBB76_117
	s_branch .LBB76_118
.LBB76_116:
                                        ; implicit-def: $vgpr92_vgpr93
.LBB76_117:
	ds_read_b64 v[92:93], v97
.LBB76_118:
	s_and_saveexec_b64 s[6:7], s[0:1]
	s_cbranch_execz .LBB76_128
; %bb.119:
	v_add_u32_e32 v94, -5, v0
	v_add_u32_e32 v95, -4, v0
	v_cmp_lt_u32_e32 vcc, 6, v94
	v_mov_b32_e32 v94, 4
	s_and_saveexec_b64 s[0:1], vcc
	s_cbranch_execz .LBB76_123
; %bb.120:
	v_and_b32_e32 v94, -8, v95
	v_sub_u32_e32 v96, 0, v94
	s_mov_b64 s[4:5], 5
	s_movk_i32 s10, 0x90
	s_mov_b64 s[8:9], 0
.LBB76_121:                             ; =>This Inner Loop Header: Depth=1
	s_lshl_b32 s11, s4, 1
	s_add_i32 s12, s11, -1
	s_add_i32 s13, s11, -2
	s_set_gpr_idx_on s12, gpr_idx(SRC0)
	v_mov_b32_e32 v115, v34
	s_set_gpr_idx_off
	v_mov_b32_e32 v94, s10
	s_set_gpr_idx_on s13, gpr_idx(SRC0)
	v_mov_b32_e32 v114, v34
	s_set_gpr_idx_off
	ds_read_b128 v[98:101], v94
	ds_read_b128 v[102:105], v94 offset:16
	ds_read_b128 v[106:109], v94 offset:32
	ds_read_b128 v[110:113], v94 offset:48
	s_set_gpr_idx_on s11, gpr_idx(SRC0)
	v_mov_b32_e32 v117, v35
	s_add_i32 s14, s11, 3
	v_mov_b32_e32 v116, v34
	s_set_gpr_idx_off
	s_add_i32 s15, s11, 2
	s_set_gpr_idx_on s14, gpr_idx(SRC0)
	v_mov_b32_e32 v119, v34
	s_set_gpr_idx_off
	s_add_i32 s16, s11, 5
	s_set_gpr_idx_on s15, gpr_idx(SRC0)
	v_mov_b32_e32 v118, v34
	s_set_gpr_idx_off
	s_add_i32 s17, s11, 4
	s_waitcnt lgkmcnt(3)
	v_fmac_f64_e32 v[92:93], v[114:115], v[98:99]
	s_set_gpr_idx_on s16, gpr_idx(SRC0)
	v_mov_b32_e32 v99, v34
	s_set_gpr_idx_off
	s_add_i32 s18, s11, 7
	v_fmac_f64_e32 v[92:93], v[116:117], v[100:101]
	s_set_gpr_idx_on s17, gpr_idx(SRC0)
	v_mov_b32_e32 v98, v34
	s_set_gpr_idx_off
	s_add_i32 s19, s11, 6
	s_waitcnt lgkmcnt(2)
	v_fmac_f64_e32 v[92:93], v[118:119], v[102:103]
	s_set_gpr_idx_on s18, gpr_idx(SRC0)
	v_mov_b32_e32 v101, v34
	s_set_gpr_idx_off
	s_add_i32 s20, s11, 9
	v_fmac_f64_e32 v[92:93], v[98:99], v[104:105]
	s_set_gpr_idx_on s19, gpr_idx(SRC0)
	v_mov_b32_e32 v100, v34
	s_set_gpr_idx_off
	s_add_i32 s21, s11, 8
	s_waitcnt lgkmcnt(1)
	v_fmac_f64_e32 v[92:93], v[100:101], v[106:107]
	s_set_gpr_idx_on s20, gpr_idx(SRC0)
	v_mov_b32_e32 v99, v34
	s_set_gpr_idx_off
	s_add_i32 s22, s11, 11
	s_set_gpr_idx_on s21, gpr_idx(SRC0)
	v_mov_b32_e32 v98, v34
	s_set_gpr_idx_off
	s_add_i32 s23, s11, 10
	s_add_i32 s24, s11, 13
	;; [unrolled: 1-line block ×3, first 2 shown]
	v_fmac_f64_e32 v[92:93], v[98:99], v[108:109]
	s_set_gpr_idx_on s22, gpr_idx(SRC0)
	v_mov_b32_e32 v99, v34
	s_set_gpr_idx_off
	s_add_u32 s4, s4, 8
	s_set_gpr_idx_on s23, gpr_idx(SRC0)
	v_mov_b32_e32 v98, v34
	s_set_gpr_idx_off
	v_add_u32_e32 v94, s4, v96
	s_waitcnt lgkmcnt(0)
	v_fmac_f64_e32 v[92:93], v[98:99], v[110:111]
	s_set_gpr_idx_on s24, gpr_idx(SRC0)
	v_mov_b32_e32 v99, v34
	s_set_gpr_idx_off
	s_addc_u32 s5, s5, 0
	s_add_i32 s10, s10, 64
	s_add_i32 s12, s4, -1
	v_cmp_eq_u32_e32 vcc, 5, v94
	s_set_gpr_idx_on s25, gpr_idx(SRC0)
	v_mov_b32_e32 v98, v34
	s_set_gpr_idx_off
	v_mov_b32_e32 v94, s12
	s_or_b64 s[8:9], vcc, s[8:9]
	v_fmac_f64_e32 v[92:93], v[98:99], v[112:113]
	s_andn2_b64 exec, exec, s[8:9]
	s_cbranch_execnz .LBB76_121
; %bb.122:
	s_or_b64 exec, exec, s[8:9]
.LBB76_123:
	s_or_b64 exec, exec, s[0:1]
	v_and_b32_e32 v60, 7, v95
	v_cmp_ne_u32_e32 vcc, 0, v60
	s_and_saveexec_b64 s[8:9], vcc
	s_cbranch_execz .LBB76_127
; %bb.124:
	v_mov_b32_e32 v61, 0x70
	v_lshl_add_u32 v61, v94, 3, v61
	v_mov_b32_e32 v95, 0
	s_mov_b64 s[10:11], 0
.LBB76_125:                             ; =>This Inner Loop Header: Depth=1
	v_cmp_eq_u32_e32 vcc, 1, v94
	v_add_u32_e32 v60, -1, v60
	v_cmp_eq_u32_e64 s[0:1], 2, v94
	v_cndmask_b32_e32 v64, v35, v37, vcc
	v_cndmask_b32_e32 v65, v34, v36, vcc
	v_cndmask_b32_e64 v64, v64, v39, s[0:1]
	v_cmp_eq_u32_e32 vcc, 0, v60
	v_cmp_eq_u32_e64 s[4:5], 3, v94
	v_cndmask_b32_e64 v65, v65, v38, s[0:1]
	s_or_b64 s[10:11], vcc, s[10:11]
	v_cndmask_b32_e64 v64, v64, v41, s[4:5]
	v_cmp_eq_u32_e32 vcc, 4, v94
	v_cndmask_b32_e64 v65, v65, v40, s[4:5]
	v_cmp_eq_u32_e64 s[0:1], 5, v94
	v_cndmask_b32_e32 v64, v64, v43, vcc
	v_cndmask_b32_e32 v65, v65, v42, vcc
	v_cndmask_b32_e64 v64, v64, v45, s[0:1]
	v_cmp_eq_u32_e32 vcc, 6, v94
	v_cndmask_b32_e64 v65, v65, v44, s[0:1]
	v_cmp_eq_u32_e64 s[0:1], 7, v94
	v_cndmask_b32_e32 v64, v64, v47, vcc
	v_cndmask_b32_e32 v65, v65, v46, vcc
	v_cndmask_b32_e64 v64, v64, v49, s[0:1]
	v_cmp_eq_u32_e32 vcc, 8, v94
	v_cndmask_b32_e64 v65, v65, v48, s[0:1]
	v_cmp_eq_u32_e64 s[0:1], 9, v94
	v_cndmask_b32_e32 v64, v64, v51, vcc
	ds_read_b64 v[62:63], v61
	v_cndmask_b32_e64 v64, v64, v53, s[0:1]
	v_cndmask_b32_e32 v65, v65, v50, vcc
	v_cmp_eq_u32_e32 vcc, 10, v94
	v_cndmask_b32_e64 v65, v65, v52, s[0:1]
	v_cmp_eq_u32_e64 s[0:1], 11, v94
	v_cndmask_b32_e32 v64, v64, v55, vcc
	v_cmp_eq_u32_e64 s[4:5], 12, v94
	v_cndmask_b32_e64 v64, v64, v57, s[0:1]
	v_cndmask_b32_e32 v96, v65, v54, vcc
	v_cndmask_b32_e64 v65, v64, v59, s[4:5]
	v_cndmask_b32_e64 v64, v96, v56, s[0:1]
	;; [unrolled: 1-line block ×3, first 2 shown]
	v_add_u32_e32 v61, 8, v61
	v_lshl_add_u64 v[94:95], v[94:95], 0, 1
	s_waitcnt lgkmcnt(0)
	v_fmac_f64_e32 v[92:93], v[64:65], v[62:63]
	s_andn2_b64 exec, exec, s[10:11]
	s_cbranch_execnz .LBB76_125
; %bb.126:
	s_or_b64 exec, exec, s[10:11]
.LBB76_127:
	s_or_b64 exec, exec, s[8:9]
.LBB76_128:
	s_or_b64 exec, exec, s[6:7]
	v_mov_b32_e32 v40, 0
	ds_read_b64 v[40:41], v40 offset:24
	s_waitcnt lgkmcnt(0)
	v_mul_f64 v[40:41], v[92:93], v[40:41]
.LBB76_129:
	s_or_b64 exec, exec, s[28:29]
	v_cmp_lt_u32_e64 s[0:1], 2, v0
	ds_write_b64 v97, v[38:39]
	s_waitcnt lgkmcnt(0)
	; wave barrier
	s_and_saveexec_b64 s[28:29], s[0:1]
	s_cbranch_execz .LBB76_145
; %bb.130:
	s_andn2_b64 vcc, exec, s[26:27]
	s_cbranch_vccnz .LBB76_132
; %bb.131:
	v_cmp_eq_u32_e32 vcc, 1, v0
	v_cmp_eq_u32_e64 s[4:5], 2, v0
	v_cmp_eq_u32_e64 s[6:7], 3, v0
	v_cndmask_b32_e32 v92, v35, v37, vcc
	v_cndmask_b32_e64 v92, v92, v39, s[4:5]
	v_cndmask_b32_e64 v92, v92, v41, s[6:7]
	v_cmp_eq_u32_e64 s[8:9], 4, v0
	v_cmp_eq_u32_e64 s[10:11], 5, v0
	v_cmp_eq_u32_e64 s[12:13], 6, v0
	v_cndmask_b32_e64 v92, v92, v43, s[8:9]
	v_cndmask_b32_e64 v92, v92, v45, s[10:11]
	v_cndmask_b32_e64 v92, v92, v47, s[12:13]
	v_cmp_eq_u32_e64 s[14:15], 7, v0
	v_cmp_eq_u32_e64 s[16:17], 8, v0
	v_cmp_eq_u32_e64 s[18:19], 9, v0
	v_cndmask_b32_e64 v92, v92, v49, s[14:15]
	;; [unrolled: 6-line block ×3, first 2 shown]
	v_cndmask_b32_e64 v92, v92, v57, s[22:23]
	v_cndmask_b32_e64 v93, v92, v59, s[24:25]
	v_cndmask_b32_e32 v92, v34, v36, vcc
	v_cndmask_b32_e64 v92, v92, v38, s[4:5]
	v_cndmask_b32_e64 v92, v92, v40, s[6:7]
	;; [unrolled: 1-line block ×7, first 2 shown]
	ds_read_b64 v[94:95], v97
	v_cndmask_b32_e64 v92, v92, v52, s[18:19]
	v_cndmask_b32_e64 v92, v92, v54, s[20:21]
	;; [unrolled: 1-line block ×4, first 2 shown]
	s_waitcnt lgkmcnt(0)
	v_mul_f64 v[92:93], v[92:93], v[94:95]
	s_cbranch_execz .LBB76_133
	s_branch .LBB76_134
.LBB76_132:
                                        ; implicit-def: $vgpr92_vgpr93
.LBB76_133:
	ds_read_b64 v[92:93], v97
.LBB76_134:
	s_and_saveexec_b64 s[6:7], s[2:3]
	s_cbranch_execz .LBB76_144
; %bb.135:
	v_add_u32_e32 v94, -4, v0
	v_add_u32_e32 v95, -3, v0
	v_cmp_lt_u32_e32 vcc, 6, v94
	v_mov_b32_e32 v94, 3
	s_and_saveexec_b64 s[2:3], vcc
	s_cbranch_execz .LBB76_139
; %bb.136:
	v_and_b32_e32 v94, -8, v95
	v_sub_u32_e32 v96, 0, v94
	s_mov_b64 s[4:5], 10
	s_movk_i32 s10, 0x88
	s_mov_b64 s[8:9], 0
.LBB76_137:                             ; =>This Inner Loop Header: Depth=1
	s_lshl_b32 s11, s4, 1
	s_add_i32 s12, s11, -13
	v_mov_b32_e32 v112, s10
	s_add_i32 s13, s11, -14
	s_set_gpr_idx_on s12, gpr_idx(SRC0)
	v_mov_b32_e32 v107, v34
	s_set_gpr_idx_off
	s_add_i32 s14, s11, -11
	s_set_gpr_idx_on s13, gpr_idx(SRC0)
	v_mov_b32_e32 v106, v34
	s_set_gpr_idx_off
	ds_read2_b64 v[98:101], v112 offset1:1
	s_add_i32 s15, s11, -12
	s_set_gpr_idx_on s14, gpr_idx(SRC0)
	v_mov_b32_e32 v109, v34
	s_set_gpr_idx_off
	s_add_i32 s16, s11, -9
	s_set_gpr_idx_on s15, gpr_idx(SRC0)
	v_mov_b32_e32 v108, v34
	s_set_gpr_idx_off
	;; [unrolled: 4-line block ×4, first 2 shown]
	ds_read2_b64 v[102:105], v112 offset0:2 offset1:3
	s_add_i32 s19, s11, -8
	s_waitcnt lgkmcnt(1)
	v_fmac_f64_e32 v[92:93], v[106:107], v[98:99]
	s_set_gpr_idx_on s18, gpr_idx(SRC0)
	v_mov_b32_e32 v107, v34
	s_set_gpr_idx_off
	s_add_i32 s20, s11, -5
	v_fmac_f64_e32 v[92:93], v[108:109], v[100:101]
	s_set_gpr_idx_on s19, gpr_idx(SRC0)
	v_mov_b32_e32 v106, v34
	s_set_gpr_idx_off
	s_add_i32 s21, s11, -6
	s_set_gpr_idx_on s20, gpr_idx(SRC0)
	v_mov_b32_e32 v109, v34
	s_set_gpr_idx_off
	s_add_i32 s22, s11, -3
	;; [unrolled: 4-line block ×3, first 2 shown]
	ds_read2_b64 v[98:101], v112 offset0:4 offset1:5
	s_waitcnt lgkmcnt(1)
	v_fmac_f64_e32 v[92:93], v[110:111], v[102:103]
	s_set_gpr_idx_on s22, gpr_idx(SRC0)
	v_mov_b32_e32 v111, v34
	s_set_gpr_idx_off
	s_add_i32 s24, s11, -1
	v_fmac_f64_e32 v[92:93], v[106:107], v[104:105]
	s_set_gpr_idx_on s23, gpr_idx(SRC0)
	v_mov_b32_e32 v110, v34
	s_set_gpr_idx_off
	s_add_i32 s25, s11, -2
	s_set_gpr_idx_on s24, gpr_idx(SRC0)
	v_mov_b32_e32 v107, v34
	s_set_gpr_idx_off
	s_set_gpr_idx_on s25, gpr_idx(SRC0)
	v_mov_b32_e32 v106, v34
	s_set_gpr_idx_off
	ds_read2_b64 v[102:105], v112 offset0:6 offset1:7
	s_add_u32 s4, s4, 8
	s_waitcnt lgkmcnt(1)
	v_fmac_f64_e32 v[92:93], v[108:109], v[98:99]
	s_set_gpr_idx_on s11, gpr_idx(SRC0)
	v_mov_b32_e32 v99, v35
	s_set_gpr_idx_off
	v_add_u32_e32 v94, s4, v96
	v_fmac_f64_e32 v[92:93], v[110:111], v[100:101]
	s_set_gpr_idx_on s11, gpr_idx(SRC0)
	v_mov_b32_e32 v98, v34
	s_set_gpr_idx_off
	s_addc_u32 s5, s5, 0
	s_add_i32 s10, s10, 64
	s_add_i32 s12, s4, -7
	v_cmp_eq_u32_e32 vcc, 10, v94
	s_waitcnt lgkmcnt(0)
	v_fmac_f64_e32 v[92:93], v[106:107], v[102:103]
	v_mov_b32_e32 v94, s12
	s_or_b64 s[8:9], vcc, s[8:9]
	v_fmac_f64_e32 v[92:93], v[98:99], v[104:105]
	s_andn2_b64 exec, exec, s[8:9]
	s_cbranch_execnz .LBB76_137
; %bb.138:
	s_or_b64 exec, exec, s[8:9]
.LBB76_139:
	s_or_b64 exec, exec, s[2:3]
	v_and_b32_e32 v60, 7, v95
	v_cmp_ne_u32_e32 vcc, 0, v60
	s_and_saveexec_b64 s[8:9], vcc
	s_cbranch_execz .LBB76_143
; %bb.140:
	v_mov_b32_e32 v61, 0x70
	v_lshl_add_u32 v61, v94, 3, v61
	v_mov_b32_e32 v95, 0
	s_mov_b64 s[10:11], 0
.LBB76_141:                             ; =>This Inner Loop Header: Depth=1
	v_cmp_eq_u32_e32 vcc, 1, v94
	v_add_u32_e32 v60, -1, v60
	v_cmp_eq_u32_e64 s[2:3], 2, v94
	v_cndmask_b32_e32 v64, v35, v37, vcc
	v_cndmask_b32_e32 v65, v34, v36, vcc
	v_cndmask_b32_e64 v64, v64, v39, s[2:3]
	v_cmp_eq_u32_e32 vcc, 0, v60
	v_cmp_eq_u32_e64 s[4:5], 3, v94
	v_cndmask_b32_e64 v65, v65, v38, s[2:3]
	s_or_b64 s[10:11], vcc, s[10:11]
	v_cndmask_b32_e64 v64, v64, v41, s[4:5]
	v_cmp_eq_u32_e32 vcc, 4, v94
	v_cndmask_b32_e64 v65, v65, v40, s[4:5]
	v_cmp_eq_u32_e64 s[2:3], 5, v94
	v_cndmask_b32_e32 v64, v64, v43, vcc
	v_cndmask_b32_e32 v65, v65, v42, vcc
	v_cndmask_b32_e64 v64, v64, v45, s[2:3]
	v_cmp_eq_u32_e32 vcc, 6, v94
	v_cndmask_b32_e64 v65, v65, v44, s[2:3]
	v_cmp_eq_u32_e64 s[2:3], 7, v94
	v_cndmask_b32_e32 v64, v64, v47, vcc
	v_cndmask_b32_e32 v65, v65, v46, vcc
	v_cndmask_b32_e64 v64, v64, v49, s[2:3]
	v_cmp_eq_u32_e32 vcc, 8, v94
	v_cndmask_b32_e64 v65, v65, v48, s[2:3]
	v_cmp_eq_u32_e64 s[2:3], 9, v94
	v_cndmask_b32_e32 v64, v64, v51, vcc
	ds_read_b64 v[62:63], v61
	v_cndmask_b32_e64 v64, v64, v53, s[2:3]
	v_cndmask_b32_e32 v65, v65, v50, vcc
	v_cmp_eq_u32_e32 vcc, 10, v94
	v_cndmask_b32_e64 v65, v65, v52, s[2:3]
	v_cmp_eq_u32_e64 s[2:3], 11, v94
	v_cndmask_b32_e32 v64, v64, v55, vcc
	v_cmp_eq_u32_e64 s[4:5], 12, v94
	v_cndmask_b32_e64 v64, v64, v57, s[2:3]
	v_cndmask_b32_e32 v96, v65, v54, vcc
	v_cndmask_b32_e64 v65, v64, v59, s[4:5]
	v_cndmask_b32_e64 v64, v96, v56, s[2:3]
	;; [unrolled: 1-line block ×3, first 2 shown]
	v_add_u32_e32 v61, 8, v61
	v_lshl_add_u64 v[94:95], v[94:95], 0, 1
	s_waitcnt lgkmcnt(0)
	v_fmac_f64_e32 v[92:93], v[64:65], v[62:63]
	s_andn2_b64 exec, exec, s[10:11]
	s_cbranch_execnz .LBB76_141
; %bb.142:
	s_or_b64 exec, exec, s[10:11]
.LBB76_143:
	s_or_b64 exec, exec, s[8:9]
.LBB76_144:
	s_or_b64 exec, exec, s[6:7]
	v_mov_b32_e32 v38, 0
	ds_read_b64 v[38:39], v38 offset:16
	s_waitcnt lgkmcnt(0)
	v_mul_f64 v[38:39], v[92:93], v[38:39]
.LBB76_145:
	s_or_b64 exec, exec, s[28:29]
	v_cmp_lt_u32_e64 s[2:3], 1, v0
	ds_write_b64 v97, v[36:37]
	s_waitcnt lgkmcnt(0)
	; wave barrier
	s_and_saveexec_b64 s[28:29], s[2:3]
	s_cbranch_execz .LBB76_161
; %bb.146:
	s_andn2_b64 vcc, exec, s[26:27]
	s_cbranch_vccnz .LBB76_148
; %bb.147:
	v_cmp_eq_u32_e32 vcc, 1, v0
	v_cmp_eq_u32_e64 s[4:5], 2, v0
	v_cmp_eq_u32_e64 s[6:7], 3, v0
	v_cndmask_b32_e32 v92, v35, v37, vcc
	v_cndmask_b32_e64 v92, v92, v39, s[4:5]
	v_cndmask_b32_e64 v92, v92, v41, s[6:7]
	v_cmp_eq_u32_e64 s[8:9], 4, v0
	v_cmp_eq_u32_e64 s[10:11], 5, v0
	v_cmp_eq_u32_e64 s[12:13], 6, v0
	v_cndmask_b32_e64 v92, v92, v43, s[8:9]
	v_cndmask_b32_e64 v92, v92, v45, s[10:11]
	v_cndmask_b32_e64 v92, v92, v47, s[12:13]
	v_cmp_eq_u32_e64 s[14:15], 7, v0
	v_cmp_eq_u32_e64 s[16:17], 8, v0
	v_cmp_eq_u32_e64 s[18:19], 9, v0
	v_cndmask_b32_e64 v92, v92, v49, s[14:15]
	;; [unrolled: 6-line block ×3, first 2 shown]
	v_cndmask_b32_e64 v92, v92, v57, s[22:23]
	v_cndmask_b32_e64 v93, v92, v59, s[24:25]
	v_cndmask_b32_e32 v92, v34, v36, vcc
	v_cndmask_b32_e64 v92, v92, v38, s[4:5]
	v_cndmask_b32_e64 v92, v92, v40, s[6:7]
	;; [unrolled: 1-line block ×7, first 2 shown]
	ds_read_b64 v[94:95], v97
	v_cndmask_b32_e64 v92, v92, v52, s[18:19]
	v_cndmask_b32_e64 v92, v92, v54, s[20:21]
	;; [unrolled: 1-line block ×4, first 2 shown]
	s_waitcnt lgkmcnt(0)
	v_mul_f64 v[92:93], v[92:93], v[94:95]
	s_cbranch_execz .LBB76_149
	s_branch .LBB76_150
.LBB76_148:
                                        ; implicit-def: $vgpr92_vgpr93
.LBB76_149:
	ds_read_b64 v[92:93], v97
.LBB76_150:
	s_and_saveexec_b64 s[6:7], s[0:1]
	s_cbranch_execz .LBB76_160
; %bb.151:
	v_add_u32_e32 v94, -3, v0
	v_add_u32_e32 v95, -2, v0
	v_cmp_lt_u32_e32 vcc, 6, v94
	v_mov_b32_e32 v94, 2
	s_and_saveexec_b64 s[0:1], vcc
	s_cbranch_execz .LBB76_155
; %bb.152:
	v_and_b32_e32 v94, -8, v95
	v_sub_u32_e32 v96, 0, v94
	s_mov_b64 s[4:5], 9
	s_movk_i32 s10, 0x80
	s_mov_b64 s[8:9], 0
.LBB76_153:                             ; =>This Inner Loop Header: Depth=1
	s_lshl_b32 s11, s4, 1
	s_add_i32 s12, s11, -13
	s_add_i32 s13, s11, -14
	s_set_gpr_idx_on s12, gpr_idx(SRC0)
	v_mov_b32_e32 v115, v34
	s_set_gpr_idx_off
	v_mov_b32_e32 v94, s10
	s_add_i32 s14, s11, -11
	s_set_gpr_idx_on s13, gpr_idx(SRC0)
	v_mov_b32_e32 v114, v34
	s_set_gpr_idx_off
	s_add_i32 s15, s11, -12
	ds_read_b128 v[98:101], v94
	ds_read_b128 v[102:105], v94 offset:16
	ds_read_b128 v[106:109], v94 offset:32
	;; [unrolled: 1-line block ×3, first 2 shown]
	s_set_gpr_idx_on s14, gpr_idx(SRC0)
	v_mov_b32_e32 v117, v34
	s_set_gpr_idx_off
	s_add_i32 s16, s11, -9
	s_set_gpr_idx_on s15, gpr_idx(SRC0)
	v_mov_b32_e32 v116, v34
	s_set_gpr_idx_off
	s_add_i32 s17, s11, -10
	;; [unrolled: 4-line block ×4, first 2 shown]
	s_waitcnt lgkmcnt(3)
	v_fmac_f64_e32 v[92:93], v[114:115], v[98:99]
	s_set_gpr_idx_on s18, gpr_idx(SRC0)
	v_mov_b32_e32 v99, v34
	s_set_gpr_idx_off
	s_add_i32 s20, s11, -5
	v_fmac_f64_e32 v[92:93], v[116:117], v[100:101]
	s_set_gpr_idx_on s19, gpr_idx(SRC0)
	v_mov_b32_e32 v98, v34
	s_set_gpr_idx_off
	s_add_i32 s21, s11, -6
	s_waitcnt lgkmcnt(2)
	v_fmac_f64_e32 v[92:93], v[118:119], v[102:103]
	s_set_gpr_idx_on s20, gpr_idx(SRC0)
	v_mov_b32_e32 v101, v34
	s_set_gpr_idx_off
	s_add_i32 s22, s11, -3
	v_fmac_f64_e32 v[92:93], v[98:99], v[104:105]
	s_set_gpr_idx_on s21, gpr_idx(SRC0)
	v_mov_b32_e32 v100, v34
	s_set_gpr_idx_off
	s_add_i32 s23, s11, -4
	s_waitcnt lgkmcnt(1)
	v_fmac_f64_e32 v[92:93], v[100:101], v[106:107]
	s_set_gpr_idx_on s22, gpr_idx(SRC0)
	v_mov_b32_e32 v99, v34
	s_set_gpr_idx_off
	s_add_i32 s24, s11, -1
	s_set_gpr_idx_on s23, gpr_idx(SRC0)
	v_mov_b32_e32 v98, v34
	s_set_gpr_idx_off
	s_add_i32 s25, s11, -2
	v_fmac_f64_e32 v[92:93], v[98:99], v[108:109]
	s_set_gpr_idx_on s24, gpr_idx(SRC0)
	v_mov_b32_e32 v99, v34
	s_set_gpr_idx_off
	s_add_u32 s4, s4, 8
	s_set_gpr_idx_on s25, gpr_idx(SRC0)
	v_mov_b32_e32 v98, v34
	s_set_gpr_idx_off
	v_add_u32_e32 v94, s4, v96
	s_waitcnt lgkmcnt(0)
	v_fmac_f64_e32 v[92:93], v[98:99], v[110:111]
	s_set_gpr_idx_on s11, gpr_idx(SRC0)
	v_mov_b32_e32 v99, v35
	s_set_gpr_idx_off
	s_addc_u32 s5, s5, 0
	s_add_i32 s10, s10, 64
	s_add_i32 s12, s4, -7
	v_cmp_eq_u32_e32 vcc, 9, v94
	s_set_gpr_idx_on s11, gpr_idx(SRC0)
	v_mov_b32_e32 v98, v34
	s_set_gpr_idx_off
	v_mov_b32_e32 v94, s12
	s_or_b64 s[8:9], vcc, s[8:9]
	v_fmac_f64_e32 v[92:93], v[98:99], v[112:113]
	s_andn2_b64 exec, exec, s[8:9]
	s_cbranch_execnz .LBB76_153
; %bb.154:
	s_or_b64 exec, exec, s[8:9]
.LBB76_155:
	s_or_b64 exec, exec, s[0:1]
	v_and_b32_e32 v60, 7, v95
	v_cmp_ne_u32_e32 vcc, 0, v60
	s_and_saveexec_b64 s[8:9], vcc
	s_cbranch_execz .LBB76_159
; %bb.156:
	v_mov_b32_e32 v61, 0x70
	v_lshl_add_u32 v61, v94, 3, v61
	v_mov_b32_e32 v95, 0
	s_mov_b64 s[10:11], 0
.LBB76_157:                             ; =>This Inner Loop Header: Depth=1
	v_cmp_eq_u32_e32 vcc, 1, v94
	v_add_u32_e32 v60, -1, v60
	v_cmp_eq_u32_e64 s[0:1], 2, v94
	v_cndmask_b32_e32 v64, v35, v37, vcc
	v_cndmask_b32_e32 v65, v34, v36, vcc
	v_cndmask_b32_e64 v64, v64, v39, s[0:1]
	v_cmp_eq_u32_e32 vcc, 0, v60
	v_cmp_eq_u32_e64 s[4:5], 3, v94
	v_cndmask_b32_e64 v65, v65, v38, s[0:1]
	s_or_b64 s[10:11], vcc, s[10:11]
	v_cndmask_b32_e64 v64, v64, v41, s[4:5]
	v_cmp_eq_u32_e32 vcc, 4, v94
	v_cndmask_b32_e64 v65, v65, v40, s[4:5]
	v_cmp_eq_u32_e64 s[0:1], 5, v94
	v_cndmask_b32_e32 v64, v64, v43, vcc
	v_cndmask_b32_e32 v65, v65, v42, vcc
	v_cndmask_b32_e64 v64, v64, v45, s[0:1]
	v_cmp_eq_u32_e32 vcc, 6, v94
	v_cndmask_b32_e64 v65, v65, v44, s[0:1]
	v_cmp_eq_u32_e64 s[0:1], 7, v94
	v_cndmask_b32_e32 v64, v64, v47, vcc
	v_cndmask_b32_e32 v65, v65, v46, vcc
	v_cndmask_b32_e64 v64, v64, v49, s[0:1]
	v_cmp_eq_u32_e32 vcc, 8, v94
	v_cndmask_b32_e64 v65, v65, v48, s[0:1]
	v_cmp_eq_u32_e64 s[0:1], 9, v94
	v_cndmask_b32_e32 v64, v64, v51, vcc
	ds_read_b64 v[62:63], v61
	v_cndmask_b32_e64 v64, v64, v53, s[0:1]
	v_cndmask_b32_e32 v65, v65, v50, vcc
	v_cmp_eq_u32_e32 vcc, 10, v94
	v_cndmask_b32_e64 v65, v65, v52, s[0:1]
	v_cmp_eq_u32_e64 s[0:1], 11, v94
	v_cndmask_b32_e32 v64, v64, v55, vcc
	v_cmp_eq_u32_e64 s[4:5], 12, v94
	v_cndmask_b32_e64 v64, v64, v57, s[0:1]
	v_cndmask_b32_e32 v96, v65, v54, vcc
	v_cndmask_b32_e64 v65, v64, v59, s[4:5]
	v_cndmask_b32_e64 v64, v96, v56, s[0:1]
	;; [unrolled: 1-line block ×3, first 2 shown]
	v_add_u32_e32 v61, 8, v61
	v_lshl_add_u64 v[94:95], v[94:95], 0, 1
	s_waitcnt lgkmcnt(0)
	v_fmac_f64_e32 v[92:93], v[64:65], v[62:63]
	s_andn2_b64 exec, exec, s[10:11]
	s_cbranch_execnz .LBB76_157
; %bb.158:
	s_or_b64 exec, exec, s[10:11]
.LBB76_159:
	s_or_b64 exec, exec, s[8:9]
.LBB76_160:
	s_or_b64 exec, exec, s[6:7]
	v_mov_b32_e32 v36, 0
	ds_read_b64 v[36:37], v36 offset:8
	s_waitcnt lgkmcnt(0)
	v_mul_f64 v[36:37], v[92:93], v[36:37]
.LBB76_161:
	s_or_b64 exec, exec, s[28:29]
	v_cmp_ne_u32_e32 vcc, 0, v0
	ds_write_b64 v97, v[34:35]
	s_waitcnt lgkmcnt(0)
	; wave barrier
	s_and_saveexec_b64 s[24:25], vcc
	s_cbranch_execz .LBB76_177
; %bb.162:
	s_andn2_b64 vcc, exec, s[26:27]
	s_cbranch_vccnz .LBB76_164
; %bb.163:
	v_cmp_eq_u32_e32 vcc, 1, v0
	v_cmp_eq_u32_e64 s[0:1], 2, v0
	v_cmp_eq_u32_e64 s[4:5], 3, v0
	v_cndmask_b32_e32 v92, v35, v37, vcc
	v_cndmask_b32_e64 v92, v92, v39, s[0:1]
	v_cndmask_b32_e64 v92, v92, v41, s[4:5]
	v_cmp_eq_u32_e64 s[6:7], 4, v0
	v_cmp_eq_u32_e64 s[8:9], 5, v0
	v_cmp_eq_u32_e64 s[10:11], 6, v0
	v_cndmask_b32_e64 v92, v92, v43, s[6:7]
	v_cndmask_b32_e64 v92, v92, v45, s[8:9]
	v_cndmask_b32_e64 v92, v92, v47, s[10:11]
	v_cmp_eq_u32_e64 s[12:13], 7, v0
	v_cmp_eq_u32_e64 s[14:15], 8, v0
	v_cmp_eq_u32_e64 s[16:17], 9, v0
	v_cndmask_b32_e64 v92, v92, v49, s[12:13]
	;; [unrolled: 6-line block ×3, first 2 shown]
	v_cndmask_b32_e64 v92, v92, v57, s[20:21]
	v_cndmask_b32_e64 v93, v92, v59, s[22:23]
	v_cndmask_b32_e32 v92, v34, v36, vcc
	v_cndmask_b32_e64 v92, v92, v38, s[0:1]
	v_cndmask_b32_e64 v92, v92, v40, s[4:5]
	;; [unrolled: 1-line block ×7, first 2 shown]
	ds_read_b64 v[94:95], v97
	v_cndmask_b32_e64 v92, v92, v52, s[16:17]
	v_cndmask_b32_e64 v92, v92, v54, s[18:19]
	;; [unrolled: 1-line block ×4, first 2 shown]
	s_waitcnt lgkmcnt(0)
	v_mul_f64 v[92:93], v[92:93], v[94:95]
	s_cbranch_execz .LBB76_165
	s_branch .LBB76_166
.LBB76_164:
                                        ; implicit-def: $vgpr92_vgpr93
.LBB76_165:
	ds_read_b64 v[92:93], v97
.LBB76_166:
	s_and_saveexec_b64 s[4:5], s[2:3]
	s_cbranch_execz .LBB76_176
; %bb.167:
	v_add_u32_e32 v94, -2, v0
	v_add_u32_e32 v95, -1, v0
	v_cmp_lt_u32_e32 vcc, 6, v94
	v_mov_b32_e32 v94, 1
	s_and_saveexec_b64 s[0:1], vcc
	s_cbranch_execz .LBB76_171
; %bb.168:
	v_and_b32_e32 v94, -8, v95
	v_sub_u32_e32 v96, 0, v94
	s_mov_b64 s[2:3], 8
	s_movk_i32 s8, 0x78
	s_mov_b64 s[6:7], 0
.LBB76_169:                             ; =>This Inner Loop Header: Depth=1
	s_lshl_b32 s9, s2, 1
	s_add_i32 s10, s9, -13
	v_mov_b32_e32 v112, s8
	s_add_i32 s11, s9, -14
	s_set_gpr_idx_on s10, gpr_idx(SRC0)
	v_mov_b32_e32 v107, v34
	s_set_gpr_idx_off
	s_add_i32 s12, s9, -11
	s_set_gpr_idx_on s11, gpr_idx(SRC0)
	v_mov_b32_e32 v106, v34
	s_set_gpr_idx_off
	ds_read2_b64 v[98:101], v112 offset1:1
	s_add_i32 s13, s9, -12
	s_set_gpr_idx_on s12, gpr_idx(SRC0)
	v_mov_b32_e32 v109, v34
	s_set_gpr_idx_off
	s_add_i32 s14, s9, -9
	s_set_gpr_idx_on s13, gpr_idx(SRC0)
	v_mov_b32_e32 v108, v34
	s_set_gpr_idx_off
	;; [unrolled: 4-line block ×4, first 2 shown]
	ds_read2_b64 v[102:105], v112 offset0:2 offset1:3
	s_add_i32 s17, s9, -8
	s_waitcnt lgkmcnt(1)
	v_fmac_f64_e32 v[92:93], v[106:107], v[98:99]
	s_set_gpr_idx_on s16, gpr_idx(SRC0)
	v_mov_b32_e32 v107, v34
	s_set_gpr_idx_off
	s_add_i32 s18, s9, -5
	v_fmac_f64_e32 v[92:93], v[108:109], v[100:101]
	s_set_gpr_idx_on s17, gpr_idx(SRC0)
	v_mov_b32_e32 v106, v34
	s_set_gpr_idx_off
	s_add_i32 s19, s9, -6
	s_set_gpr_idx_on s18, gpr_idx(SRC0)
	v_mov_b32_e32 v109, v34
	s_set_gpr_idx_off
	s_add_i32 s20, s9, -3
	;; [unrolled: 4-line block ×3, first 2 shown]
	ds_read2_b64 v[98:101], v112 offset0:4 offset1:5
	s_waitcnt lgkmcnt(1)
	v_fmac_f64_e32 v[92:93], v[110:111], v[102:103]
	s_set_gpr_idx_on s20, gpr_idx(SRC0)
	v_mov_b32_e32 v111, v34
	s_set_gpr_idx_off
	s_add_i32 s22, s9, -1
	v_fmac_f64_e32 v[92:93], v[106:107], v[104:105]
	s_set_gpr_idx_on s21, gpr_idx(SRC0)
	v_mov_b32_e32 v110, v34
	s_set_gpr_idx_off
	s_add_i32 s23, s9, -2
	s_set_gpr_idx_on s22, gpr_idx(SRC0)
	v_mov_b32_e32 v107, v34
	s_set_gpr_idx_off
	s_set_gpr_idx_on s23, gpr_idx(SRC0)
	v_mov_b32_e32 v106, v34
	s_set_gpr_idx_off
	ds_read2_b64 v[102:105], v112 offset0:6 offset1:7
	s_add_u32 s2, s2, 8
	s_waitcnt lgkmcnt(1)
	v_fmac_f64_e32 v[92:93], v[108:109], v[98:99]
	s_set_gpr_idx_on s9, gpr_idx(SRC0)
	v_mov_b32_e32 v99, v35
	s_set_gpr_idx_off
	v_add_u32_e32 v94, s2, v96
	v_fmac_f64_e32 v[92:93], v[110:111], v[100:101]
	s_set_gpr_idx_on s9, gpr_idx(SRC0)
	v_mov_b32_e32 v98, v34
	s_set_gpr_idx_off
	s_addc_u32 s3, s3, 0
	s_add_i32 s8, s8, 64
	s_add_i32 s10, s2, -7
	v_cmp_eq_u32_e32 vcc, 8, v94
	s_waitcnt lgkmcnt(0)
	v_fmac_f64_e32 v[92:93], v[106:107], v[102:103]
	v_mov_b32_e32 v94, s10
	s_or_b64 s[6:7], vcc, s[6:7]
	v_fmac_f64_e32 v[92:93], v[98:99], v[104:105]
	s_andn2_b64 exec, exec, s[6:7]
	s_cbranch_execnz .LBB76_169
; %bb.170:
	s_or_b64 exec, exec, s[6:7]
.LBB76_171:
	s_or_b64 exec, exec, s[0:1]
	v_and_b32_e32 v60, 7, v95
	v_cmp_ne_u32_e32 vcc, 0, v60
	s_and_saveexec_b64 s[6:7], vcc
	s_cbranch_execz .LBB76_175
; %bb.172:
	v_mov_b32_e32 v61, 0x70
	v_lshl_add_u32 v61, v94, 3, v61
	v_mov_b32_e32 v95, 0
	s_mov_b64 s[8:9], 0
.LBB76_173:                             ; =>This Inner Loop Header: Depth=1
	v_cmp_eq_u32_e32 vcc, 1, v94
	v_add_u32_e32 v60, -1, v60
	v_cmp_eq_u32_e64 s[0:1], 2, v94
	v_cndmask_b32_e32 v64, v35, v37, vcc
	v_cndmask_b32_e32 v65, v34, v36, vcc
	v_cndmask_b32_e64 v64, v64, v39, s[0:1]
	v_cmp_eq_u32_e32 vcc, 0, v60
	v_cmp_eq_u32_e64 s[2:3], 3, v94
	v_cndmask_b32_e64 v65, v65, v38, s[0:1]
	s_or_b64 s[8:9], vcc, s[8:9]
	v_cndmask_b32_e64 v64, v64, v41, s[2:3]
	v_cmp_eq_u32_e32 vcc, 4, v94
	v_cndmask_b32_e64 v65, v65, v40, s[2:3]
	v_cmp_eq_u32_e64 s[0:1], 5, v94
	v_cndmask_b32_e32 v64, v64, v43, vcc
	v_cndmask_b32_e32 v65, v65, v42, vcc
	v_cndmask_b32_e64 v64, v64, v45, s[0:1]
	v_cmp_eq_u32_e32 vcc, 6, v94
	v_cndmask_b32_e64 v65, v65, v44, s[0:1]
	v_cmp_eq_u32_e64 s[0:1], 7, v94
	v_cndmask_b32_e32 v64, v64, v47, vcc
	v_cndmask_b32_e32 v65, v65, v46, vcc
	v_cndmask_b32_e64 v64, v64, v49, s[0:1]
	v_cmp_eq_u32_e32 vcc, 8, v94
	v_cndmask_b32_e64 v65, v65, v48, s[0:1]
	v_cmp_eq_u32_e64 s[0:1], 9, v94
	v_cndmask_b32_e32 v64, v64, v51, vcc
	ds_read_b64 v[62:63], v61
	v_cndmask_b32_e64 v64, v64, v53, s[0:1]
	v_cndmask_b32_e32 v65, v65, v50, vcc
	v_cmp_eq_u32_e32 vcc, 10, v94
	v_cndmask_b32_e64 v65, v65, v52, s[0:1]
	v_cmp_eq_u32_e64 s[0:1], 11, v94
	v_cndmask_b32_e32 v64, v64, v55, vcc
	v_cmp_eq_u32_e64 s[2:3], 12, v94
	v_cndmask_b32_e64 v64, v64, v57, s[0:1]
	v_cndmask_b32_e32 v96, v65, v54, vcc
	v_cndmask_b32_e64 v65, v64, v59, s[2:3]
	v_cndmask_b32_e64 v64, v96, v56, s[0:1]
	;; [unrolled: 1-line block ×3, first 2 shown]
	v_add_u32_e32 v61, 8, v61
	v_lshl_add_u64 v[94:95], v[94:95], 0, 1
	s_waitcnt lgkmcnt(0)
	v_fmac_f64_e32 v[92:93], v[64:65], v[62:63]
	s_andn2_b64 exec, exec, s[8:9]
	s_cbranch_execnz .LBB76_173
; %bb.174:
	s_or_b64 exec, exec, s[8:9]
.LBB76_175:
	s_or_b64 exec, exec, s[6:7]
.LBB76_176:
	s_or_b64 exec, exec, s[4:5]
	v_mov_b32_e32 v34, 0
	ds_read_b64 v[34:35], v34
	s_waitcnt lgkmcnt(0)
	v_mul_f64 v[34:35], v[92:93], v[34:35]
.LBB76_177:
	s_or_b64 exec, exec, s[24:25]
	s_branch .LBB76_301
.LBB76_178:
	v_cmp_eq_u32_e64 s[2:3], 0, v0
	s_waitcnt vmcnt(0) lgkmcnt(0)
	ds_write_b64 v97, v[4:5]
	s_waitcnt lgkmcnt(0)
	; wave barrier
	s_and_saveexec_b64 s[24:25], s[2:3]
	s_cbranch_execz .LBB76_184
; %bb.179:
	s_and_b64 vcc, exec, s[26:27]
	s_cbranch_vccz .LBB76_181
; %bb.180:
	v_cmp_eq_u32_e32 vcc, 1, v0
	v_cmp_eq_u32_e64 s[0:1], 2, v0
	v_cmp_eq_u32_e64 s[4:5], 3, v0
	v_cndmask_b32_e32 v5, v3, v5, vcc
	v_cndmask_b32_e32 v4, v2, v4, vcc
	v_cndmask_b32_e64 v5, v5, v7, s[0:1]
	v_cndmask_b32_e64 v4, v4, v6, s[0:1]
	v_cndmask_b32_e64 v5, v5, v9, s[4:5]
	v_cmp_eq_u32_e64 s[6:7], 4, v0
	v_cndmask_b32_e64 v4, v4, v8, s[4:5]
	v_cmp_eq_u32_e64 s[8:9], 5, v0
	v_cndmask_b32_e64 v5, v5, v11, s[6:7]
	v_cndmask_b32_e64 v4, v4, v10, s[6:7]
	v_cndmask_b32_e64 v5, v5, v13, s[8:9]
	v_cmp_eq_u32_e64 s[10:11], 6, v0
	v_cndmask_b32_e64 v4, v4, v12, s[8:9]
	v_cmp_eq_u32_e64 s[12:13], 7, v0
	;; [unrolled: 6-line block ×3, first 2 shown]
	v_cndmask_b32_e64 v5, v5, v19, s[14:15]
	v_cndmask_b32_e64 v4, v4, v18, s[14:15]
	ds_read_b64 v[28:29], v97
	v_cndmask_b32_e64 v5, v5, v21, s[16:17]
	v_cmp_eq_u32_e64 s[18:19], 10, v0
	v_cndmask_b32_e64 v4, v4, v20, s[16:17]
	v_cmp_eq_u32_e64 s[20:21], 11, v0
	v_cndmask_b32_e64 v5, v5, v23, s[18:19]
	v_cndmask_b32_e64 v4, v4, v22, s[18:19]
	;; [unrolled: 1-line block ×3, first 2 shown]
	v_cmp_eq_u32_e64 s[22:23], 12, v0
	v_cndmask_b32_e64 v4, v4, v24, s[20:21]
	s_nop 0
	v_cndmask_b32_e64 v5, v5, v27, s[22:23]
	v_cndmask_b32_e64 v4, v4, v26, s[22:23]
	s_waitcnt lgkmcnt(0)
	v_mul_f64 v[4:5], v[4:5], v[28:29]
	s_cbranch_execz .LBB76_182
	s_branch .LBB76_183
.LBB76_181:
                                        ; implicit-def: $vgpr4_vgpr5
.LBB76_182:
	ds_read_b64 v[4:5], v97
.LBB76_183:
	v_mov_b32_e32 v28, 0
	ds_read_b64 v[28:29], v28 offset:8
	s_waitcnt lgkmcnt(0)
	v_mul_f64 v[4:5], v[4:5], v[28:29]
.LBB76_184:
	s_or_b64 exec, exec, s[24:25]
	v_cndmask_b32_e64 v34, 0, 1, s[26:27]
	v_cmp_gt_u32_e32 vcc, 2, v0
	v_cmp_ne_u32_e64 s[0:1], 1, v34
	ds_write_b64 v97, v[6:7]
	s_waitcnt lgkmcnt(0)
	; wave barrier
	s_and_saveexec_b64 s[26:27], vcc
	s_cbranch_execz .LBB76_190
; %bb.185:
	s_and_b64 vcc, exec, s[0:1]
	s_cbranch_vccnz .LBB76_187
; %bb.186:
	v_cmp_eq_u32_e32 vcc, 1, v0
	v_cmp_eq_u32_e64 s[4:5], 2, v0
	v_cmp_eq_u32_e64 s[6:7], 3, v0
	v_cndmask_b32_e32 v28, v3, v5, vcc
	v_cndmask_b32_e64 v7, v28, v7, s[4:5]
	v_cndmask_b32_e32 v28, v2, v4, vcc
	v_cndmask_b32_e64 v6, v28, v6, s[4:5]
	v_cndmask_b32_e64 v7, v7, v9, s[6:7]
	v_cmp_eq_u32_e64 s[8:9], 4, v0
	v_cndmask_b32_e64 v6, v6, v8, s[6:7]
	v_cmp_eq_u32_e64 s[10:11], 5, v0
	v_cndmask_b32_e64 v7, v7, v11, s[8:9]
	v_cndmask_b32_e64 v6, v6, v10, s[8:9]
	v_cndmask_b32_e64 v7, v7, v13, s[10:11]
	v_cmp_eq_u32_e64 s[12:13], 6, v0
	v_cndmask_b32_e64 v6, v6, v12, s[10:11]
	v_cmp_eq_u32_e64 s[14:15], 7, v0
	v_cndmask_b32_e64 v7, v7, v15, s[12:13]
	;; [unrolled: 6-line block ×3, first 2 shown]
	v_cndmask_b32_e64 v6, v6, v18, s[16:17]
	ds_read_b64 v[28:29], v97
	v_cndmask_b32_e64 v7, v7, v21, s[18:19]
	v_cmp_eq_u32_e64 s[20:21], 10, v0
	v_cndmask_b32_e64 v6, v6, v20, s[18:19]
	v_cmp_eq_u32_e64 s[22:23], 11, v0
	v_cndmask_b32_e64 v7, v7, v23, s[20:21]
	v_cndmask_b32_e64 v6, v6, v22, s[20:21]
	;; [unrolled: 1-line block ×3, first 2 shown]
	v_cmp_eq_u32_e64 s[24:25], 12, v0
	v_cndmask_b32_e64 v6, v6, v24, s[22:23]
	s_nop 0
	v_cndmask_b32_e64 v7, v7, v27, s[24:25]
	v_cndmask_b32_e64 v6, v6, v26, s[24:25]
	s_waitcnt lgkmcnt(0)
	v_mul_f64 v[6:7], v[6:7], v[28:29]
	s_cbranch_execz .LBB76_188
	s_branch .LBB76_189
.LBB76_187:
                                        ; implicit-def: $vgpr6_vgpr7
.LBB76_188:
	ds_read_b64 v[6:7], v97
.LBB76_189:
	v_mov_b32_e32 v28, 0
	ds_read2_b64 v[28:31], v28 offset0:2 offset1:15
	s_waitcnt lgkmcnt(0)
	v_fma_f64 v[30:31], v[4:5], v[30:31], v[6:7]
	v_cndmask_b32_e64 v7, v7, v31, s[2:3]
	v_cndmask_b32_e64 v6, v6, v30, s[2:3]
	v_mul_f64 v[6:7], v[6:7], v[28:29]
.LBB76_190:
	s_or_b64 exec, exec, s[26:27]
	v_add_u32_e32 v34, 1, v0
	v_cmp_gt_u32_e64 s[4:5], 3, v0
	ds_write_b64 v97, v[8:9]
	s_waitcnt lgkmcnt(0)
	; wave barrier
	s_and_saveexec_b64 s[28:29], s[4:5]
	s_cbranch_execz .LBB76_198
; %bb.191:
	s_and_b64 vcc, exec, s[0:1]
	s_cbranch_vccnz .LBB76_193
; %bb.192:
	v_cmp_eq_u32_e32 vcc, 1, v0
	v_cmp_eq_u32_e64 s[6:7], 2, v0
	v_cmp_eq_u32_e64 s[8:9], 3, v0
	v_cndmask_b32_e32 v28, v3, v5, vcc
	v_cndmask_b32_e64 v28, v28, v7, s[6:7]
	v_cndmask_b32_e64 v28, v28, v9, s[8:9]
	v_cmp_eq_u32_e64 s[10:11], 4, v0
	v_cmp_eq_u32_e64 s[12:13], 5, v0
	v_cmp_eq_u32_e64 s[14:15], 6, v0
	v_cndmask_b32_e64 v28, v28, v11, s[10:11]
	v_cndmask_b32_e64 v28, v28, v13, s[12:13]
	v_cndmask_b32_e64 v28, v28, v15, s[14:15]
	v_cmp_eq_u32_e64 s[16:17], 7, v0
	v_cmp_eq_u32_e64 s[18:19], 8, v0
	v_cmp_eq_u32_e64 s[20:21], 9, v0
	v_cndmask_b32_e64 v28, v28, v17, s[16:17]
	;; [unrolled: 6-line block ×3, first 2 shown]
	v_cndmask_b32_e64 v28, v28, v25, s[24:25]
	v_cndmask_b32_e64 v29, v28, v27, s[26:27]
	v_cndmask_b32_e32 v28, v2, v4, vcc
	v_cndmask_b32_e64 v28, v28, v6, s[6:7]
	v_cndmask_b32_e64 v28, v28, v8, s[8:9]
	;; [unrolled: 1-line block ×7, first 2 shown]
	ds_read_b64 v[30:31], v97
	v_cndmask_b32_e64 v28, v28, v20, s[20:21]
	v_cndmask_b32_e64 v28, v28, v22, s[22:23]
	;; [unrolled: 1-line block ×4, first 2 shown]
	s_waitcnt lgkmcnt(0)
	v_mul_f64 v[28:29], v[28:29], v[30:31]
	s_cbranch_execz .LBB76_194
	s_branch .LBB76_195
.LBB76_193:
                                        ; implicit-def: $vgpr28_vgpr29
.LBB76_194:
	ds_read_b64 v[28:29], v97
.LBB76_195:
	v_cmp_ne_u32_e32 vcc, 2, v0
	s_and_saveexec_b64 s[30:31], vcc
	s_cbranch_execz .LBB76_197
; %bb.196:
	v_cmp_eq_u32_e32 vcc, 1, v34
	v_cmp_eq_u32_e64 s[6:7], 2, v34
	v_cmp_eq_u32_e64 s[8:9], 3, v34
	v_cndmask_b32_e32 v30, v3, v5, vcc
	v_cndmask_b32_e64 v30, v30, v7, s[6:7]
	v_cndmask_b32_e64 v9, v30, v9, s[8:9]
	v_cndmask_b32_e32 v30, v2, v4, vcc
	v_cndmask_b32_e64 v30, v30, v6, s[6:7]
	v_cmp_eq_u32_e64 s[10:11], 4, v34
	v_cndmask_b32_e64 v8, v30, v8, s[8:9]
	v_cmp_eq_u32_e64 s[12:13], 5, v34
	v_cndmask_b32_e64 v9, v9, v11, s[10:11]
	v_cndmask_b32_e64 v8, v8, v10, s[10:11]
	v_cndmask_b32_e64 v9, v9, v13, s[12:13]
	v_cmp_eq_u32_e64 s[14:15], 6, v34
	v_cndmask_b32_e64 v8, v8, v12, s[12:13]
	v_cmp_eq_u32_e64 s[16:17], 7, v34
	v_cndmask_b32_e64 v9, v9, v15, s[14:15]
	v_cndmask_b32_e64 v8, v8, v14, s[14:15]
	;; [unrolled: 6-line block ×3, first 2 shown]
	v_mov_b32_e32 v32, 0
	v_cndmask_b32_e64 v9, v9, v21, s[20:21]
	v_cmp_eq_u32_e64 s[22:23], 10, v34
	v_cndmask_b32_e64 v8, v8, v20, s[20:21]
	ds_read_b64 v[30:31], v97 offset:8
	ds_read_b64 v[32:33], v32 offset:128
	v_cndmask_b32_e64 v9, v9, v23, s[22:23]
	v_cmp_eq_u32_e64 s[24:25], 11, v34
	v_cndmask_b32_e64 v8, v8, v22, s[22:23]
	v_cmp_eq_u32_e64 s[26:27], 12, v34
	v_cndmask_b32_e64 v9, v9, v25, s[24:25]
	v_cndmask_b32_e64 v8, v8, v24, s[24:25]
	;; [unrolled: 1-line block ×4, first 2 shown]
	s_waitcnt lgkmcnt(1)
	v_fmac_f64_e32 v[28:29], v[8:9], v[30:31]
	s_waitcnt lgkmcnt(0)
	v_fma_f64 v[8:9], v[6:7], v[32:33], v[28:29]
	v_cndmask_b32_e64 v29, v29, v9, s[2:3]
	v_cndmask_b32_e64 v28, v28, v8, s[2:3]
.LBB76_197:
	s_or_b64 exec, exec, s[30:31]
	v_mov_b32_e32 v8, 0
	ds_read_b64 v[8:9], v8 offset:24
	s_waitcnt lgkmcnt(0)
	v_mul_f64 v[8:9], v[28:29], v[8:9]
.LBB76_198:
	s_or_b64 exec, exec, s[28:29]
	v_cmp_gt_u32_e32 vcc, 4, v0
	ds_write_b64 v97, v[10:11]
	s_waitcnt lgkmcnt(0)
	; wave barrier
	s_and_saveexec_b64 s[28:29], vcc
	s_cbranch_execz .LBB76_208
; %bb.199:
	s_and_b64 vcc, exec, s[0:1]
	s_cbranch_vccnz .LBB76_201
; %bb.200:
	v_cmp_eq_u32_e32 vcc, 1, v0
	v_cmp_eq_u32_e64 s[6:7], 2, v0
	v_cmp_eq_u32_e64 s[8:9], 3, v0
	v_cndmask_b32_e32 v28, v3, v5, vcc
	v_cndmask_b32_e64 v28, v28, v7, s[6:7]
	v_cndmask_b32_e64 v28, v28, v9, s[8:9]
	v_cmp_eq_u32_e64 s[10:11], 4, v0
	v_cmp_eq_u32_e64 s[12:13], 5, v0
	v_cmp_eq_u32_e64 s[14:15], 6, v0
	v_cndmask_b32_e64 v28, v28, v11, s[10:11]
	v_cndmask_b32_e64 v28, v28, v13, s[12:13]
	v_cndmask_b32_e64 v28, v28, v15, s[14:15]
	v_cmp_eq_u32_e64 s[16:17], 7, v0
	v_cmp_eq_u32_e64 s[18:19], 8, v0
	v_cmp_eq_u32_e64 s[20:21], 9, v0
	v_cndmask_b32_e64 v28, v28, v17, s[16:17]
	;; [unrolled: 6-line block ×3, first 2 shown]
	v_cndmask_b32_e64 v28, v28, v25, s[24:25]
	v_cndmask_b32_e64 v29, v28, v27, s[26:27]
	v_cndmask_b32_e32 v28, v2, v4, vcc
	v_cndmask_b32_e64 v28, v28, v6, s[6:7]
	v_cndmask_b32_e64 v28, v28, v8, s[8:9]
	;; [unrolled: 1-line block ×7, first 2 shown]
	ds_read_b64 v[30:31], v97
	v_cndmask_b32_e64 v28, v28, v20, s[20:21]
	v_cndmask_b32_e64 v28, v28, v22, s[22:23]
	;; [unrolled: 1-line block ×4, first 2 shown]
	s_waitcnt lgkmcnt(0)
	v_mul_f64 v[28:29], v[28:29], v[30:31]
	s_cbranch_execz .LBB76_202
	s_branch .LBB76_203
.LBB76_201:
                                        ; implicit-def: $vgpr28_vgpr29
.LBB76_202:
	ds_read_b64 v[28:29], v97
.LBB76_203:
	v_cmp_ne_u32_e32 vcc, 3, v0
	s_and_saveexec_b64 s[10:11], vcc
	s_cbranch_execz .LBB76_207
; %bb.204:
	v_mov_b32_e32 v30, 0x78
	v_lshl_add_u32 v32, v0, 3, v30
	s_mov_b64 s[12:13], 0
	v_mov_b64_e32 v[30:31], v[0:1]
.LBB76_205:                             ; =>This Inner Loop Header: Depth=1
	v_lshl_add_u64 v[30:31], v[30:31], 0, 1
	v_cmp_eq_u32_e32 vcc, 1, v30
	v_cmp_eq_u32_e64 s[8:9], 2, v30
	v_cmp_lt_u32_e64 s[6:7], 2, v30
	v_cndmask_b32_e32 v33, v3, v5, vcc
	v_cndmask_b32_e64 v33, v33, v7, s[8:9]
	v_cndmask_b32_e32 v35, v2, v4, vcc
	v_cmp_eq_u32_e32 vcc, 3, v30
	s_or_b64 s[12:13], s[6:7], s[12:13]
	v_cndmask_b32_e64 v35, v35, v6, s[8:9]
	v_cndmask_b32_e32 v33, v33, v9, vcc
	v_cmp_eq_u32_e64 s[6:7], 4, v30
	v_cndmask_b32_e32 v35, v35, v8, vcc
	v_cmp_eq_u32_e32 vcc, 5, v30
	v_cndmask_b32_e64 v33, v33, v11, s[6:7]
	v_cndmask_b32_e64 v35, v35, v10, s[6:7]
	v_cndmask_b32_e32 v33, v33, v13, vcc
	v_cmp_eq_u32_e64 s[6:7], 6, v30
	v_cndmask_b32_e32 v35, v35, v12, vcc
	v_cmp_eq_u32_e32 vcc, 7, v30
	v_cndmask_b32_e64 v33, v33, v15, s[6:7]
	;; [unrolled: 6-line block ×3, first 2 shown]
	ds_read_b64 v[36:37], v32
	v_cndmask_b32_e32 v33, v33, v21, vcc
	v_cndmask_b32_e64 v35, v35, v18, s[6:7]
	v_cmp_eq_u32_e64 s[6:7], 10, v30
	v_cndmask_b32_e32 v35, v35, v20, vcc
	v_cmp_eq_u32_e32 vcc, 11, v30
	v_cndmask_b32_e64 v33, v33, v23, s[6:7]
	v_cndmask_b32_e64 v35, v35, v22, s[6:7]
	v_cndmask_b32_e32 v33, v33, v25, vcc
	v_cmp_eq_u32_e64 s[6:7], 12, v30
	v_add_u32_e32 v32, 8, v32
	s_nop 0
	v_cndmask_b32_e64 v39, v33, v27, s[6:7]
	v_cndmask_b32_e32 v33, v35, v24, vcc
	v_cndmask_b32_e64 v38, v33, v26, s[6:7]
	s_waitcnt lgkmcnt(0)
	v_fmac_f64_e32 v[28:29], v[38:39], v[36:37]
	s_andn2_b64 exec, exec, s[12:13]
	s_cbranch_execnz .LBB76_205
; %bb.206:
	s_or_b64 exec, exec, s[12:13]
.LBB76_207:
	s_or_b64 exec, exec, s[10:11]
	v_mov_b32_e32 v10, 0
	ds_read_b64 v[10:11], v10 offset:32
	s_waitcnt lgkmcnt(0)
	v_mul_f64 v[10:11], v[28:29], v[10:11]
.LBB76_208:
	s_or_b64 exec, exec, s[28:29]
	v_cmp_gt_u32_e64 s[6:7], 5, v0
	ds_write_b64 v97, v[12:13]
	s_waitcnt lgkmcnt(0)
	; wave barrier
	s_and_saveexec_b64 s[30:31], s[6:7]
	s_cbranch_execz .LBB76_218
; %bb.209:
	s_and_b64 vcc, exec, s[0:1]
	s_cbranch_vccnz .LBB76_211
; %bb.210:
	v_cmp_eq_u32_e32 vcc, 1, v0
	v_cmp_eq_u32_e64 s[8:9], 2, v0
	v_cmp_eq_u32_e64 s[10:11], 3, v0
	v_cndmask_b32_e32 v28, v3, v5, vcc
	v_cndmask_b32_e64 v28, v28, v7, s[8:9]
	v_cndmask_b32_e64 v28, v28, v9, s[10:11]
	v_cmp_eq_u32_e64 s[12:13], 4, v0
	v_cmp_eq_u32_e64 s[14:15], 5, v0
	v_cmp_eq_u32_e64 s[16:17], 6, v0
	v_cndmask_b32_e64 v28, v28, v11, s[12:13]
	v_cndmask_b32_e64 v28, v28, v13, s[14:15]
	v_cndmask_b32_e64 v28, v28, v15, s[16:17]
	v_cmp_eq_u32_e64 s[18:19], 7, v0
	v_cmp_eq_u32_e64 s[20:21], 8, v0
	v_cmp_eq_u32_e64 s[22:23], 9, v0
	v_cndmask_b32_e64 v28, v28, v17, s[18:19]
	;; [unrolled: 6-line block ×3, first 2 shown]
	v_cndmask_b32_e64 v28, v28, v25, s[26:27]
	v_cndmask_b32_e64 v29, v28, v27, s[28:29]
	v_cndmask_b32_e32 v28, v2, v4, vcc
	v_cndmask_b32_e64 v28, v28, v6, s[8:9]
	v_cndmask_b32_e64 v28, v28, v8, s[10:11]
	;; [unrolled: 1-line block ×7, first 2 shown]
	ds_read_b64 v[30:31], v97
	v_cndmask_b32_e64 v28, v28, v20, s[22:23]
	v_cndmask_b32_e64 v28, v28, v22, s[24:25]
	;; [unrolled: 1-line block ×4, first 2 shown]
	s_waitcnt lgkmcnt(0)
	v_mul_f64 v[28:29], v[28:29], v[30:31]
	s_cbranch_execz .LBB76_212
	s_branch .LBB76_213
.LBB76_211:
                                        ; implicit-def: $vgpr28_vgpr29
.LBB76_212:
	ds_read_b64 v[28:29], v97
.LBB76_213:
	v_cmp_ne_u32_e32 vcc, 4, v0
	s_and_saveexec_b64 s[12:13], vcc
	s_cbranch_execz .LBB76_217
; %bb.214:
	v_mov_b32_e32 v30, 0x78
	v_lshl_add_u32 v32, v0, 3, v30
	s_mov_b64 s[14:15], 0
	v_mov_b64_e32 v[30:31], v[0:1]
.LBB76_215:                             ; =>This Inner Loop Header: Depth=1
	v_lshl_add_u64 v[30:31], v[30:31], 0, 1
	v_cmp_eq_u32_e32 vcc, 1, v30
	v_cmp_eq_u32_e64 s[10:11], 2, v30
	v_cmp_lt_u32_e64 s[8:9], 3, v30
	v_cndmask_b32_e32 v33, v3, v5, vcc
	v_cndmask_b32_e64 v33, v33, v7, s[10:11]
	v_cndmask_b32_e32 v35, v2, v4, vcc
	v_cmp_eq_u32_e32 vcc, 3, v30
	s_or_b64 s[14:15], s[8:9], s[14:15]
	v_cndmask_b32_e64 v35, v35, v6, s[10:11]
	v_cndmask_b32_e32 v33, v33, v9, vcc
	v_cmp_eq_u32_e64 s[8:9], 4, v30
	v_cndmask_b32_e32 v35, v35, v8, vcc
	v_cmp_eq_u32_e32 vcc, 5, v30
	v_cndmask_b32_e64 v33, v33, v11, s[8:9]
	v_cndmask_b32_e64 v35, v35, v10, s[8:9]
	v_cndmask_b32_e32 v33, v33, v13, vcc
	v_cmp_eq_u32_e64 s[8:9], 6, v30
	v_cndmask_b32_e32 v35, v35, v12, vcc
	v_cmp_eq_u32_e32 vcc, 7, v30
	v_cndmask_b32_e64 v33, v33, v15, s[8:9]
	;; [unrolled: 6-line block ×3, first 2 shown]
	ds_read_b64 v[36:37], v32
	v_cndmask_b32_e32 v33, v33, v21, vcc
	v_cndmask_b32_e64 v35, v35, v18, s[8:9]
	v_cmp_eq_u32_e64 s[8:9], 10, v30
	v_cndmask_b32_e32 v35, v35, v20, vcc
	v_cmp_eq_u32_e32 vcc, 11, v30
	v_cndmask_b32_e64 v33, v33, v23, s[8:9]
	v_cndmask_b32_e64 v35, v35, v22, s[8:9]
	v_cndmask_b32_e32 v33, v33, v25, vcc
	v_cmp_eq_u32_e64 s[8:9], 12, v30
	v_add_u32_e32 v32, 8, v32
	s_nop 0
	v_cndmask_b32_e64 v39, v33, v27, s[8:9]
	v_cndmask_b32_e32 v33, v35, v24, vcc
	v_cndmask_b32_e64 v38, v33, v26, s[8:9]
	s_waitcnt lgkmcnt(0)
	v_fmac_f64_e32 v[28:29], v[38:39], v[36:37]
	s_andn2_b64 exec, exec, s[14:15]
	s_cbranch_execnz .LBB76_215
; %bb.216:
	s_or_b64 exec, exec, s[14:15]
.LBB76_217:
	s_or_b64 exec, exec, s[12:13]
	v_mov_b32_e32 v12, 0
	ds_read_b64 v[12:13], v12 offset:40
	s_waitcnt lgkmcnt(0)
	v_mul_f64 v[12:13], v[28:29], v[12:13]
.LBB76_218:
	s_or_b64 exec, exec, s[30:31]
	v_cmp_gt_u32_e32 vcc, 6, v0
	ds_write_b64 v97, v[14:15]
	s_waitcnt lgkmcnt(0)
	; wave barrier
	s_and_saveexec_b64 s[30:31], vcc
	s_cbranch_execz .LBB76_228
; %bb.219:
	s_and_b64 vcc, exec, s[0:1]
	s_cbranch_vccnz .LBB76_221
; %bb.220:
	v_cmp_eq_u32_e32 vcc, 1, v0
	v_cmp_eq_u32_e64 s[8:9], 2, v0
	v_cmp_eq_u32_e64 s[10:11], 3, v0
	v_cndmask_b32_e32 v28, v3, v5, vcc
	v_cndmask_b32_e64 v28, v28, v7, s[8:9]
	v_cndmask_b32_e64 v28, v28, v9, s[10:11]
	v_cmp_eq_u32_e64 s[12:13], 4, v0
	v_cmp_eq_u32_e64 s[14:15], 5, v0
	v_cmp_eq_u32_e64 s[16:17], 6, v0
	v_cndmask_b32_e64 v28, v28, v11, s[12:13]
	v_cndmask_b32_e64 v28, v28, v13, s[14:15]
	v_cndmask_b32_e64 v28, v28, v15, s[16:17]
	v_cmp_eq_u32_e64 s[18:19], 7, v0
	v_cmp_eq_u32_e64 s[20:21], 8, v0
	v_cmp_eq_u32_e64 s[22:23], 9, v0
	v_cndmask_b32_e64 v28, v28, v17, s[18:19]
	;; [unrolled: 6-line block ×3, first 2 shown]
	v_cndmask_b32_e64 v28, v28, v25, s[26:27]
	v_cndmask_b32_e64 v29, v28, v27, s[28:29]
	v_cndmask_b32_e32 v28, v2, v4, vcc
	v_cndmask_b32_e64 v28, v28, v6, s[8:9]
	v_cndmask_b32_e64 v28, v28, v8, s[10:11]
	;; [unrolled: 1-line block ×7, first 2 shown]
	ds_read_b64 v[30:31], v97
	v_cndmask_b32_e64 v28, v28, v20, s[22:23]
	v_cndmask_b32_e64 v28, v28, v22, s[24:25]
	;; [unrolled: 1-line block ×4, first 2 shown]
	s_waitcnt lgkmcnt(0)
	v_mul_f64 v[28:29], v[28:29], v[30:31]
	s_cbranch_execz .LBB76_222
	s_branch .LBB76_223
.LBB76_221:
                                        ; implicit-def: $vgpr28_vgpr29
.LBB76_222:
	ds_read_b64 v[28:29], v97
.LBB76_223:
	v_cmp_ne_u32_e32 vcc, 5, v0
	s_and_saveexec_b64 s[12:13], vcc
	s_cbranch_execz .LBB76_227
; %bb.224:
	v_mov_b32_e32 v30, 0x78
	v_lshl_add_u32 v32, v0, 3, v30
	s_mov_b64 s[14:15], 0
	v_mov_b64_e32 v[30:31], v[0:1]
.LBB76_225:                             ; =>This Inner Loop Header: Depth=1
	v_lshl_add_u64 v[30:31], v[30:31], 0, 1
	v_cmp_eq_u32_e32 vcc, 1, v30
	v_cmp_eq_u32_e64 s[10:11], 2, v30
	v_cmp_lt_u32_e64 s[8:9], 4, v30
	v_cndmask_b32_e32 v33, v3, v5, vcc
	v_cndmask_b32_e64 v33, v33, v7, s[10:11]
	v_cndmask_b32_e32 v35, v2, v4, vcc
	v_cmp_eq_u32_e32 vcc, 3, v30
	s_or_b64 s[14:15], s[8:9], s[14:15]
	v_cndmask_b32_e64 v35, v35, v6, s[10:11]
	v_cndmask_b32_e32 v33, v33, v9, vcc
	v_cmp_eq_u32_e64 s[8:9], 4, v30
	v_cndmask_b32_e32 v35, v35, v8, vcc
	v_cmp_eq_u32_e32 vcc, 5, v30
	v_cndmask_b32_e64 v33, v33, v11, s[8:9]
	v_cndmask_b32_e64 v35, v35, v10, s[8:9]
	v_cndmask_b32_e32 v33, v33, v13, vcc
	v_cmp_eq_u32_e64 s[8:9], 6, v30
	v_cndmask_b32_e32 v35, v35, v12, vcc
	v_cmp_eq_u32_e32 vcc, 7, v30
	v_cndmask_b32_e64 v33, v33, v15, s[8:9]
	v_cndmask_b32_e64 v35, v35, v14, s[8:9]
	v_cndmask_b32_e32 v33, v33, v17, vcc
	v_cmp_eq_u32_e64 s[8:9], 8, v30
	v_cndmask_b32_e32 v35, v35, v16, vcc
	v_cmp_eq_u32_e32 vcc, 9, v30
	v_cndmask_b32_e64 v33, v33, v19, s[8:9]
	ds_read_b64 v[36:37], v32
	v_cndmask_b32_e32 v33, v33, v21, vcc
	v_cndmask_b32_e64 v35, v35, v18, s[8:9]
	v_cmp_eq_u32_e64 s[8:9], 10, v30
	v_cndmask_b32_e32 v35, v35, v20, vcc
	v_cmp_eq_u32_e32 vcc, 11, v30
	v_cndmask_b32_e64 v33, v33, v23, s[8:9]
	v_cndmask_b32_e64 v35, v35, v22, s[8:9]
	v_cndmask_b32_e32 v33, v33, v25, vcc
	v_cmp_eq_u32_e64 s[8:9], 12, v30
	v_add_u32_e32 v32, 8, v32
	s_nop 0
	v_cndmask_b32_e64 v39, v33, v27, s[8:9]
	v_cndmask_b32_e32 v33, v35, v24, vcc
	v_cndmask_b32_e64 v38, v33, v26, s[8:9]
	s_waitcnt lgkmcnt(0)
	v_fmac_f64_e32 v[28:29], v[38:39], v[36:37]
	s_andn2_b64 exec, exec, s[14:15]
	s_cbranch_execnz .LBB76_225
; %bb.226:
	s_or_b64 exec, exec, s[14:15]
.LBB76_227:
	s_or_b64 exec, exec, s[12:13]
	v_mov_b32_e32 v14, 0
	ds_read_b64 v[14:15], v14 offset:48
	s_waitcnt lgkmcnt(0)
	v_mul_f64 v[14:15], v[28:29], v[14:15]
.LBB76_228:
	s_or_b64 exec, exec, s[30:31]
	v_cmp_gt_u32_e64 s[8:9], 7, v0
	ds_write_b64 v97, v[16:17]
	s_waitcnt lgkmcnt(0)
	; wave barrier
	s_and_saveexec_b64 s[34:35], s[8:9]
	s_cbranch_execz .LBB76_238
; %bb.229:
	s_and_b64 vcc, exec, s[0:1]
	s_cbranch_vccnz .LBB76_231
; %bb.230:
	v_cmp_eq_u32_e32 vcc, 1, v0
	v_cmp_eq_u32_e64 s[10:11], 2, v0
	v_cmp_eq_u32_e64 s[12:13], 3, v0
	v_cndmask_b32_e32 v28, v3, v5, vcc
	v_cndmask_b32_e64 v28, v28, v7, s[10:11]
	v_cndmask_b32_e64 v28, v28, v9, s[12:13]
	v_cmp_eq_u32_e64 s[14:15], 4, v0
	v_cmp_eq_u32_e64 s[16:17], 5, v0
	v_cmp_eq_u32_e64 s[18:19], 6, v0
	v_cndmask_b32_e64 v28, v28, v11, s[14:15]
	v_cndmask_b32_e64 v28, v28, v13, s[16:17]
	v_cndmask_b32_e64 v28, v28, v15, s[18:19]
	v_cmp_eq_u32_e64 s[20:21], 7, v0
	v_cmp_eq_u32_e64 s[22:23], 8, v0
	v_cmp_eq_u32_e64 s[24:25], 9, v0
	v_cndmask_b32_e64 v28, v28, v17, s[20:21]
	v_cndmask_b32_e64 v28, v28, v19, s[22:23]
	v_cndmask_b32_e64 v28, v28, v21, s[24:25]
	v_cmp_eq_u32_e64 s[26:27], 10, v0
	v_cmp_eq_u32_e64 s[28:29], 11, v0
	v_cmp_eq_u32_e64 s[30:31], 12, v0
	v_cndmask_b32_e64 v28, v28, v23, s[26:27]
	v_cndmask_b32_e64 v28, v28, v25, s[28:29]
	v_cndmask_b32_e64 v29, v28, v27, s[30:31]
	v_cndmask_b32_e32 v28, v2, v4, vcc
	v_cndmask_b32_e64 v28, v28, v6, s[10:11]
	v_cndmask_b32_e64 v28, v28, v8, s[12:13]
	;; [unrolled: 1-line block ×7, first 2 shown]
	ds_read_b64 v[30:31], v97
	v_cndmask_b32_e64 v28, v28, v20, s[24:25]
	v_cndmask_b32_e64 v28, v28, v22, s[26:27]
	v_cndmask_b32_e64 v28, v28, v24, s[28:29]
	v_cndmask_b32_e64 v28, v28, v26, s[30:31]
	s_waitcnt lgkmcnt(0)
	v_mul_f64 v[28:29], v[28:29], v[30:31]
	s_cbranch_execz .LBB76_232
	s_branch .LBB76_233
.LBB76_231:
                                        ; implicit-def: $vgpr28_vgpr29
.LBB76_232:
	ds_read_b64 v[28:29], v97
.LBB76_233:
	v_cmp_ne_u32_e32 vcc, 6, v0
	s_and_saveexec_b64 s[14:15], vcc
	s_cbranch_execz .LBB76_237
; %bb.234:
	v_mov_b32_e32 v30, 0x78
	v_lshl_add_u32 v32, v0, 3, v30
	s_mov_b64 s[16:17], 0
	v_mov_b64_e32 v[30:31], v[0:1]
.LBB76_235:                             ; =>This Inner Loop Header: Depth=1
	v_lshl_add_u64 v[30:31], v[30:31], 0, 1
	v_cmp_eq_u32_e32 vcc, 1, v30
	v_cmp_eq_u32_e64 s[12:13], 2, v30
	v_cmp_lt_u32_e64 s[10:11], 5, v30
	v_cndmask_b32_e32 v33, v3, v5, vcc
	v_cndmask_b32_e64 v33, v33, v7, s[12:13]
	v_cndmask_b32_e32 v35, v2, v4, vcc
	v_cmp_eq_u32_e32 vcc, 3, v30
	s_or_b64 s[16:17], s[10:11], s[16:17]
	v_cndmask_b32_e64 v35, v35, v6, s[12:13]
	v_cndmask_b32_e32 v33, v33, v9, vcc
	v_cmp_eq_u32_e64 s[10:11], 4, v30
	v_cndmask_b32_e32 v35, v35, v8, vcc
	v_cmp_eq_u32_e32 vcc, 5, v30
	v_cndmask_b32_e64 v33, v33, v11, s[10:11]
	v_cndmask_b32_e64 v35, v35, v10, s[10:11]
	v_cndmask_b32_e32 v33, v33, v13, vcc
	v_cmp_eq_u32_e64 s[10:11], 6, v30
	v_cndmask_b32_e32 v35, v35, v12, vcc
	v_cmp_eq_u32_e32 vcc, 7, v30
	v_cndmask_b32_e64 v33, v33, v15, s[10:11]
	;; [unrolled: 6-line block ×3, first 2 shown]
	ds_read_b64 v[36:37], v32
	v_cndmask_b32_e32 v33, v33, v21, vcc
	v_cndmask_b32_e64 v35, v35, v18, s[10:11]
	v_cmp_eq_u32_e64 s[10:11], 10, v30
	v_cndmask_b32_e32 v35, v35, v20, vcc
	v_cmp_eq_u32_e32 vcc, 11, v30
	v_cndmask_b32_e64 v33, v33, v23, s[10:11]
	v_cndmask_b32_e64 v35, v35, v22, s[10:11]
	v_cndmask_b32_e32 v33, v33, v25, vcc
	v_cmp_eq_u32_e64 s[10:11], 12, v30
	v_add_u32_e32 v32, 8, v32
	s_nop 0
	v_cndmask_b32_e64 v39, v33, v27, s[10:11]
	v_cndmask_b32_e32 v33, v35, v24, vcc
	v_cndmask_b32_e64 v38, v33, v26, s[10:11]
	s_waitcnt lgkmcnt(0)
	v_fmac_f64_e32 v[28:29], v[38:39], v[36:37]
	s_andn2_b64 exec, exec, s[16:17]
	s_cbranch_execnz .LBB76_235
; %bb.236:
	s_or_b64 exec, exec, s[16:17]
.LBB76_237:
	s_or_b64 exec, exec, s[14:15]
	v_mov_b32_e32 v16, 0
	ds_read_b64 v[16:17], v16 offset:56
	s_waitcnt lgkmcnt(0)
	v_mul_f64 v[16:17], v[28:29], v[16:17]
.LBB76_238:
	s_or_b64 exec, exec, s[34:35]
	v_cmp_gt_u32_e32 vcc, 8, v0
	ds_write_b64 v97, v[18:19]
	s_waitcnt lgkmcnt(0)
	; wave barrier
	s_and_saveexec_b64 s[34:35], vcc
	s_cbranch_execz .LBB76_248
; %bb.239:
	s_and_b64 vcc, exec, s[0:1]
	s_cbranch_vccnz .LBB76_241
; %bb.240:
	v_cmp_eq_u32_e32 vcc, 1, v0
	v_cmp_eq_u32_e64 s[10:11], 2, v0
	v_cmp_eq_u32_e64 s[12:13], 3, v0
	v_cndmask_b32_e32 v28, v3, v5, vcc
	v_cndmask_b32_e64 v28, v28, v7, s[10:11]
	v_cndmask_b32_e64 v28, v28, v9, s[12:13]
	v_cmp_eq_u32_e64 s[14:15], 4, v0
	v_cmp_eq_u32_e64 s[16:17], 5, v0
	v_cmp_eq_u32_e64 s[18:19], 6, v0
	v_cndmask_b32_e64 v28, v28, v11, s[14:15]
	v_cndmask_b32_e64 v28, v28, v13, s[16:17]
	v_cndmask_b32_e64 v28, v28, v15, s[18:19]
	v_cmp_eq_u32_e64 s[20:21], 7, v0
	v_cmp_eq_u32_e64 s[22:23], 8, v0
	v_cmp_eq_u32_e64 s[24:25], 9, v0
	v_cndmask_b32_e64 v28, v28, v17, s[20:21]
	;; [unrolled: 6-line block ×3, first 2 shown]
	v_cndmask_b32_e64 v28, v28, v25, s[28:29]
	v_cndmask_b32_e64 v29, v28, v27, s[30:31]
	v_cndmask_b32_e32 v28, v2, v4, vcc
	v_cndmask_b32_e64 v28, v28, v6, s[10:11]
	v_cndmask_b32_e64 v28, v28, v8, s[12:13]
	;; [unrolled: 1-line block ×7, first 2 shown]
	ds_read_b64 v[30:31], v97
	v_cndmask_b32_e64 v28, v28, v20, s[24:25]
	v_cndmask_b32_e64 v28, v28, v22, s[26:27]
	;; [unrolled: 1-line block ×4, first 2 shown]
	s_waitcnt lgkmcnt(0)
	v_mul_f64 v[28:29], v[28:29], v[30:31]
	s_cbranch_execz .LBB76_242
	s_branch .LBB76_243
.LBB76_241:
                                        ; implicit-def: $vgpr28_vgpr29
.LBB76_242:
	ds_read_b64 v[28:29], v97
.LBB76_243:
	v_cmp_ne_u32_e32 vcc, 7, v0
	s_and_saveexec_b64 s[14:15], vcc
	s_cbranch_execz .LBB76_247
; %bb.244:
	v_mov_b32_e32 v30, 0x78
	v_lshl_add_u32 v32, v0, 3, v30
	s_mov_b64 s[16:17], 0
	v_mov_b64_e32 v[30:31], v[0:1]
.LBB76_245:                             ; =>This Inner Loop Header: Depth=1
	v_lshl_add_u64 v[30:31], v[30:31], 0, 1
	v_cmp_eq_u32_e32 vcc, 1, v30
	v_cmp_eq_u32_e64 s[12:13], 2, v30
	v_cmp_lt_u32_e64 s[10:11], 6, v30
	v_cndmask_b32_e32 v33, v3, v5, vcc
	v_cndmask_b32_e64 v33, v33, v7, s[12:13]
	v_cndmask_b32_e32 v35, v2, v4, vcc
	v_cmp_eq_u32_e32 vcc, 3, v30
	s_or_b64 s[16:17], s[10:11], s[16:17]
	v_cndmask_b32_e64 v35, v35, v6, s[12:13]
	v_cndmask_b32_e32 v33, v33, v9, vcc
	v_cmp_eq_u32_e64 s[10:11], 4, v30
	v_cndmask_b32_e32 v35, v35, v8, vcc
	v_cmp_eq_u32_e32 vcc, 5, v30
	v_cndmask_b32_e64 v33, v33, v11, s[10:11]
	v_cndmask_b32_e64 v35, v35, v10, s[10:11]
	v_cndmask_b32_e32 v33, v33, v13, vcc
	v_cmp_eq_u32_e64 s[10:11], 6, v30
	v_cndmask_b32_e32 v35, v35, v12, vcc
	v_cmp_eq_u32_e32 vcc, 7, v30
	v_cndmask_b32_e64 v33, v33, v15, s[10:11]
	;; [unrolled: 6-line block ×3, first 2 shown]
	ds_read_b64 v[36:37], v32
	v_cndmask_b32_e32 v33, v33, v21, vcc
	v_cndmask_b32_e64 v35, v35, v18, s[10:11]
	v_cmp_eq_u32_e64 s[10:11], 10, v30
	v_cndmask_b32_e32 v35, v35, v20, vcc
	v_cmp_eq_u32_e32 vcc, 11, v30
	v_cndmask_b32_e64 v33, v33, v23, s[10:11]
	v_cndmask_b32_e64 v35, v35, v22, s[10:11]
	v_cndmask_b32_e32 v33, v33, v25, vcc
	v_cmp_eq_u32_e64 s[10:11], 12, v30
	v_add_u32_e32 v32, 8, v32
	s_nop 0
	v_cndmask_b32_e64 v39, v33, v27, s[10:11]
	v_cndmask_b32_e32 v33, v35, v24, vcc
	v_cndmask_b32_e64 v38, v33, v26, s[10:11]
	s_waitcnt lgkmcnt(0)
	v_fmac_f64_e32 v[28:29], v[38:39], v[36:37]
	s_andn2_b64 exec, exec, s[16:17]
	s_cbranch_execnz .LBB76_245
; %bb.246:
	s_or_b64 exec, exec, s[16:17]
.LBB76_247:
	s_or_b64 exec, exec, s[14:15]
	v_mov_b32_e32 v18, 0
	ds_read_b64 v[18:19], v18 offset:64
	s_waitcnt lgkmcnt(0)
	v_mul_f64 v[18:19], v[28:29], v[18:19]
.LBB76_248:
	s_or_b64 exec, exec, s[34:35]
	v_cmp_gt_u32_e32 vcc, 9, v0
	ds_write_b64 v97, v[20:21]
	s_waitcnt lgkmcnt(0)
	; wave barrier
	s_and_saveexec_b64 s[34:35], vcc
	s_cbranch_execz .LBB76_270
; %bb.249:
	s_and_b64 vcc, exec, s[0:1]
	s_cbranch_vccnz .LBB76_251
; %bb.250:
	v_cmp_eq_u32_e32 vcc, 1, v0
	v_cmp_eq_u32_e64 s[10:11], 2, v0
	v_cmp_eq_u32_e64 s[12:13], 3, v0
	v_cndmask_b32_e32 v28, v3, v5, vcc
	v_cndmask_b32_e64 v28, v28, v7, s[10:11]
	v_cndmask_b32_e64 v28, v28, v9, s[12:13]
	v_cmp_eq_u32_e64 s[14:15], 4, v0
	v_cmp_eq_u32_e64 s[16:17], 5, v0
	v_cmp_eq_u32_e64 s[18:19], 6, v0
	v_cndmask_b32_e64 v28, v28, v11, s[14:15]
	v_cndmask_b32_e64 v28, v28, v13, s[16:17]
	v_cndmask_b32_e64 v28, v28, v15, s[18:19]
	v_cmp_eq_u32_e64 s[20:21], 7, v0
	v_cmp_eq_u32_e64 s[22:23], 8, v0
	v_cmp_eq_u32_e64 s[24:25], 9, v0
	v_cndmask_b32_e64 v28, v28, v17, s[20:21]
	;; [unrolled: 6-line block ×3, first 2 shown]
	v_cndmask_b32_e64 v28, v28, v25, s[28:29]
	v_cndmask_b32_e64 v29, v28, v27, s[30:31]
	v_cndmask_b32_e32 v28, v2, v4, vcc
	v_cndmask_b32_e64 v28, v28, v6, s[10:11]
	v_cndmask_b32_e64 v28, v28, v8, s[12:13]
	;; [unrolled: 1-line block ×7, first 2 shown]
	ds_read_b64 v[30:31], v97
	v_cndmask_b32_e64 v28, v28, v20, s[24:25]
	v_cndmask_b32_e64 v28, v28, v22, s[26:27]
	;; [unrolled: 1-line block ×4, first 2 shown]
	s_waitcnt lgkmcnt(0)
	v_mul_f64 v[28:29], v[28:29], v[30:31]
	s_cbranch_execz .LBB76_252
	s_branch .LBB76_253
.LBB76_251:
                                        ; implicit-def: $vgpr28_vgpr29
.LBB76_252:
	ds_read_b64 v[28:29], v97
.LBB76_253:
	v_cmp_ne_u32_e32 vcc, 8, v0
	s_and_saveexec_b64 s[36:37], vcc
	s_cbranch_execz .LBB76_269
; %bb.254:
	v_cmp_eq_u32_e32 vcc, 1, v34
	v_cmp_eq_u32_e64 s[10:11], 2, v34
	v_cmp_eq_u32_e64 s[12:13], 3, v34
	v_cndmask_b32_e32 v30, v3, v5, vcc
	v_cndmask_b32_e64 v30, v30, v7, s[10:11]
	v_cndmask_b32_e64 v30, v30, v9, s[12:13]
	v_cmp_eq_u32_e64 s[14:15], 4, v34
	v_cmp_eq_u32_e64 s[16:17], 5, v34
	v_cmp_eq_u32_e64 s[18:19], 6, v34
	v_cndmask_b32_e64 v30, v30, v11, s[14:15]
	v_cndmask_b32_e64 v30, v30, v13, s[16:17]
	v_cndmask_b32_e64 v30, v30, v15, s[18:19]
	v_cmp_eq_u32_e64 s[20:21], 7, v34
	v_cmp_eq_u32_e64 s[22:23], 8, v34
	v_cmp_eq_u32_e64 s[24:25], 9, v34
	v_cndmask_b32_e64 v30, v30, v17, s[20:21]
	;; [unrolled: 6-line block ×3, first 2 shown]
	v_cndmask_b32_e64 v30, v30, v25, s[28:29]
	v_cndmask_b32_e64 v31, v30, v27, s[30:31]
	v_cndmask_b32_e32 v30, v2, v4, vcc
	v_cndmask_b32_e64 v30, v30, v6, s[10:11]
	v_cndmask_b32_e64 v30, v30, v8, s[12:13]
	;; [unrolled: 1-line block ×7, first 2 shown]
	ds_read_b64 v[32:33], v97 offset:8
	v_cndmask_b32_e64 v30, v30, v20, s[24:25]
	v_cndmask_b32_e64 v30, v30, v22, s[26:27]
	v_cndmask_b32_e64 v30, v30, v24, s[28:29]
	v_cndmask_b32_e64 v30, v30, v26, s[30:31]
	s_waitcnt lgkmcnt(0)
	v_fmac_f64_e32 v[28:29], v[30:31], v[32:33]
	s_and_saveexec_b64 s[30:31], s[8:9]
	s_cbranch_execz .LBB76_268
; %bb.255:
	v_add_u32_e32 v30, 2, v0
	v_cmp_eq_u32_e32 vcc, 1, v30
	v_cmp_eq_u32_e64 s[8:9], 2, v30
	v_cmp_eq_u32_e64 s[10:11], 3, v30
	v_cndmask_b32_e32 v31, v3, v5, vcc
	v_cmp_eq_u32_e64 s[12:13], 4, v30
	v_cmp_eq_u32_e64 s[14:15], 5, v30
	;; [unrolled: 1-line block ×9, first 2 shown]
	v_cndmask_b32_e32 v30, v2, v4, vcc
	v_cndmask_b32_e64 v31, v31, v7, s[8:9]
	v_cndmask_b32_e64 v30, v30, v6, s[8:9]
	;; [unrolled: 1-line block ×14, first 2 shown]
	ds_read_b64 v[32:33], v97 offset:16
	v_cndmask_b32_e64 v31, v31, v21, s[22:23]
	v_cndmask_b32_e64 v30, v30, v20, s[22:23]
	;; [unrolled: 1-line block ×8, first 2 shown]
	s_waitcnt lgkmcnt(0)
	v_fmac_f64_e32 v[28:29], v[30:31], v[32:33]
	v_cmp_ne_u32_e32 vcc, 6, v0
	s_and_saveexec_b64 s[38:39], vcc
	s_cbranch_execz .LBB76_267
; %bb.256:
	v_add_u32_e32 v30, 3, v0
	v_cmp_eq_u32_e32 vcc, 1, v30
	v_cmp_eq_u32_e64 s[8:9], 2, v30
	v_cmp_eq_u32_e64 s[10:11], 3, v30
	v_cndmask_b32_e32 v31, v3, v5, vcc
	v_cmp_eq_u32_e64 s[12:13], 4, v30
	v_cmp_eq_u32_e64 s[14:15], 5, v30
	;; [unrolled: 1-line block ×9, first 2 shown]
	v_cndmask_b32_e32 v30, v2, v4, vcc
	v_cndmask_b32_e64 v31, v31, v7, s[8:9]
	v_cndmask_b32_e64 v30, v30, v6, s[8:9]
	;; [unrolled: 1-line block ×14, first 2 shown]
	ds_read_b64 v[32:33], v97 offset:24
	v_cndmask_b32_e64 v31, v31, v21, s[22:23]
	v_cndmask_b32_e64 v30, v30, v20, s[22:23]
	;; [unrolled: 1-line block ×8, first 2 shown]
	s_waitcnt lgkmcnt(0)
	v_fmac_f64_e32 v[28:29], v[30:31], v[32:33]
	s_and_saveexec_b64 s[28:29], s[6:7]
	s_cbranch_execz .LBB76_266
; %bb.257:
	v_add_u32_e32 v30, 4, v0
	v_cmp_eq_u32_e32 vcc, 1, v30
	v_cmp_eq_u32_e64 s[6:7], 2, v30
	v_cmp_eq_u32_e64 s[8:9], 3, v30
	v_cndmask_b32_e32 v31, v3, v5, vcc
	v_cmp_eq_u32_e64 s[10:11], 4, v30
	v_cmp_eq_u32_e64 s[12:13], 5, v30
	;; [unrolled: 1-line block ×9, first 2 shown]
	v_cndmask_b32_e32 v30, v2, v4, vcc
	v_cndmask_b32_e64 v31, v31, v7, s[6:7]
	v_cndmask_b32_e64 v30, v30, v6, s[6:7]
	;; [unrolled: 1-line block ×14, first 2 shown]
	ds_read_b64 v[32:33], v97 offset:32
	v_cndmask_b32_e64 v31, v31, v21, s[20:21]
	v_cndmask_b32_e64 v30, v30, v20, s[20:21]
	;; [unrolled: 1-line block ×8, first 2 shown]
	s_waitcnt lgkmcnt(0)
	v_fmac_f64_e32 v[28:29], v[30:31], v[32:33]
	v_cmp_ne_u32_e32 vcc, 4, v0
	s_and_saveexec_b64 s[40:41], vcc
	s_cbranch_execz .LBB76_265
; %bb.258:
	v_add_u32_e32 v30, 5, v0
	v_cmp_eq_u32_e32 vcc, 1, v30
	v_cmp_eq_u32_e64 s[6:7], 2, v30
	v_cmp_eq_u32_e64 s[8:9], 3, v30
	v_cndmask_b32_e32 v31, v3, v5, vcc
	v_cmp_eq_u32_e64 s[10:11], 4, v30
	v_cmp_eq_u32_e64 s[12:13], 5, v30
	;; [unrolled: 1-line block ×9, first 2 shown]
	v_cndmask_b32_e32 v30, v2, v4, vcc
	v_cndmask_b32_e64 v31, v31, v7, s[6:7]
	v_cndmask_b32_e64 v30, v30, v6, s[6:7]
	v_cndmask_b32_e64 v31, v31, v9, s[8:9]
	v_cndmask_b32_e64 v30, v30, v8, s[8:9]
	v_cndmask_b32_e64 v31, v31, v11, s[10:11]
	v_cndmask_b32_e64 v30, v30, v10, s[10:11]
	v_cndmask_b32_e64 v31, v31, v13, s[12:13]
	v_cndmask_b32_e64 v30, v30, v12, s[12:13]
	v_cndmask_b32_e64 v31, v31, v15, s[14:15]
	v_cndmask_b32_e64 v30, v30, v14, s[14:15]
	v_cndmask_b32_e64 v31, v31, v17, s[16:17]
	v_cndmask_b32_e64 v30, v30, v16, s[16:17]
	v_cndmask_b32_e64 v31, v31, v19, s[18:19]
	v_cndmask_b32_e64 v30, v30, v18, s[18:19]
	ds_read_b64 v[32:33], v97 offset:40
	v_cndmask_b32_e64 v31, v31, v21, s[20:21]
	v_cndmask_b32_e64 v30, v30, v20, s[20:21]
	;; [unrolled: 1-line block ×8, first 2 shown]
	s_waitcnt lgkmcnt(0)
	v_fmac_f64_e32 v[28:29], v[30:31], v[32:33]
	s_and_saveexec_b64 s[26:27], s[4:5]
	s_cbranch_execz .LBB76_264
; %bb.259:
	v_add_u32_e32 v30, 6, v0
	v_cmp_eq_u32_e32 vcc, 1, v30
	v_cmp_eq_u32_e64 s[4:5], 2, v30
	v_cmp_eq_u32_e64 s[6:7], 3, v30
	v_cndmask_b32_e32 v31, v3, v5, vcc
	v_cmp_eq_u32_e64 s[8:9], 4, v30
	v_cmp_eq_u32_e64 s[10:11], 5, v30
	v_cmp_eq_u32_e64 s[12:13], 6, v30
	v_cmp_eq_u32_e64 s[14:15], 7, v30
	v_cmp_eq_u32_e64 s[16:17], 8, v30
	v_cmp_eq_u32_e64 s[18:19], 9, v30
	v_cmp_eq_u32_e64 s[20:21], 10, v30
	v_cmp_eq_u32_e64 s[22:23], 11, v30
	v_cmp_eq_u32_e64 s[24:25], 12, v30
	v_cndmask_b32_e32 v30, v2, v4, vcc
	v_cndmask_b32_e64 v31, v31, v7, s[4:5]
	v_cndmask_b32_e64 v30, v30, v6, s[4:5]
	;; [unrolled: 1-line block ×14, first 2 shown]
	ds_read_b64 v[32:33], v97 offset:48
	v_cndmask_b32_e64 v31, v31, v21, s[18:19]
	v_cndmask_b32_e64 v30, v30, v20, s[18:19]
	;; [unrolled: 1-line block ×8, first 2 shown]
	s_waitcnt lgkmcnt(0)
	v_fmac_f64_e32 v[28:29], v[30:31], v[32:33]
	v_cmp_ne_u32_e32 vcc, 2, v0
	s_and_saveexec_b64 s[42:43], vcc
	s_cbranch_execz .LBB76_263
; %bb.260:
	v_add_u32_e32 v30, 7, v0
	v_cmp_eq_u32_e32 vcc, 1, v30
	v_cmp_eq_u32_e64 s[4:5], 2, v30
	v_cmp_eq_u32_e64 s[6:7], 3, v30
	v_cndmask_b32_e32 v31, v3, v5, vcc
	v_cndmask_b32_e64 v31, v31, v7, s[4:5]
	v_cmp_eq_u32_e64 s[8:9], 4, v30
	v_cmp_eq_u32_e64 s[10:11], 5, v30
	v_cmp_eq_u32_e64 s[12:13], 6, v30
	v_cmp_eq_u32_e64 s[14:15], 7, v30
	v_cmp_eq_u32_e64 s[16:17], 8, v30
	v_cmp_eq_u32_e64 s[18:19], 9, v30
	v_cmp_eq_u32_e64 s[20:21], 10, v30
	v_cmp_eq_u32_e64 s[22:23], 11, v30
	v_cmp_eq_u32_e64 s[24:25], 12, v30
	v_cndmask_b32_e32 v30, v2, v4, vcc
	v_cndmask_b32_e64 v31, v31, v9, s[6:7]
	v_cndmask_b32_e64 v30, v30, v6, s[4:5]
	;; [unrolled: 1-line block ×14, first 2 shown]
	ds_read_b64 v[30:31], v97 offset:56
	v_cndmask_b32_e64 v20, v32, v20, s[18:19]
	v_cndmask_b32_e64 v21, v21, v23, s[20:21]
	;; [unrolled: 1-line block ×7, first 2 shown]
	s_waitcnt lgkmcnt(0)
	v_fmac_f64_e32 v[28:29], v[20:21], v[30:31]
	s_and_saveexec_b64 s[4:5], s[2:3]
	s_cbranch_execz .LBB76_262
; %bb.261:
	ds_read_b64 v[20:21], v97 offset:64
	s_waitcnt lgkmcnt(0)
	v_fmac_f64_e32 v[28:29], v[18:19], v[20:21]
.LBB76_262:
	s_or_b64 exec, exec, s[4:5]
.LBB76_263:
	s_or_b64 exec, exec, s[42:43]
.LBB76_264:
	s_or_b64 exec, exec, s[26:27]
.LBB76_265:
	s_or_b64 exec, exec, s[40:41]
.LBB76_266:
	s_or_b64 exec, exec, s[28:29]
.LBB76_267:
	s_or_b64 exec, exec, s[38:39]
.LBB76_268:
	s_or_b64 exec, exec, s[30:31]
.LBB76_269:
	s_or_b64 exec, exec, s[36:37]
	v_mov_b32_e32 v20, 0
	ds_read_b64 v[20:21], v20 offset:72
	s_waitcnt lgkmcnt(0)
	v_mul_f64 v[20:21], v[28:29], v[20:21]
.LBB76_270:
	s_or_b64 exec, exec, s[34:35]
	v_cmp_gt_u32_e32 vcc, 10, v0
	ds_write_b64 v97, v[22:23]
	s_waitcnt lgkmcnt(0)
	; wave barrier
	s_and_saveexec_b64 s[24:25], vcc
	s_cbranch_execz .LBB76_280
; %bb.271:
	s_and_b64 vcc, exec, s[0:1]
	s_cbranch_vccnz .LBB76_273
; %bb.272:
	v_cmp_eq_u32_e32 vcc, 1, v0
	v_cmp_eq_u32_e64 s[2:3], 2, v0
	v_cmp_eq_u32_e64 s[4:5], 3, v0
	v_cndmask_b32_e32 v28, v3, v5, vcc
	v_cndmask_b32_e64 v28, v28, v7, s[2:3]
	v_cndmask_b32_e64 v28, v28, v9, s[4:5]
	v_cmp_eq_u32_e64 s[6:7], 4, v0
	v_cmp_eq_u32_e64 s[8:9], 5, v0
	v_cmp_eq_u32_e64 s[10:11], 6, v0
	v_cndmask_b32_e64 v28, v28, v11, s[6:7]
	v_cndmask_b32_e64 v28, v28, v13, s[8:9]
	v_cndmask_b32_e64 v28, v28, v15, s[10:11]
	v_cmp_eq_u32_e64 s[12:13], 7, v0
	v_cmp_eq_u32_e64 s[14:15], 8, v0
	v_cmp_eq_u32_e64 s[16:17], 9, v0
	v_cndmask_b32_e64 v28, v28, v17, s[12:13]
	;; [unrolled: 6-line block ×3, first 2 shown]
	v_cndmask_b32_e64 v28, v28, v25, s[20:21]
	v_cndmask_b32_e64 v29, v28, v27, s[22:23]
	v_cndmask_b32_e32 v28, v2, v4, vcc
	v_cndmask_b32_e64 v28, v28, v6, s[2:3]
	v_cndmask_b32_e64 v28, v28, v8, s[4:5]
	;; [unrolled: 1-line block ×7, first 2 shown]
	ds_read_b64 v[30:31], v97
	v_cndmask_b32_e64 v28, v28, v20, s[16:17]
	v_cndmask_b32_e64 v28, v28, v22, s[18:19]
	;; [unrolled: 1-line block ×4, first 2 shown]
	s_waitcnt lgkmcnt(0)
	v_mul_f64 v[28:29], v[28:29], v[30:31]
	s_cbranch_execz .LBB76_274
	s_branch .LBB76_275
.LBB76_273:
                                        ; implicit-def: $vgpr28_vgpr29
.LBB76_274:
	ds_read_b64 v[28:29], v97
.LBB76_275:
	v_cmp_ne_u32_e32 vcc, 9, v0
	s_and_saveexec_b64 s[6:7], vcc
	s_cbranch_execz .LBB76_279
; %bb.276:
	v_mov_b32_e32 v30, 0x78
	v_lshl_add_u32 v32, v0, 3, v30
	s_mov_b64 s[8:9], 0
	v_mov_b64_e32 v[30:31], v[0:1]
.LBB76_277:                             ; =>This Inner Loop Header: Depth=1
	v_lshl_add_u64 v[30:31], v[30:31], 0, 1
	v_cmp_eq_u32_e32 vcc, 1, v30
	v_cmp_eq_u32_e64 s[4:5], 2, v30
	v_cmp_lt_u32_e64 s[2:3], 8, v30
	v_cndmask_b32_e32 v33, v3, v5, vcc
	v_cndmask_b32_e64 v33, v33, v7, s[4:5]
	v_cndmask_b32_e32 v36, v2, v4, vcc
	v_cmp_eq_u32_e32 vcc, 3, v30
	s_or_b64 s[8:9], s[2:3], s[8:9]
	v_cndmask_b32_e64 v36, v36, v6, s[4:5]
	v_cndmask_b32_e32 v33, v33, v9, vcc
	v_cmp_eq_u32_e64 s[2:3], 4, v30
	v_cndmask_b32_e32 v36, v36, v8, vcc
	v_cmp_eq_u32_e32 vcc, 5, v30
	v_cndmask_b32_e64 v33, v33, v11, s[2:3]
	v_cndmask_b32_e64 v36, v36, v10, s[2:3]
	v_cndmask_b32_e32 v33, v33, v13, vcc
	v_cmp_eq_u32_e64 s[2:3], 6, v30
	v_cndmask_b32_e32 v36, v36, v12, vcc
	v_cmp_eq_u32_e32 vcc, 7, v30
	v_cndmask_b32_e64 v33, v33, v15, s[2:3]
	;; [unrolled: 6-line block ×3, first 2 shown]
	ds_read_b64 v[34:35], v32
	v_cndmask_b32_e32 v33, v33, v21, vcc
	v_cndmask_b32_e64 v36, v36, v18, s[2:3]
	v_cmp_eq_u32_e64 s[2:3], 10, v30
	v_cndmask_b32_e32 v36, v36, v20, vcc
	v_cmp_eq_u32_e32 vcc, 11, v30
	v_cndmask_b32_e64 v33, v33, v23, s[2:3]
	v_cndmask_b32_e64 v36, v36, v22, s[2:3]
	v_cndmask_b32_e32 v33, v33, v25, vcc
	v_cmp_eq_u32_e64 s[2:3], 12, v30
	v_add_u32_e32 v32, 8, v32
	s_nop 0
	v_cndmask_b32_e64 v37, v33, v27, s[2:3]
	v_cndmask_b32_e32 v33, v36, v24, vcc
	v_cndmask_b32_e64 v36, v33, v26, s[2:3]
	s_waitcnt lgkmcnt(0)
	v_fmac_f64_e32 v[28:29], v[36:37], v[34:35]
	s_andn2_b64 exec, exec, s[8:9]
	s_cbranch_execnz .LBB76_277
; %bb.278:
	s_or_b64 exec, exec, s[8:9]
.LBB76_279:
	s_or_b64 exec, exec, s[6:7]
	v_mov_b32_e32 v22, 0
	ds_read_b64 v[22:23], v22 offset:80
	s_waitcnt lgkmcnt(0)
	v_mul_f64 v[22:23], v[28:29], v[22:23]
.LBB76_280:
	s_or_b64 exec, exec, s[24:25]
	v_cmp_gt_u32_e64 s[2:3], 11, v0
	ds_write_b64 v97, v[24:25]
	s_waitcnt lgkmcnt(0)
	; wave barrier
	s_and_saveexec_b64 s[26:27], s[2:3]
	s_cbranch_execz .LBB76_290
; %bb.281:
	s_and_b64 vcc, exec, s[0:1]
	s_cbranch_vccnz .LBB76_283
; %bb.282:
	v_cmp_eq_u32_e32 vcc, 1, v0
	v_cmp_eq_u32_e64 s[4:5], 2, v0
	v_cmp_eq_u32_e64 s[6:7], 3, v0
	v_cndmask_b32_e32 v28, v3, v5, vcc
	v_cndmask_b32_e64 v28, v28, v7, s[4:5]
	v_cndmask_b32_e64 v28, v28, v9, s[6:7]
	v_cmp_eq_u32_e64 s[8:9], 4, v0
	v_cmp_eq_u32_e64 s[10:11], 5, v0
	v_cmp_eq_u32_e64 s[12:13], 6, v0
	v_cndmask_b32_e64 v28, v28, v11, s[8:9]
	v_cndmask_b32_e64 v28, v28, v13, s[10:11]
	v_cndmask_b32_e64 v28, v28, v15, s[12:13]
	v_cmp_eq_u32_e64 s[14:15], 7, v0
	v_cmp_eq_u32_e64 s[16:17], 8, v0
	v_cmp_eq_u32_e64 s[18:19], 9, v0
	v_cndmask_b32_e64 v28, v28, v17, s[14:15]
	;; [unrolled: 6-line block ×3, first 2 shown]
	v_cndmask_b32_e64 v28, v28, v25, s[22:23]
	v_cndmask_b32_e64 v29, v28, v27, s[24:25]
	v_cndmask_b32_e32 v28, v2, v4, vcc
	v_cndmask_b32_e64 v28, v28, v6, s[4:5]
	v_cndmask_b32_e64 v28, v28, v8, s[6:7]
	;; [unrolled: 1-line block ×7, first 2 shown]
	ds_read_b64 v[30:31], v97
	v_cndmask_b32_e64 v28, v28, v20, s[18:19]
	v_cndmask_b32_e64 v28, v28, v22, s[20:21]
	;; [unrolled: 1-line block ×4, first 2 shown]
	s_waitcnt lgkmcnt(0)
	v_mul_f64 v[28:29], v[28:29], v[30:31]
	s_cbranch_execz .LBB76_284
	s_branch .LBB76_285
.LBB76_283:
                                        ; implicit-def: $vgpr28_vgpr29
.LBB76_284:
	ds_read_b64 v[28:29], v97
.LBB76_285:
	v_cmp_ne_u32_e32 vcc, 10, v0
	s_and_saveexec_b64 s[8:9], vcc
	s_cbranch_execz .LBB76_289
; %bb.286:
	v_mov_b32_e32 v30, 0x78
	v_lshl_add_u32 v32, v0, 3, v30
	s_mov_b64 s[10:11], 0
	v_mov_b64_e32 v[30:31], v[0:1]
.LBB76_287:                             ; =>This Inner Loop Header: Depth=1
	v_lshl_add_u64 v[30:31], v[30:31], 0, 1
	v_cmp_eq_u32_e32 vcc, 1, v30
	v_cmp_eq_u32_e64 s[6:7], 2, v30
	v_cmp_lt_u32_e64 s[4:5], 9, v30
	v_cndmask_b32_e32 v33, v3, v5, vcc
	v_cndmask_b32_e64 v33, v33, v7, s[6:7]
	v_cndmask_b32_e32 v36, v2, v4, vcc
	v_cmp_eq_u32_e32 vcc, 3, v30
	s_or_b64 s[10:11], s[4:5], s[10:11]
	v_cndmask_b32_e64 v36, v36, v6, s[6:7]
	v_cndmask_b32_e32 v33, v33, v9, vcc
	v_cmp_eq_u32_e64 s[4:5], 4, v30
	v_cndmask_b32_e32 v36, v36, v8, vcc
	v_cmp_eq_u32_e32 vcc, 5, v30
	v_cndmask_b32_e64 v33, v33, v11, s[4:5]
	v_cndmask_b32_e64 v36, v36, v10, s[4:5]
	v_cndmask_b32_e32 v33, v33, v13, vcc
	v_cmp_eq_u32_e64 s[4:5], 6, v30
	v_cndmask_b32_e32 v36, v36, v12, vcc
	v_cmp_eq_u32_e32 vcc, 7, v30
	v_cndmask_b32_e64 v33, v33, v15, s[4:5]
	;; [unrolled: 6-line block ×3, first 2 shown]
	ds_read_b64 v[34:35], v32
	v_cndmask_b32_e32 v33, v33, v21, vcc
	v_cndmask_b32_e64 v36, v36, v18, s[4:5]
	v_cmp_eq_u32_e64 s[4:5], 10, v30
	v_cndmask_b32_e32 v36, v36, v20, vcc
	v_cmp_eq_u32_e32 vcc, 11, v30
	v_cndmask_b32_e64 v33, v33, v23, s[4:5]
	v_cndmask_b32_e64 v36, v36, v22, s[4:5]
	v_cndmask_b32_e32 v33, v33, v25, vcc
	v_cmp_eq_u32_e64 s[4:5], 12, v30
	v_add_u32_e32 v32, 8, v32
	s_nop 0
	v_cndmask_b32_e64 v37, v33, v27, s[4:5]
	v_cndmask_b32_e32 v33, v36, v24, vcc
	v_cndmask_b32_e64 v36, v33, v26, s[4:5]
	s_waitcnt lgkmcnt(0)
	v_fmac_f64_e32 v[28:29], v[36:37], v[34:35]
	s_andn2_b64 exec, exec, s[10:11]
	s_cbranch_execnz .LBB76_287
; %bb.288:
	s_or_b64 exec, exec, s[10:11]
.LBB76_289:
	s_or_b64 exec, exec, s[8:9]
	v_mov_b32_e32 v24, 0
	ds_read_b64 v[24:25], v24 offset:88
	s_waitcnt lgkmcnt(0)
	v_mul_f64 v[24:25], v[28:29], v[24:25]
.LBB76_290:
	s_or_b64 exec, exec, s[26:27]
	v_cmp_ne_u32_e32 vcc, 12, v0
	ds_write_b64 v97, v[26:27]
	s_waitcnt lgkmcnt(0)
	; wave barrier
	s_and_saveexec_b64 s[24:25], vcc
	s_cbranch_execz .LBB76_300
; %bb.291:
	s_and_b64 vcc, exec, s[0:1]
	s_cbranch_vccnz .LBB76_293
; %bb.292:
	v_cmp_eq_u32_e32 vcc, 1, v0
	v_cmp_eq_u32_e64 s[0:1], 2, v0
	v_cmp_eq_u32_e64 s[4:5], 3, v0
	v_cndmask_b32_e32 v28, v3, v5, vcc
	v_cndmask_b32_e64 v28, v28, v7, s[0:1]
	v_cndmask_b32_e64 v28, v28, v9, s[4:5]
	v_cmp_eq_u32_e64 s[6:7], 4, v0
	v_cmp_eq_u32_e64 s[8:9], 5, v0
	v_cmp_eq_u32_e64 s[10:11], 6, v0
	v_cndmask_b32_e64 v28, v28, v11, s[6:7]
	v_cndmask_b32_e64 v28, v28, v13, s[8:9]
	v_cndmask_b32_e64 v28, v28, v15, s[10:11]
	v_cmp_eq_u32_e64 s[12:13], 7, v0
	v_cmp_eq_u32_e64 s[14:15], 8, v0
	v_cmp_eq_u32_e64 s[16:17], 9, v0
	v_cndmask_b32_e64 v28, v28, v17, s[12:13]
	;; [unrolled: 6-line block ×3, first 2 shown]
	v_cndmask_b32_e64 v28, v28, v25, s[20:21]
	v_cndmask_b32_e64 v29, v28, v27, s[22:23]
	v_cndmask_b32_e32 v28, v2, v4, vcc
	v_cndmask_b32_e64 v28, v28, v6, s[0:1]
	v_cndmask_b32_e64 v28, v28, v8, s[4:5]
	v_cndmask_b32_e64 v28, v28, v10, s[6:7]
	v_cndmask_b32_e64 v28, v28, v12, s[8:9]
	v_cndmask_b32_e64 v28, v28, v14, s[10:11]
	v_cndmask_b32_e64 v28, v28, v16, s[12:13]
	v_cndmask_b32_e64 v28, v28, v18, s[14:15]
	ds_read_b64 v[30:31], v97
	v_cndmask_b32_e64 v28, v28, v20, s[16:17]
	v_cndmask_b32_e64 v28, v28, v22, s[18:19]
	;; [unrolled: 1-line block ×4, first 2 shown]
	s_waitcnt lgkmcnt(0)
	v_mul_f64 v[28:29], v[28:29], v[30:31]
	s_cbranch_execz .LBB76_294
	s_branch .LBB76_295
.LBB76_293:
                                        ; implicit-def: $vgpr28_vgpr29
.LBB76_294:
	ds_read_b64 v[28:29], v97
.LBB76_295:
	s_and_saveexec_b64 s[4:5], s[2:3]
	s_cbranch_execz .LBB76_299
; %bb.296:
	v_mov_b32_e32 v30, 0x78
	v_lshl_add_u32 v30, v0, 3, v30
	s_mov_b64 s[6:7], 0
.LBB76_297:                             ; =>This Inner Loop Header: Depth=1
	v_lshl_add_u64 v[0:1], v[0:1], 0, 1
	v_cmp_eq_u32_e32 vcc, 1, v0
	v_cmp_eq_u32_e64 s[2:3], 2, v0
	v_cmp_lt_u32_e64 s[0:1], 10, v0
	v_cndmask_b32_e32 v31, v3, v5, vcc
	v_cndmask_b32_e64 v31, v31, v7, s[2:3]
	v_cndmask_b32_e32 v34, v2, v4, vcc
	v_cmp_eq_u32_e32 vcc, 3, v0
	s_or_b64 s[6:7], s[0:1], s[6:7]
	v_cndmask_b32_e64 v34, v34, v6, s[2:3]
	v_cndmask_b32_e32 v31, v31, v9, vcc
	v_cmp_eq_u32_e64 s[0:1], 4, v0
	v_cndmask_b32_e32 v34, v34, v8, vcc
	v_cmp_eq_u32_e32 vcc, 5, v0
	v_cndmask_b32_e64 v31, v31, v11, s[0:1]
	v_cndmask_b32_e64 v34, v34, v10, s[0:1]
	v_cndmask_b32_e32 v31, v31, v13, vcc
	v_cmp_eq_u32_e64 s[0:1], 6, v0
	v_cndmask_b32_e32 v34, v34, v12, vcc
	v_cmp_eq_u32_e32 vcc, 7, v0
	v_cndmask_b32_e64 v31, v31, v15, s[0:1]
	;; [unrolled: 6-line block ×3, first 2 shown]
	ds_read_b64 v[32:33], v30
	v_cndmask_b32_e32 v31, v31, v21, vcc
	v_cndmask_b32_e64 v34, v34, v18, s[0:1]
	v_cmp_eq_u32_e64 s[0:1], 10, v0
	v_cndmask_b32_e32 v34, v34, v20, vcc
	v_cmp_eq_u32_e32 vcc, 11, v0
	v_cndmask_b32_e64 v31, v31, v23, s[0:1]
	v_cndmask_b32_e64 v34, v34, v22, s[0:1]
	v_cndmask_b32_e32 v31, v31, v25, vcc
	v_cmp_eq_u32_e64 s[0:1], 12, v0
	v_add_u32_e32 v30, 8, v30
	s_nop 0
	v_cndmask_b32_e64 v35, v31, v27, s[0:1]
	v_cndmask_b32_e32 v31, v34, v24, vcc
	v_cndmask_b32_e64 v34, v31, v26, s[0:1]
	s_waitcnt lgkmcnt(0)
	v_fmac_f64_e32 v[28:29], v[34:35], v[32:33]
	s_andn2_b64 exec, exec, s[6:7]
	s_cbranch_execnz .LBB76_297
; %bb.298:
	s_or_b64 exec, exec, s[6:7]
.LBB76_299:
	s_or_b64 exec, exec, s[4:5]
	v_mov_b32_e32 v0, 0
	ds_read_b64 v[0:1], v0 offset:96
	s_waitcnt lgkmcnt(0)
	v_mul_f64 v[26:27], v[28:29], v[0:1]
.LBB76_300:
	s_or_b64 exec, exec, s[24:25]
	v_mov_b64_e32 v[64:65], v[32:33]
	v_mov_b64_e32 v[62:63], v[30:31]
	;; [unrolled: 1-line block ×16, first 2 shown]
.LBB76_301:
	flat_store_dwordx2 v[66:67], v[34:35]
	flat_store_dwordx2 v[68:69], v[36:37]
	;; [unrolled: 1-line block ×13, first 2 shown]
.LBB76_302:
	s_endpgm
	.section	.rodata,"a",@progbits
	.p2align	6, 0x0
	.amdhsa_kernel _ZN9rocsolver6v33100L18trti2_kernel_smallILi13EdPKPdEEv13rocblas_fill_17rocblas_diagonal_T1_iil
		.amdhsa_group_segment_fixed_size 216
		.amdhsa_private_segment_fixed_size 0
		.amdhsa_kernarg_size 32
		.amdhsa_user_sgpr_count 2
		.amdhsa_user_sgpr_dispatch_ptr 0
		.amdhsa_user_sgpr_queue_ptr 0
		.amdhsa_user_sgpr_kernarg_segment_ptr 1
		.amdhsa_user_sgpr_dispatch_id 0
		.amdhsa_user_sgpr_kernarg_preload_length 0
		.amdhsa_user_sgpr_kernarg_preload_offset 0
		.amdhsa_user_sgpr_private_segment_size 0
		.amdhsa_uses_dynamic_stack 0
		.amdhsa_enable_private_segment 0
		.amdhsa_system_sgpr_workgroup_id_x 1
		.amdhsa_system_sgpr_workgroup_id_y 0
		.amdhsa_system_sgpr_workgroup_id_z 0
		.amdhsa_system_sgpr_workgroup_info 0
		.amdhsa_system_vgpr_workitem_id 0
		.amdhsa_next_free_vgpr 120
		.amdhsa_next_free_sgpr 44
		.amdhsa_accum_offset 120
		.amdhsa_reserve_vcc 1
		.amdhsa_float_round_mode_32 0
		.amdhsa_float_round_mode_16_64 0
		.amdhsa_float_denorm_mode_32 3
		.amdhsa_float_denorm_mode_16_64 3
		.amdhsa_dx10_clamp 1
		.amdhsa_ieee_mode 1
		.amdhsa_fp16_overflow 0
		.amdhsa_tg_split 0
		.amdhsa_exception_fp_ieee_invalid_op 0
		.amdhsa_exception_fp_denorm_src 0
		.amdhsa_exception_fp_ieee_div_zero 0
		.amdhsa_exception_fp_ieee_overflow 0
		.amdhsa_exception_fp_ieee_underflow 0
		.amdhsa_exception_fp_ieee_inexact 0
		.amdhsa_exception_int_div_zero 0
	.end_amdhsa_kernel
	.section	.text._ZN9rocsolver6v33100L18trti2_kernel_smallILi13EdPKPdEEv13rocblas_fill_17rocblas_diagonal_T1_iil,"axG",@progbits,_ZN9rocsolver6v33100L18trti2_kernel_smallILi13EdPKPdEEv13rocblas_fill_17rocblas_diagonal_T1_iil,comdat
.Lfunc_end76:
	.size	_ZN9rocsolver6v33100L18trti2_kernel_smallILi13EdPKPdEEv13rocblas_fill_17rocblas_diagonal_T1_iil, .Lfunc_end76-_ZN9rocsolver6v33100L18trti2_kernel_smallILi13EdPKPdEEv13rocblas_fill_17rocblas_diagonal_T1_iil
                                        ; -- End function
	.set _ZN9rocsolver6v33100L18trti2_kernel_smallILi13EdPKPdEEv13rocblas_fill_17rocblas_diagonal_T1_iil.num_vgpr, 120
	.set _ZN9rocsolver6v33100L18trti2_kernel_smallILi13EdPKPdEEv13rocblas_fill_17rocblas_diagonal_T1_iil.num_agpr, 0
	.set _ZN9rocsolver6v33100L18trti2_kernel_smallILi13EdPKPdEEv13rocblas_fill_17rocblas_diagonal_T1_iil.numbered_sgpr, 44
	.set _ZN9rocsolver6v33100L18trti2_kernel_smallILi13EdPKPdEEv13rocblas_fill_17rocblas_diagonal_T1_iil.num_named_barrier, 0
	.set _ZN9rocsolver6v33100L18trti2_kernel_smallILi13EdPKPdEEv13rocblas_fill_17rocblas_diagonal_T1_iil.private_seg_size, 0
	.set _ZN9rocsolver6v33100L18trti2_kernel_smallILi13EdPKPdEEv13rocblas_fill_17rocblas_diagonal_T1_iil.uses_vcc, 1
	.set _ZN9rocsolver6v33100L18trti2_kernel_smallILi13EdPKPdEEv13rocblas_fill_17rocblas_diagonal_T1_iil.uses_flat_scratch, 0
	.set _ZN9rocsolver6v33100L18trti2_kernel_smallILi13EdPKPdEEv13rocblas_fill_17rocblas_diagonal_T1_iil.has_dyn_sized_stack, 0
	.set _ZN9rocsolver6v33100L18trti2_kernel_smallILi13EdPKPdEEv13rocblas_fill_17rocblas_diagonal_T1_iil.has_recursion, 0
	.set _ZN9rocsolver6v33100L18trti2_kernel_smallILi13EdPKPdEEv13rocblas_fill_17rocblas_diagonal_T1_iil.has_indirect_call, 0
	.section	.AMDGPU.csdata,"",@progbits
; Kernel info:
; codeLenInByte = 23112
; TotalNumSgprs: 50
; NumVgprs: 120
; NumAgprs: 0
; TotalNumVgprs: 120
; ScratchSize: 0
; MemoryBound: 0
; FloatMode: 240
; IeeeMode: 1
; LDSByteSize: 216 bytes/workgroup (compile time only)
; SGPRBlocks: 6
; VGPRBlocks: 14
; NumSGPRsForWavesPerEU: 50
; NumVGPRsForWavesPerEU: 120
; AccumOffset: 120
; Occupancy: 4
; WaveLimiterHint : 1
; COMPUTE_PGM_RSRC2:SCRATCH_EN: 0
; COMPUTE_PGM_RSRC2:USER_SGPR: 2
; COMPUTE_PGM_RSRC2:TRAP_HANDLER: 0
; COMPUTE_PGM_RSRC2:TGID_X_EN: 1
; COMPUTE_PGM_RSRC2:TGID_Y_EN: 0
; COMPUTE_PGM_RSRC2:TGID_Z_EN: 0
; COMPUTE_PGM_RSRC2:TIDIG_COMP_CNT: 0
; COMPUTE_PGM_RSRC3_GFX90A:ACCUM_OFFSET: 29
; COMPUTE_PGM_RSRC3_GFX90A:TG_SPLIT: 0
	.section	.text._ZN9rocsolver6v33100L18trti2_kernel_smallILi14EdPKPdEEv13rocblas_fill_17rocblas_diagonal_T1_iil,"axG",@progbits,_ZN9rocsolver6v33100L18trti2_kernel_smallILi14EdPKPdEEv13rocblas_fill_17rocblas_diagonal_T1_iil,comdat
	.globl	_ZN9rocsolver6v33100L18trti2_kernel_smallILi14EdPKPdEEv13rocblas_fill_17rocblas_diagonal_T1_iil ; -- Begin function _ZN9rocsolver6v33100L18trti2_kernel_smallILi14EdPKPdEEv13rocblas_fill_17rocblas_diagonal_T1_iil
	.p2align	8
	.type	_ZN9rocsolver6v33100L18trti2_kernel_smallILi14EdPKPdEEv13rocblas_fill_17rocblas_diagonal_T1_iil,@function
_ZN9rocsolver6v33100L18trti2_kernel_smallILi14EdPKPdEEv13rocblas_fill_17rocblas_diagonal_T1_iil: ; @_ZN9rocsolver6v33100L18trti2_kernel_smallILi14EdPKPdEEv13rocblas_fill_17rocblas_diagonal_T1_iil
; %bb.0:
	v_cmp_gt_u32_e32 vcc, 14, v0
	s_and_saveexec_b64 s[4:5], vcc
	s_cbranch_execz .LBB77_328
; %bb.1:
	s_load_dwordx2 s[4:5], s[0:1], 0x10
	s_load_dwordx4 s[28:31], s[0:1], 0x0
	s_ashr_i32 s3, s2, 31
	s_lshl_b64 s[0:1], s[2:3], 3
	v_mov_b32_e32 v1, 0
	s_waitcnt lgkmcnt(0)
	s_ashr_i32 s3, s4, 31
	s_add_u32 s0, s30, s0
	s_addc_u32 s1, s31, s1
	s_load_dwordx2 s[0:1], s[0:1], 0x0
	s_mov_b32 s2, s4
	s_lshl_b64 s[2:3], s[2:3], 3
	v_lshlrev_b32_e32 v34, 3, v0
	v_mov_b32_e32 v35, v1
	s_waitcnt lgkmcnt(0)
	s_add_u32 s0, s0, s2
	s_addc_u32 s1, s1, s3
	v_lshl_add_u64 v[66:67], s[0:1], 0, v[34:35]
	s_ashr_i32 s3, s5, 31
	s_mov_b32 s2, s5
	v_lshl_add_u64 v[68:69], s[2:3], 3, v[66:67]
	s_add_i32 s2, s5, s5
	v_add_u32_e32 v2, s2, v0
	v_add_u32_e32 v10, s5, v2
	v_ashrrev_i32_e32 v11, 31, v10
	v_lshl_add_u64 v[72:73], v[10:11], 3, s[0:1]
	v_add_u32_e32 v10, s5, v10
	v_ashrrev_i32_e32 v11, 31, v10
	v_lshl_add_u64 v[74:75], v[10:11], 3, s[0:1]
	;; [unrolled: 3-line block ×3, first 2 shown]
	v_add_u32_e32 v10, s5, v10
	v_add_u32_e32 v18, s5, v10
	v_ashrrev_i32_e32 v19, 31, v18
	v_lshl_add_u64 v[80:81], v[18:19], 3, s[0:1]
	v_add_u32_e32 v18, s5, v18
	v_ashrrev_i32_e32 v19, 31, v18
	v_lshl_add_u64 v[82:83], v[18:19], 3, s[0:1]
	;; [unrolled: 3-line block ×3, first 2 shown]
	v_add_u32_e32 v18, s5, v18
	v_add_u32_e32 v26, s5, v18
	v_ashrrev_i32_e32 v27, 31, v26
	v_lshl_add_u64 v[88:89], v[26:27], 3, s[0:1]
	v_add_u32_e32 v26, s5, v26
	v_ashrrev_i32_e32 v3, 31, v2
	v_ashrrev_i32_e32 v11, 31, v10
	;; [unrolled: 1-line block ×4, first 2 shown]
	v_lshl_add_u64 v[70:71], v[2:3], 3, s[0:1]
	flat_load_dwordx2 v[2:3], v[66:67]
	flat_load_dwordx2 v[4:5], v[68:69]
	flat_load_dwordx2 v[6:7], v[70:71]
	flat_load_dwordx2 v[8:9], v[72:73]
	v_lshl_add_u64 v[78:79], v[10:11], 3, s[0:1]
	flat_load_dwordx2 v[10:11], v[74:75]
	flat_load_dwordx2 v[12:13], v[76:77]
	flat_load_dwordx2 v[14:15], v[78:79]
	flat_load_dwordx2 v[16:17], v[80:81]
	;; [unrolled: 5-line block ×3, first 2 shown]
	v_lshl_add_u64 v[90:91], v[26:27], 3, s[0:1]
	v_add_u32_e32 v26, s5, v26
	v_ashrrev_i32_e32 v27, 31, v26
	v_lshl_add_u64 v[92:93], v[26:27], 3, s[0:1]
	flat_load_dwordx2 v[26:27], v[90:91]
	flat_load_dwordx2 v[28:29], v[92:93]
	s_cmpk_lg_i32 s29, 0x84
	s_cselect_b64 s[30:31], -1, 0
	s_cmpk_eq_i32 s29, 0x84
	v_mov_b64_e32 v[36:37], -1.0
	s_cbranch_scc1 .LBB77_3
; %bb.2:
	v_cmp_eq_u32_e64 s[0:1], 1, v0
	v_cmp_eq_u32_e64 s[2:3], 2, v0
	;; [unrolled: 1-line block ×3, first 2 shown]
	s_waitcnt vmcnt(0) lgkmcnt(0)
	v_cndmask_b32_e64 v30, v3, v5, s[0:1]
	v_cndmask_b32_e64 v30, v30, v7, s[2:3]
	v_cndmask_b32_e64 v30, v30, v9, s[4:5]
	v_cmp_eq_u32_e64 s[6:7], 4, v0
	v_cmp_eq_u32_e64 s[8:9], 5, v0
	v_cmp_eq_u32_e64 s[10:11], 6, v0
	v_cndmask_b32_e64 v30, v30, v11, s[6:7]
	v_cndmask_b32_e64 v30, v30, v13, s[8:9]
	v_cndmask_b32_e64 v30, v30, v15, s[10:11]
	v_cmp_eq_u32_e64 s[12:13], 7, v0
	v_cmp_eq_u32_e64 s[14:15], 8, v0
	v_cmp_eq_u32_e64 s[16:17], 9, v0
	;; [unrolled: 6-line block ×3, first 2 shown]
	v_cndmask_b32_e64 v30, v30, v23, s[18:19]
	v_cndmask_b32_e64 v30, v30, v25, s[20:21]
	;; [unrolled: 1-line block ×3, first 2 shown]
	v_cmp_eq_u32_e64 s[24:25], 13, v0
	s_nop 1
	v_cndmask_b32_e64 v31, v30, v29, s[24:25]
	v_cndmask_b32_e64 v30, v2, v4, s[0:1]
	;; [unrolled: 1-line block ×14, first 2 shown]
	v_div_scale_f64 v[32:33], s[26:27], v[30:31], v[30:31], 1.0
	v_rcp_f64_e32 v[36:37], v[32:33]
	s_nop 0
	v_fma_f64 v[38:39], -v[32:33], v[36:37], 1.0
	v_fmac_f64_e32 v[36:37], v[36:37], v[38:39]
	v_fma_f64 v[38:39], -v[32:33], v[36:37], 1.0
	v_fmac_f64_e32 v[36:37], v[36:37], v[38:39]
	v_div_scale_f64 v[38:39], vcc, 1.0, v[30:31], 1.0
	v_mul_f64 v[40:41], v[38:39], v[36:37]
	v_fma_f64 v[32:33], -v[32:33], v[40:41], v[38:39]
	s_nop 1
	v_div_fmas_f64 v[32:33], v[32:33], v[36:37], v[40:41]
	v_div_fixup_f64 v[36:37], v[32:33], v[30:31], 1.0
	v_cmp_eq_u32_e32 vcc, 0, v0
	v_cndmask_b32_e64 v29, v29, v37, s[24:25]
	v_cndmask_b32_e64 v28, v28, v36, s[24:25]
	;; [unrolled: 1-line block ×26, first 2 shown]
	v_cndmask_b32_e32 v3, v3, v37, vcc
	v_cndmask_b32_e32 v2, v2, v36, vcc
	v_xor_b32_e32 v37, 0x80000000, v37
.LBB77_3:
	s_cmpk_eq_i32 s28, 0x79
	v_add_u32_e32 v99, 0x70, v34
	ds_write_b64 v34, v[36:37]
	s_cbranch_scc1 .LBB77_7
; %bb.4:
	s_waitcnt vmcnt(0) lgkmcnt(0)
	v_mov_b64_e32 v[64:65], v[32:33]
	v_cmp_eq_u32_e64 s[0:1], 13, v0
	v_mov_b64_e32 v[62:63], v[30:31]
	v_mov_b64_e32 v[60:61], v[28:29]
	;; [unrolled: 1-line block ×15, first 2 shown]
	ds_write_b64 v99, v[26:27]
	s_waitcnt lgkmcnt(0)
	; wave barrier
	s_and_saveexec_b64 s[26:27], s[0:1]
	s_cbranch_execz .LBB77_11
; %bb.5:
	s_and_b64 vcc, exec, s[30:31]
	s_cbranch_vccz .LBB77_8
; %bb.6:
	v_cmp_eq_u32_e32 vcc, 1, v0
	v_cmp_eq_u32_e64 s[2:3], 2, v0
	v_cmp_eq_u32_e64 s[4:5], 3, v0
	v_cndmask_b32_e32 v34, v3, v5, vcc
	v_cndmask_b32_e64 v34, v34, v7, s[2:3]
	v_cndmask_b32_e64 v34, v34, v9, s[4:5]
	v_cmp_eq_u32_e64 s[6:7], 4, v0
	v_cmp_eq_u32_e64 s[8:9], 5, v0
	v_cmp_eq_u32_e64 s[10:11], 6, v0
	v_cndmask_b32_e64 v34, v34, v11, s[6:7]
	v_cndmask_b32_e64 v34, v34, v13, s[8:9]
	v_cndmask_b32_e64 v34, v34, v15, s[10:11]
	v_cmp_eq_u32_e64 s[12:13], 7, v0
	v_cmp_eq_u32_e64 s[14:15], 8, v0
	v_cmp_eq_u32_e64 s[16:17], 9, v0
	v_cndmask_b32_e64 v34, v34, v17, s[12:13]
	;; [unrolled: 6-line block ×3, first 2 shown]
	v_cndmask_b32_e64 v34, v34, v25, s[20:21]
	v_cndmask_b32_e64 v34, v34, v27, s[22:23]
	v_cmp_eq_u32_e64 s[24:25], 13, v0
	ds_read_b64 v[36:37], v99
	s_nop 0
	v_cndmask_b32_e64 v35, v34, v29, s[24:25]
	v_cndmask_b32_e32 v34, v2, v4, vcc
	v_cndmask_b32_e64 v34, v34, v6, s[2:3]
	v_cndmask_b32_e64 v34, v34, v8, s[4:5]
	;; [unrolled: 1-line block ×12, first 2 shown]
	s_waitcnt lgkmcnt(0)
	v_mul_f64 v[38:39], v[34:35], v[36:37]
	s_cbranch_execz .LBB77_9
	s_branch .LBB77_10
.LBB77_7:
                                        ; implicit-def: $vgpr34_vgpr35_vgpr36_vgpr37_vgpr38_vgpr39_vgpr40_vgpr41_vgpr42_vgpr43_vgpr44_vgpr45_vgpr46_vgpr47_vgpr48_vgpr49_vgpr50_vgpr51_vgpr52_vgpr53_vgpr54_vgpr55_vgpr56_vgpr57_vgpr58_vgpr59_vgpr60_vgpr61_vgpr62_vgpr63_vgpr64_vgpr65
	s_cbranch_execnz .LBB77_194
	s_branch .LBB77_327
.LBB77_8:
                                        ; implicit-def: $vgpr38_vgpr39
.LBB77_9:
	ds_read_b64 v[38:39], v99
.LBB77_10:
	v_mov_b32_e32 v34, 0
	ds_read_b64 v[40:41], v34 offset:96
	v_mov_b32_e32 v34, v2
	v_mov_b32_e32 v35, v3
	;; [unrolled: 1-line block ×4, first 2 shown]
	s_waitcnt lgkmcnt(0)
	v_mul_f64 v[58:59], v[38:39], v[40:41]
	v_mov_b32_e32 v38, v6
	v_mov_b32_e32 v39, v7
	;; [unrolled: 1-line block ×22, first 2 shown]
.LBB77_11:
	s_or_b64 exec, exec, s[26:27]
	v_cmp_lt_u32_e64 s[2:3], 11, v0
	ds_write_b64 v99, v[56:57]
	s_waitcnt lgkmcnt(0)
	; wave barrier
	s_and_saveexec_b64 s[28:29], s[2:3]
	s_cbranch_execz .LBB77_17
; %bb.12:
	s_andn2_b64 vcc, exec, s[30:31]
	s_cbranch_vccnz .LBB77_14
; %bb.13:
	v_cmp_eq_u32_e32 vcc, 1, v0
	v_cmp_eq_u32_e64 s[4:5], 2, v0
	v_cmp_eq_u32_e64 s[6:7], 3, v0
	v_cndmask_b32_e32 v62, v35, v37, vcc
	v_cndmask_b32_e64 v62, v62, v39, s[4:5]
	v_cndmask_b32_e64 v62, v62, v41, s[6:7]
	v_cmp_eq_u32_e64 s[8:9], 4, v0
	v_cmp_eq_u32_e64 s[10:11], 5, v0
	v_cmp_eq_u32_e64 s[12:13], 6, v0
	v_cndmask_b32_e64 v62, v62, v43, s[8:9]
	v_cndmask_b32_e64 v62, v62, v45, s[10:11]
	v_cndmask_b32_e64 v62, v62, v47, s[12:13]
	v_cmp_eq_u32_e64 s[14:15], 7, v0
	v_cmp_eq_u32_e64 s[16:17], 8, v0
	v_cmp_eq_u32_e64 s[18:19], 9, v0
	v_cndmask_b32_e64 v62, v62, v49, s[14:15]
	;; [unrolled: 6-line block ×3, first 2 shown]
	v_cndmask_b32_e64 v57, v62, v57, s[22:23]
	v_cndmask_b32_e32 v62, v34, v36, vcc
	v_cndmask_b32_e64 v62, v62, v38, s[4:5]
	v_cndmask_b32_e64 v62, v62, v40, s[6:7]
	;; [unrolled: 1-line block ×8, first 2 shown]
	ds_read_b64 v[62:63], v99
	v_cndmask_b32_e64 v64, v64, v54, s[20:21]
	v_cndmask_b32_e64 v56, v64, v56, s[22:23]
	v_cndmask_b32_e64 v57, v57, v59, s[24:25]
	v_cmp_eq_u32_e64 s[26:27], 13, v0
	v_cndmask_b32_e64 v56, v56, v58, s[24:25]
	s_nop 0
	v_cndmask_b32_e64 v57, v57, v61, s[26:27]
	v_cndmask_b32_e64 v56, v56, v60, s[26:27]
	s_waitcnt lgkmcnt(0)
	v_mul_f64 v[56:57], v[56:57], v[62:63]
	s_cbranch_execz .LBB77_15
	s_branch .LBB77_16
.LBB77_14:
                                        ; implicit-def: $vgpr56_vgpr57
.LBB77_15:
	ds_read_b64 v[56:57], v99
.LBB77_16:
	v_mov_b32_e32 v62, 0
	ds_read2_b64 v[62:65], v62 offset0:11 offset1:26
	s_waitcnt lgkmcnt(0)
	v_fma_f64 v[64:65], v[58:59], v[64:65], v[56:57]
	v_cndmask_b32_e64 v57, v57, v65, s[0:1]
	v_cndmask_b32_e64 v56, v56, v64, s[0:1]
	v_mul_f64 v[56:57], v[56:57], v[62:63]
.LBB77_17:
	s_or_b64 exec, exec, s[28:29]
	v_cmp_lt_u32_e64 s[0:1], 10, v0
	ds_write_b64 v99, v[54:55]
	s_waitcnt lgkmcnt(0)
	; wave barrier
	s_and_saveexec_b64 s[28:29], s[0:1]
	s_cbranch_execz .LBB77_33
; %bb.18:
	s_andn2_b64 vcc, exec, s[30:31]
	s_cbranch_vccnz .LBB77_20
; %bb.19:
	v_cmp_eq_u32_e32 vcc, 1, v0
	v_cmp_eq_u32_e64 s[4:5], 2, v0
	v_cmp_eq_u32_e64 s[6:7], 3, v0
	v_cndmask_b32_e32 v94, v35, v37, vcc
	v_cndmask_b32_e64 v94, v94, v39, s[4:5]
	v_cndmask_b32_e64 v94, v94, v41, s[6:7]
	v_cmp_eq_u32_e64 s[8:9], 4, v0
	v_cmp_eq_u32_e64 s[10:11], 5, v0
	v_cmp_eq_u32_e64 s[12:13], 6, v0
	v_cndmask_b32_e64 v94, v94, v43, s[8:9]
	v_cndmask_b32_e64 v94, v94, v45, s[10:11]
	v_cndmask_b32_e64 v94, v94, v47, s[12:13]
	v_cmp_eq_u32_e64 s[14:15], 7, v0
	v_cmp_eq_u32_e64 s[16:17], 8, v0
	v_cmp_eq_u32_e64 s[18:19], 9, v0
	v_cndmask_b32_e64 v94, v94, v49, s[14:15]
	;; [unrolled: 6-line block ×3, first 2 shown]
	v_cndmask_b32_e64 v94, v94, v57, s[22:23]
	v_cndmask_b32_e64 v94, v94, v59, s[24:25]
	v_cmp_eq_u32_e64 s[26:27], 13, v0
	ds_read_b64 v[96:97], v99
	s_nop 0
	v_cndmask_b32_e64 v95, v94, v61, s[26:27]
	v_cndmask_b32_e32 v94, v34, v36, vcc
	v_cndmask_b32_e64 v94, v94, v38, s[4:5]
	v_cndmask_b32_e64 v94, v94, v40, s[6:7]
	;; [unrolled: 1-line block ×12, first 2 shown]
	s_waitcnt lgkmcnt(0)
	v_mul_f64 v[94:95], v[94:95], v[96:97]
	s_cbranch_execz .LBB77_21
	s_branch .LBB77_22
.LBB77_20:
                                        ; implicit-def: $vgpr94_vgpr95
.LBB77_21:
	ds_read_b64 v[94:95], v99
.LBB77_22:
	s_and_saveexec_b64 s[6:7], s[2:3]
	s_cbranch_execz .LBB77_32
; %bb.23:
	v_add_u32_e32 v96, -12, v0
	v_add_u32_e32 v97, -11, v0
	v_cmp_lt_u32_e32 vcc, 6, v96
	v_mov_b32_e32 v96, 11
	s_and_saveexec_b64 s[2:3], vcc
	s_cbranch_execz .LBB77_27
; %bb.24:
	v_and_b32_e32 v96, -8, v97
	v_sub_u32_e32 v98, 0, v96
	s_mov_b64 s[4:5], 18
	s_movk_i32 s10, 0xc8
	s_mov_b64 s[8:9], 0
.LBB77_25:                              ; =>This Inner Loop Header: Depth=1
	s_lshl_b32 s11, s4, 1
	s_add_i32 s12, s11, -13
	v_mov_b32_e32 v114, s10
	s_add_i32 s13, s11, -14
	s_set_gpr_idx_on s12, gpr_idx(SRC0)
	v_mov_b32_e32 v109, v34
	s_set_gpr_idx_off
	s_add_i32 s14, s11, -11
	s_set_gpr_idx_on s13, gpr_idx(SRC0)
	v_mov_b32_e32 v108, v34
	s_set_gpr_idx_off
	ds_read2_b64 v[100:103], v114 offset1:1
	s_add_i32 s15, s11, -12
	s_set_gpr_idx_on s14, gpr_idx(SRC0)
	v_mov_b32_e32 v111, v34
	s_set_gpr_idx_off
	s_add_i32 s16, s11, -9
	s_set_gpr_idx_on s15, gpr_idx(SRC0)
	v_mov_b32_e32 v110, v34
	s_set_gpr_idx_off
	;; [unrolled: 4-line block ×4, first 2 shown]
	ds_read2_b64 v[104:107], v114 offset0:2 offset1:3
	s_add_i32 s19, s11, -8
	s_waitcnt lgkmcnt(1)
	v_fmac_f64_e32 v[94:95], v[108:109], v[100:101]
	s_set_gpr_idx_on s18, gpr_idx(SRC0)
	v_mov_b32_e32 v109, v34
	s_set_gpr_idx_off
	s_add_i32 s20, s11, -5
	v_fmac_f64_e32 v[94:95], v[110:111], v[102:103]
	s_set_gpr_idx_on s19, gpr_idx(SRC0)
	v_mov_b32_e32 v108, v34
	s_set_gpr_idx_off
	s_add_i32 s21, s11, -6
	s_set_gpr_idx_on s20, gpr_idx(SRC0)
	v_mov_b32_e32 v111, v34
	s_set_gpr_idx_off
	s_add_i32 s22, s11, -3
	;; [unrolled: 4-line block ×3, first 2 shown]
	ds_read2_b64 v[100:103], v114 offset0:4 offset1:5
	s_waitcnt lgkmcnt(1)
	v_fmac_f64_e32 v[94:95], v[112:113], v[104:105]
	s_set_gpr_idx_on s22, gpr_idx(SRC0)
	v_mov_b32_e32 v113, v34
	s_set_gpr_idx_off
	s_add_i32 s24, s11, -1
	v_fmac_f64_e32 v[94:95], v[108:109], v[106:107]
	s_set_gpr_idx_on s23, gpr_idx(SRC0)
	v_mov_b32_e32 v112, v34
	s_set_gpr_idx_off
	s_add_i32 s25, s11, -2
	s_set_gpr_idx_on s24, gpr_idx(SRC0)
	v_mov_b32_e32 v109, v34
	s_set_gpr_idx_off
	s_set_gpr_idx_on s25, gpr_idx(SRC0)
	v_mov_b32_e32 v108, v34
	s_set_gpr_idx_off
	ds_read2_b64 v[104:107], v114 offset0:6 offset1:7
	s_add_u32 s4, s4, 8
	s_waitcnt lgkmcnt(1)
	v_fmac_f64_e32 v[94:95], v[110:111], v[100:101]
	s_set_gpr_idx_on s11, gpr_idx(SRC0)
	v_mov_b32_e32 v101, v35
	s_set_gpr_idx_off
	v_add_u32_e32 v96, s4, v98
	v_fmac_f64_e32 v[94:95], v[112:113], v[102:103]
	s_set_gpr_idx_on s11, gpr_idx(SRC0)
	v_mov_b32_e32 v100, v34
	s_set_gpr_idx_off
	s_addc_u32 s5, s5, 0
	s_add_i32 s10, s10, 64
	s_add_i32 s12, s4, -7
	v_cmp_eq_u32_e32 vcc, 18, v96
	s_waitcnt lgkmcnt(0)
	v_fmac_f64_e32 v[94:95], v[108:109], v[104:105]
	v_mov_b32_e32 v96, s12
	s_or_b64 s[8:9], vcc, s[8:9]
	v_fmac_f64_e32 v[94:95], v[100:101], v[106:107]
	s_andn2_b64 exec, exec, s[8:9]
	s_cbranch_execnz .LBB77_25
; %bb.26:
	s_or_b64 exec, exec, s[8:9]
.LBB77_27:
	s_or_b64 exec, exec, s[2:3]
	v_and_b32_e32 v62, 7, v97
	v_cmp_ne_u32_e32 vcc, 0, v62
	s_and_saveexec_b64 s[8:9], vcc
	s_cbranch_execz .LBB77_31
; %bb.28:
	v_mov_b32_e32 v63, 0x70
	v_lshl_add_u32 v63, v96, 3, v63
	v_mov_b32_e32 v97, 0
	s_mov_b64 s[10:11], 0
.LBB77_29:                              ; =>This Inner Loop Header: Depth=1
	v_cmp_eq_u32_e32 vcc, 1, v96
	v_add_u32_e32 v62, -1, v62
	v_cmp_eq_u32_e64 s[2:3], 2, v96
	v_cndmask_b32_e32 v98, v35, v37, vcc
	v_cndmask_b32_e32 v100, v34, v36, vcc
	v_cndmask_b32_e64 v98, v98, v39, s[2:3]
	v_cmp_eq_u32_e32 vcc, 0, v62
	v_cmp_eq_u32_e64 s[4:5], 3, v96
	v_cndmask_b32_e64 v100, v100, v38, s[2:3]
	s_or_b64 s[10:11], vcc, s[10:11]
	v_cndmask_b32_e64 v98, v98, v41, s[4:5]
	v_cmp_eq_u32_e32 vcc, 4, v96
	v_cndmask_b32_e64 v100, v100, v40, s[4:5]
	v_cmp_eq_u32_e64 s[2:3], 5, v96
	v_cndmask_b32_e32 v98, v98, v43, vcc
	v_cndmask_b32_e32 v100, v100, v42, vcc
	v_cndmask_b32_e64 v98, v98, v45, s[2:3]
	v_cmp_eq_u32_e32 vcc, 6, v96
	v_cndmask_b32_e64 v100, v100, v44, s[2:3]
	v_cmp_eq_u32_e64 s[2:3], 7, v96
	v_cndmask_b32_e32 v98, v98, v47, vcc
	v_cndmask_b32_e32 v100, v100, v46, vcc
	;; [unrolled: 6-line block ×3, first 2 shown]
	v_cndmask_b32_e64 v98, v98, v53, s[2:3]
	v_cmp_eq_u32_e32 vcc, 10, v96
	ds_read_b64 v[64:65], v63
	v_cndmask_b32_e64 v100, v100, v52, s[2:3]
	v_cndmask_b32_e32 v98, v98, v55, vcc
	v_cmp_eq_u32_e64 s[2:3], 11, v96
	v_cndmask_b32_e32 v100, v100, v54, vcc
	v_cmp_eq_u32_e32 vcc, 12, v96
	v_cndmask_b32_e64 v98, v98, v57, s[2:3]
	v_cmp_eq_u32_e64 s[4:5], 13, v96
	v_cndmask_b32_e32 v98, v98, v59, vcc
	v_cndmask_b32_e64 v100, v100, v56, s[2:3]
	v_cndmask_b32_e64 v101, v98, v61, s[4:5]
	v_cndmask_b32_e32 v98, v100, v58, vcc
	v_cndmask_b32_e64 v100, v98, v60, s[4:5]
	v_add_u32_e32 v63, 8, v63
	v_lshl_add_u64 v[96:97], v[96:97], 0, 1
	s_waitcnt lgkmcnt(0)
	v_fmac_f64_e32 v[94:95], v[100:101], v[64:65]
	s_andn2_b64 exec, exec, s[10:11]
	s_cbranch_execnz .LBB77_29
; %bb.30:
	s_or_b64 exec, exec, s[10:11]
.LBB77_31:
	s_or_b64 exec, exec, s[8:9]
.LBB77_32:
	s_or_b64 exec, exec, s[6:7]
	v_mov_b32_e32 v54, 0
	ds_read_b64 v[54:55], v54 offset:80
	s_waitcnt lgkmcnt(0)
	v_mul_f64 v[54:55], v[94:95], v[54:55]
.LBB77_33:
	s_or_b64 exec, exec, s[28:29]
	v_cmp_lt_u32_e64 s[2:3], 9, v0
	ds_write_b64 v99, v[52:53]
	s_waitcnt lgkmcnt(0)
	; wave barrier
	s_and_saveexec_b64 s[28:29], s[2:3]
	s_cbranch_execz .LBB77_49
; %bb.34:
	s_andn2_b64 vcc, exec, s[30:31]
	s_cbranch_vccnz .LBB77_36
; %bb.35:
	v_cmp_eq_u32_e32 vcc, 1, v0
	v_cmp_eq_u32_e64 s[4:5], 2, v0
	v_cmp_eq_u32_e64 s[6:7], 3, v0
	v_cndmask_b32_e32 v94, v35, v37, vcc
	v_cndmask_b32_e64 v94, v94, v39, s[4:5]
	v_cndmask_b32_e64 v94, v94, v41, s[6:7]
	v_cmp_eq_u32_e64 s[8:9], 4, v0
	v_cmp_eq_u32_e64 s[10:11], 5, v0
	v_cmp_eq_u32_e64 s[12:13], 6, v0
	v_cndmask_b32_e64 v94, v94, v43, s[8:9]
	v_cndmask_b32_e64 v94, v94, v45, s[10:11]
	v_cndmask_b32_e64 v94, v94, v47, s[12:13]
	v_cmp_eq_u32_e64 s[14:15], 7, v0
	v_cmp_eq_u32_e64 s[16:17], 8, v0
	v_cmp_eq_u32_e64 s[18:19], 9, v0
	v_cndmask_b32_e64 v94, v94, v49, s[14:15]
	v_cndmask_b32_e64 v94, v94, v51, s[16:17]
	v_cndmask_b32_e64 v94, v94, v53, s[18:19]
	v_cmp_eq_u32_e64 s[20:21], 10, v0
	v_cmp_eq_u32_e64 s[22:23], 11, v0
	v_cmp_eq_u32_e64 s[24:25], 12, v0
	v_cndmask_b32_e64 v94, v94, v55, s[20:21]
	v_cndmask_b32_e64 v94, v94, v57, s[22:23]
	v_cndmask_b32_e64 v94, v94, v59, s[24:25]
	v_cmp_eq_u32_e64 s[26:27], 13, v0
	ds_read_b64 v[96:97], v99
	s_nop 0
	v_cndmask_b32_e64 v95, v94, v61, s[26:27]
	v_cndmask_b32_e32 v94, v34, v36, vcc
	v_cndmask_b32_e64 v94, v94, v38, s[4:5]
	v_cndmask_b32_e64 v94, v94, v40, s[6:7]
	;; [unrolled: 1-line block ×12, first 2 shown]
	s_waitcnt lgkmcnt(0)
	v_mul_f64 v[94:95], v[94:95], v[96:97]
	s_cbranch_execz .LBB77_37
	s_branch .LBB77_38
.LBB77_36:
                                        ; implicit-def: $vgpr94_vgpr95
.LBB77_37:
	ds_read_b64 v[94:95], v99
.LBB77_38:
	s_and_saveexec_b64 s[6:7], s[0:1]
	s_cbranch_execz .LBB77_48
; %bb.39:
	v_add_u32_e32 v96, -11, v0
	v_add_u32_e32 v97, -10, v0
	v_cmp_lt_u32_e32 vcc, 6, v96
	v_mov_b32_e32 v96, 10
	s_and_saveexec_b64 s[0:1], vcc
	s_cbranch_execz .LBB77_43
; %bb.40:
	v_and_b32_e32 v96, -8, v97
	v_sub_u32_e32 v98, 0, v96
	s_mov_b64 s[4:5], 17
	s_movk_i32 s10, 0xc0
	s_mov_b64 s[8:9], 0
.LBB77_41:                              ; =>This Inner Loop Header: Depth=1
	s_lshl_b32 s11, s4, 1
	s_add_i32 s12, s11, -13
	s_add_i32 s13, s11, -14
	s_set_gpr_idx_on s12, gpr_idx(SRC0)
	v_mov_b32_e32 v117, v34
	s_set_gpr_idx_off
	v_mov_b32_e32 v96, s10
	s_add_i32 s14, s11, -11
	s_set_gpr_idx_on s13, gpr_idx(SRC0)
	v_mov_b32_e32 v116, v34
	s_set_gpr_idx_off
	s_add_i32 s15, s11, -12
	ds_read_b128 v[100:103], v96
	ds_read_b128 v[104:107], v96 offset:16
	ds_read_b128 v[108:111], v96 offset:32
	;; [unrolled: 1-line block ×3, first 2 shown]
	s_set_gpr_idx_on s14, gpr_idx(SRC0)
	v_mov_b32_e32 v119, v34
	s_set_gpr_idx_off
	s_add_i32 s16, s11, -9
	s_set_gpr_idx_on s15, gpr_idx(SRC0)
	v_mov_b32_e32 v118, v34
	s_set_gpr_idx_off
	s_add_i32 s17, s11, -10
	;; [unrolled: 4-line block ×4, first 2 shown]
	s_waitcnt lgkmcnt(3)
	v_fmac_f64_e32 v[94:95], v[116:117], v[100:101]
	s_set_gpr_idx_on s18, gpr_idx(SRC0)
	v_mov_b32_e32 v101, v34
	s_set_gpr_idx_off
	s_add_i32 s20, s11, -5
	v_fmac_f64_e32 v[94:95], v[118:119], v[102:103]
	s_set_gpr_idx_on s19, gpr_idx(SRC0)
	v_mov_b32_e32 v100, v34
	s_set_gpr_idx_off
	s_add_i32 s21, s11, -6
	s_waitcnt lgkmcnt(2)
	v_fmac_f64_e32 v[94:95], v[120:121], v[104:105]
	s_set_gpr_idx_on s20, gpr_idx(SRC0)
	v_mov_b32_e32 v103, v34
	s_set_gpr_idx_off
	s_add_i32 s22, s11, -3
	v_fmac_f64_e32 v[94:95], v[100:101], v[106:107]
	s_set_gpr_idx_on s21, gpr_idx(SRC0)
	v_mov_b32_e32 v102, v34
	s_set_gpr_idx_off
	s_add_i32 s23, s11, -4
	s_waitcnt lgkmcnt(1)
	v_fmac_f64_e32 v[94:95], v[102:103], v[108:109]
	s_set_gpr_idx_on s22, gpr_idx(SRC0)
	v_mov_b32_e32 v101, v34
	s_set_gpr_idx_off
	s_add_i32 s24, s11, -1
	s_set_gpr_idx_on s23, gpr_idx(SRC0)
	v_mov_b32_e32 v100, v34
	s_set_gpr_idx_off
	s_add_i32 s25, s11, -2
	v_fmac_f64_e32 v[94:95], v[100:101], v[110:111]
	s_set_gpr_idx_on s24, gpr_idx(SRC0)
	v_mov_b32_e32 v101, v34
	s_set_gpr_idx_off
	s_add_u32 s4, s4, 8
	s_set_gpr_idx_on s25, gpr_idx(SRC0)
	v_mov_b32_e32 v100, v34
	s_set_gpr_idx_off
	v_add_u32_e32 v96, s4, v98
	s_waitcnt lgkmcnt(0)
	v_fmac_f64_e32 v[94:95], v[100:101], v[112:113]
	s_set_gpr_idx_on s11, gpr_idx(SRC0)
	v_mov_b32_e32 v101, v35
	s_set_gpr_idx_off
	s_addc_u32 s5, s5, 0
	s_add_i32 s10, s10, 64
	s_add_i32 s12, s4, -7
	v_cmp_eq_u32_e32 vcc, 17, v96
	s_set_gpr_idx_on s11, gpr_idx(SRC0)
	v_mov_b32_e32 v100, v34
	s_set_gpr_idx_off
	v_mov_b32_e32 v96, s12
	s_or_b64 s[8:9], vcc, s[8:9]
	v_fmac_f64_e32 v[94:95], v[100:101], v[114:115]
	s_andn2_b64 exec, exec, s[8:9]
	s_cbranch_execnz .LBB77_41
; %bb.42:
	s_or_b64 exec, exec, s[8:9]
.LBB77_43:
	s_or_b64 exec, exec, s[0:1]
	v_and_b32_e32 v62, 7, v97
	v_cmp_ne_u32_e32 vcc, 0, v62
	s_and_saveexec_b64 s[8:9], vcc
	s_cbranch_execz .LBB77_47
; %bb.44:
	v_mov_b32_e32 v63, 0x70
	v_lshl_add_u32 v63, v96, 3, v63
	v_mov_b32_e32 v97, 0
	s_mov_b64 s[10:11], 0
.LBB77_45:                              ; =>This Inner Loop Header: Depth=1
	v_cmp_eq_u32_e32 vcc, 1, v96
	v_add_u32_e32 v62, -1, v62
	v_cmp_eq_u32_e64 s[0:1], 2, v96
	v_cndmask_b32_e32 v98, v35, v37, vcc
	v_cndmask_b32_e32 v100, v34, v36, vcc
	v_cndmask_b32_e64 v98, v98, v39, s[0:1]
	v_cmp_eq_u32_e32 vcc, 0, v62
	v_cmp_eq_u32_e64 s[4:5], 3, v96
	v_cndmask_b32_e64 v100, v100, v38, s[0:1]
	s_or_b64 s[10:11], vcc, s[10:11]
	v_cndmask_b32_e64 v98, v98, v41, s[4:5]
	v_cmp_eq_u32_e32 vcc, 4, v96
	v_cndmask_b32_e64 v100, v100, v40, s[4:5]
	v_cmp_eq_u32_e64 s[0:1], 5, v96
	v_cndmask_b32_e32 v98, v98, v43, vcc
	v_cndmask_b32_e32 v100, v100, v42, vcc
	v_cndmask_b32_e64 v98, v98, v45, s[0:1]
	v_cmp_eq_u32_e32 vcc, 6, v96
	v_cndmask_b32_e64 v100, v100, v44, s[0:1]
	v_cmp_eq_u32_e64 s[0:1], 7, v96
	v_cndmask_b32_e32 v98, v98, v47, vcc
	v_cndmask_b32_e32 v100, v100, v46, vcc
	v_cndmask_b32_e64 v98, v98, v49, s[0:1]
	v_cmp_eq_u32_e32 vcc, 8, v96
	v_cndmask_b32_e64 v100, v100, v48, s[0:1]
	v_cmp_eq_u32_e64 s[0:1], 9, v96
	v_cndmask_b32_e32 v98, v98, v51, vcc
	v_cndmask_b32_e32 v100, v100, v50, vcc
	v_cndmask_b32_e64 v98, v98, v53, s[0:1]
	v_cmp_eq_u32_e32 vcc, 10, v96
	ds_read_b64 v[64:65], v63
	v_cndmask_b32_e64 v100, v100, v52, s[0:1]
	v_cndmask_b32_e32 v98, v98, v55, vcc
	v_cmp_eq_u32_e64 s[0:1], 11, v96
	v_cndmask_b32_e32 v100, v100, v54, vcc
	v_cmp_eq_u32_e32 vcc, 12, v96
	v_cndmask_b32_e64 v98, v98, v57, s[0:1]
	v_cmp_eq_u32_e64 s[4:5], 13, v96
	v_cndmask_b32_e32 v98, v98, v59, vcc
	v_cndmask_b32_e64 v100, v100, v56, s[0:1]
	v_cndmask_b32_e64 v101, v98, v61, s[4:5]
	v_cndmask_b32_e32 v98, v100, v58, vcc
	v_cndmask_b32_e64 v100, v98, v60, s[4:5]
	v_add_u32_e32 v63, 8, v63
	v_lshl_add_u64 v[96:97], v[96:97], 0, 1
	s_waitcnt lgkmcnt(0)
	v_fmac_f64_e32 v[94:95], v[100:101], v[64:65]
	s_andn2_b64 exec, exec, s[10:11]
	s_cbranch_execnz .LBB77_45
; %bb.46:
	s_or_b64 exec, exec, s[10:11]
.LBB77_47:
	s_or_b64 exec, exec, s[8:9]
.LBB77_48:
	s_or_b64 exec, exec, s[6:7]
	v_mov_b32_e32 v52, 0
	ds_read_b64 v[52:53], v52 offset:72
	s_waitcnt lgkmcnt(0)
	v_mul_f64 v[52:53], v[94:95], v[52:53]
.LBB77_49:
	s_or_b64 exec, exec, s[28:29]
	v_cmp_lt_u32_e64 s[0:1], 8, v0
	ds_write_b64 v99, v[50:51]
	s_waitcnt lgkmcnt(0)
	; wave barrier
	s_and_saveexec_b64 s[28:29], s[0:1]
	s_cbranch_execz .LBB77_65
; %bb.50:
	s_andn2_b64 vcc, exec, s[30:31]
	s_cbranch_vccnz .LBB77_52
; %bb.51:
	v_cmp_eq_u32_e32 vcc, 1, v0
	v_cmp_eq_u32_e64 s[4:5], 2, v0
	v_cmp_eq_u32_e64 s[6:7], 3, v0
	v_cndmask_b32_e32 v94, v35, v37, vcc
	v_cndmask_b32_e64 v94, v94, v39, s[4:5]
	v_cndmask_b32_e64 v94, v94, v41, s[6:7]
	v_cmp_eq_u32_e64 s[8:9], 4, v0
	v_cmp_eq_u32_e64 s[10:11], 5, v0
	v_cmp_eq_u32_e64 s[12:13], 6, v0
	v_cndmask_b32_e64 v94, v94, v43, s[8:9]
	v_cndmask_b32_e64 v94, v94, v45, s[10:11]
	v_cndmask_b32_e64 v94, v94, v47, s[12:13]
	v_cmp_eq_u32_e64 s[14:15], 7, v0
	v_cmp_eq_u32_e64 s[16:17], 8, v0
	v_cmp_eq_u32_e64 s[18:19], 9, v0
	v_cndmask_b32_e64 v94, v94, v49, s[14:15]
	;; [unrolled: 6-line block ×3, first 2 shown]
	v_cndmask_b32_e64 v94, v94, v57, s[22:23]
	v_cndmask_b32_e64 v94, v94, v59, s[24:25]
	v_cmp_eq_u32_e64 s[26:27], 13, v0
	ds_read_b64 v[96:97], v99
	s_nop 0
	v_cndmask_b32_e64 v95, v94, v61, s[26:27]
	v_cndmask_b32_e32 v94, v34, v36, vcc
	v_cndmask_b32_e64 v94, v94, v38, s[4:5]
	v_cndmask_b32_e64 v94, v94, v40, s[6:7]
	v_cndmask_b32_e64 v94, v94, v42, s[8:9]
	v_cndmask_b32_e64 v94, v94, v44, s[10:11]
	v_cndmask_b32_e64 v94, v94, v46, s[12:13]
	v_cndmask_b32_e64 v94, v94, v48, s[14:15]
	v_cndmask_b32_e64 v94, v94, v50, s[16:17]
	v_cndmask_b32_e64 v94, v94, v52, s[18:19]
	v_cndmask_b32_e64 v94, v94, v54, s[20:21]
	v_cndmask_b32_e64 v94, v94, v56, s[22:23]
	v_cndmask_b32_e64 v94, v94, v58, s[24:25]
	v_cndmask_b32_e64 v94, v94, v60, s[26:27]
	s_waitcnt lgkmcnt(0)
	v_mul_f64 v[94:95], v[94:95], v[96:97]
	s_cbranch_execz .LBB77_53
	s_branch .LBB77_54
.LBB77_52:
                                        ; implicit-def: $vgpr94_vgpr95
.LBB77_53:
	ds_read_b64 v[94:95], v99
.LBB77_54:
	s_and_saveexec_b64 s[6:7], s[2:3]
	s_cbranch_execz .LBB77_64
; %bb.55:
	v_add_u32_e32 v96, -10, v0
	v_add_u32_e32 v97, -9, v0
	v_cmp_lt_u32_e32 vcc, 6, v96
	v_mov_b32_e32 v96, 9
	s_and_saveexec_b64 s[2:3], vcc
	s_cbranch_execz .LBB77_59
; %bb.56:
	v_and_b32_e32 v96, -8, v97
	v_sub_u32_e32 v98, 0, v96
	s_mov_b64 s[4:5], 16
	s_movk_i32 s10, 0xb8
	s_mov_b64 s[8:9], 0
.LBB77_57:                              ; =>This Inner Loop Header: Depth=1
	s_lshl_b32 s11, s4, 1
	s_add_i32 s12, s11, -13
	v_mov_b32_e32 v114, s10
	s_add_i32 s13, s11, -14
	s_set_gpr_idx_on s12, gpr_idx(SRC0)
	v_mov_b32_e32 v109, v34
	s_set_gpr_idx_off
	s_add_i32 s14, s11, -11
	s_set_gpr_idx_on s13, gpr_idx(SRC0)
	v_mov_b32_e32 v108, v34
	s_set_gpr_idx_off
	ds_read2_b64 v[100:103], v114 offset1:1
	s_add_i32 s15, s11, -12
	s_set_gpr_idx_on s14, gpr_idx(SRC0)
	v_mov_b32_e32 v111, v34
	s_set_gpr_idx_off
	s_add_i32 s16, s11, -9
	s_set_gpr_idx_on s15, gpr_idx(SRC0)
	v_mov_b32_e32 v110, v34
	s_set_gpr_idx_off
	;; [unrolled: 4-line block ×4, first 2 shown]
	ds_read2_b64 v[104:107], v114 offset0:2 offset1:3
	s_add_i32 s19, s11, -8
	s_waitcnt lgkmcnt(1)
	v_fmac_f64_e32 v[94:95], v[108:109], v[100:101]
	s_set_gpr_idx_on s18, gpr_idx(SRC0)
	v_mov_b32_e32 v109, v34
	s_set_gpr_idx_off
	s_add_i32 s20, s11, -5
	v_fmac_f64_e32 v[94:95], v[110:111], v[102:103]
	s_set_gpr_idx_on s19, gpr_idx(SRC0)
	v_mov_b32_e32 v108, v34
	s_set_gpr_idx_off
	s_add_i32 s21, s11, -6
	s_set_gpr_idx_on s20, gpr_idx(SRC0)
	v_mov_b32_e32 v111, v34
	s_set_gpr_idx_off
	s_add_i32 s22, s11, -3
	;; [unrolled: 4-line block ×3, first 2 shown]
	ds_read2_b64 v[100:103], v114 offset0:4 offset1:5
	s_waitcnt lgkmcnt(1)
	v_fmac_f64_e32 v[94:95], v[112:113], v[104:105]
	s_set_gpr_idx_on s22, gpr_idx(SRC0)
	v_mov_b32_e32 v113, v34
	s_set_gpr_idx_off
	s_add_i32 s24, s11, -1
	v_fmac_f64_e32 v[94:95], v[108:109], v[106:107]
	s_set_gpr_idx_on s23, gpr_idx(SRC0)
	v_mov_b32_e32 v112, v34
	s_set_gpr_idx_off
	s_add_i32 s25, s11, -2
	s_set_gpr_idx_on s24, gpr_idx(SRC0)
	v_mov_b32_e32 v109, v34
	s_set_gpr_idx_off
	s_set_gpr_idx_on s25, gpr_idx(SRC0)
	v_mov_b32_e32 v108, v34
	s_set_gpr_idx_off
	ds_read2_b64 v[104:107], v114 offset0:6 offset1:7
	s_add_u32 s4, s4, 8
	s_waitcnt lgkmcnt(1)
	v_fmac_f64_e32 v[94:95], v[110:111], v[100:101]
	s_set_gpr_idx_on s11, gpr_idx(SRC0)
	v_mov_b32_e32 v101, v35
	s_set_gpr_idx_off
	v_add_u32_e32 v96, s4, v98
	v_fmac_f64_e32 v[94:95], v[112:113], v[102:103]
	s_set_gpr_idx_on s11, gpr_idx(SRC0)
	v_mov_b32_e32 v100, v34
	s_set_gpr_idx_off
	s_addc_u32 s5, s5, 0
	s_add_i32 s10, s10, 64
	s_add_i32 s12, s4, -7
	v_cmp_eq_u32_e32 vcc, 16, v96
	s_waitcnt lgkmcnt(0)
	v_fmac_f64_e32 v[94:95], v[108:109], v[104:105]
	v_mov_b32_e32 v96, s12
	s_or_b64 s[8:9], vcc, s[8:9]
	v_fmac_f64_e32 v[94:95], v[100:101], v[106:107]
	s_andn2_b64 exec, exec, s[8:9]
	s_cbranch_execnz .LBB77_57
; %bb.58:
	s_or_b64 exec, exec, s[8:9]
.LBB77_59:
	s_or_b64 exec, exec, s[2:3]
	v_and_b32_e32 v62, 7, v97
	v_cmp_ne_u32_e32 vcc, 0, v62
	s_and_saveexec_b64 s[8:9], vcc
	s_cbranch_execz .LBB77_63
; %bb.60:
	v_mov_b32_e32 v63, 0x70
	v_lshl_add_u32 v63, v96, 3, v63
	v_mov_b32_e32 v97, 0
	s_mov_b64 s[10:11], 0
.LBB77_61:                              ; =>This Inner Loop Header: Depth=1
	v_cmp_eq_u32_e32 vcc, 1, v96
	v_add_u32_e32 v62, -1, v62
	v_cmp_eq_u32_e64 s[2:3], 2, v96
	v_cndmask_b32_e32 v98, v35, v37, vcc
	v_cndmask_b32_e32 v100, v34, v36, vcc
	v_cndmask_b32_e64 v98, v98, v39, s[2:3]
	v_cmp_eq_u32_e32 vcc, 0, v62
	v_cmp_eq_u32_e64 s[4:5], 3, v96
	v_cndmask_b32_e64 v100, v100, v38, s[2:3]
	s_or_b64 s[10:11], vcc, s[10:11]
	v_cndmask_b32_e64 v98, v98, v41, s[4:5]
	v_cmp_eq_u32_e32 vcc, 4, v96
	v_cndmask_b32_e64 v100, v100, v40, s[4:5]
	v_cmp_eq_u32_e64 s[2:3], 5, v96
	v_cndmask_b32_e32 v98, v98, v43, vcc
	v_cndmask_b32_e32 v100, v100, v42, vcc
	v_cndmask_b32_e64 v98, v98, v45, s[2:3]
	v_cmp_eq_u32_e32 vcc, 6, v96
	v_cndmask_b32_e64 v100, v100, v44, s[2:3]
	v_cmp_eq_u32_e64 s[2:3], 7, v96
	v_cndmask_b32_e32 v98, v98, v47, vcc
	v_cndmask_b32_e32 v100, v100, v46, vcc
	;; [unrolled: 6-line block ×3, first 2 shown]
	v_cndmask_b32_e64 v98, v98, v53, s[2:3]
	v_cmp_eq_u32_e32 vcc, 10, v96
	ds_read_b64 v[64:65], v63
	v_cndmask_b32_e64 v100, v100, v52, s[2:3]
	v_cndmask_b32_e32 v98, v98, v55, vcc
	v_cmp_eq_u32_e64 s[2:3], 11, v96
	v_cndmask_b32_e32 v100, v100, v54, vcc
	v_cmp_eq_u32_e32 vcc, 12, v96
	v_cndmask_b32_e64 v98, v98, v57, s[2:3]
	v_cmp_eq_u32_e64 s[4:5], 13, v96
	v_cndmask_b32_e32 v98, v98, v59, vcc
	v_cndmask_b32_e64 v100, v100, v56, s[2:3]
	v_cndmask_b32_e64 v101, v98, v61, s[4:5]
	v_cndmask_b32_e32 v98, v100, v58, vcc
	v_cndmask_b32_e64 v100, v98, v60, s[4:5]
	v_add_u32_e32 v63, 8, v63
	v_lshl_add_u64 v[96:97], v[96:97], 0, 1
	s_waitcnt lgkmcnt(0)
	v_fmac_f64_e32 v[94:95], v[100:101], v[64:65]
	s_andn2_b64 exec, exec, s[10:11]
	s_cbranch_execnz .LBB77_61
; %bb.62:
	s_or_b64 exec, exec, s[10:11]
.LBB77_63:
	s_or_b64 exec, exec, s[8:9]
.LBB77_64:
	s_or_b64 exec, exec, s[6:7]
	v_mov_b32_e32 v50, 0
	ds_read_b64 v[50:51], v50 offset:64
	s_waitcnt lgkmcnt(0)
	v_mul_f64 v[50:51], v[94:95], v[50:51]
.LBB77_65:
	s_or_b64 exec, exec, s[28:29]
	v_cmp_lt_u32_e64 s[2:3], 7, v0
	ds_write_b64 v99, v[48:49]
	s_waitcnt lgkmcnt(0)
	; wave barrier
	s_and_saveexec_b64 s[28:29], s[2:3]
	s_cbranch_execz .LBB77_81
; %bb.66:
	s_andn2_b64 vcc, exec, s[30:31]
	s_cbranch_vccnz .LBB77_68
; %bb.67:
	v_cmp_eq_u32_e32 vcc, 1, v0
	v_cmp_eq_u32_e64 s[4:5], 2, v0
	v_cmp_eq_u32_e64 s[6:7], 3, v0
	v_cndmask_b32_e32 v94, v35, v37, vcc
	v_cndmask_b32_e64 v94, v94, v39, s[4:5]
	v_cndmask_b32_e64 v94, v94, v41, s[6:7]
	v_cmp_eq_u32_e64 s[8:9], 4, v0
	v_cmp_eq_u32_e64 s[10:11], 5, v0
	v_cmp_eq_u32_e64 s[12:13], 6, v0
	v_cndmask_b32_e64 v94, v94, v43, s[8:9]
	v_cndmask_b32_e64 v94, v94, v45, s[10:11]
	v_cndmask_b32_e64 v94, v94, v47, s[12:13]
	v_cmp_eq_u32_e64 s[14:15], 7, v0
	v_cmp_eq_u32_e64 s[16:17], 8, v0
	v_cmp_eq_u32_e64 s[18:19], 9, v0
	v_cndmask_b32_e64 v94, v94, v49, s[14:15]
	;; [unrolled: 6-line block ×3, first 2 shown]
	v_cndmask_b32_e64 v94, v94, v57, s[22:23]
	v_cndmask_b32_e64 v94, v94, v59, s[24:25]
	v_cmp_eq_u32_e64 s[26:27], 13, v0
	ds_read_b64 v[96:97], v99
	s_nop 0
	v_cndmask_b32_e64 v95, v94, v61, s[26:27]
	v_cndmask_b32_e32 v94, v34, v36, vcc
	v_cndmask_b32_e64 v94, v94, v38, s[4:5]
	v_cndmask_b32_e64 v94, v94, v40, s[6:7]
	;; [unrolled: 1-line block ×12, first 2 shown]
	s_waitcnt lgkmcnt(0)
	v_mul_f64 v[94:95], v[94:95], v[96:97]
	s_cbranch_execz .LBB77_69
	s_branch .LBB77_70
.LBB77_68:
                                        ; implicit-def: $vgpr94_vgpr95
.LBB77_69:
	ds_read_b64 v[94:95], v99
.LBB77_70:
	s_and_saveexec_b64 s[6:7], s[0:1]
	s_cbranch_execz .LBB77_80
; %bb.71:
	v_add_u32_e32 v96, -9, v0
	v_cmp_lt_u32_e32 vcc, 6, v96
	v_mov_b32_e32 v96, 8
	s_and_saveexec_b64 s[0:1], vcc
	s_cbranch_execz .LBB77_75
; %bb.72:
	v_and_b32_e32 v96, 8, v0
	v_sub_u32_e32 v98, 0, v96
	s_mov_b64 s[4:5], 15
	s_movk_i32 s10, 0xb0
	s_mov_b64 s[8:9], 0
.LBB77_73:                              ; =>This Inner Loop Header: Depth=1
	s_lshl_b32 s11, s4, 1
	s_add_i32 s12, s11, -13
	s_add_i32 s13, s11, -14
	s_set_gpr_idx_on s12, gpr_idx(SRC0)
	v_mov_b32_e32 v117, v34
	s_set_gpr_idx_off
	v_mov_b32_e32 v96, s10
	s_add_i32 s14, s11, -11
	s_set_gpr_idx_on s13, gpr_idx(SRC0)
	v_mov_b32_e32 v116, v34
	s_set_gpr_idx_off
	s_add_i32 s15, s11, -12
	ds_read_b128 v[100:103], v96
	ds_read_b128 v[104:107], v96 offset:16
	ds_read_b128 v[108:111], v96 offset:32
	;; [unrolled: 1-line block ×3, first 2 shown]
	s_set_gpr_idx_on s14, gpr_idx(SRC0)
	v_mov_b32_e32 v119, v34
	s_set_gpr_idx_off
	s_add_i32 s16, s11, -9
	s_set_gpr_idx_on s15, gpr_idx(SRC0)
	v_mov_b32_e32 v118, v34
	s_set_gpr_idx_off
	s_add_i32 s17, s11, -10
	;; [unrolled: 4-line block ×4, first 2 shown]
	s_waitcnt lgkmcnt(3)
	v_fmac_f64_e32 v[94:95], v[116:117], v[100:101]
	s_set_gpr_idx_on s18, gpr_idx(SRC0)
	v_mov_b32_e32 v101, v34
	s_set_gpr_idx_off
	s_add_i32 s20, s11, -5
	v_fmac_f64_e32 v[94:95], v[118:119], v[102:103]
	s_set_gpr_idx_on s19, gpr_idx(SRC0)
	v_mov_b32_e32 v100, v34
	s_set_gpr_idx_off
	s_add_i32 s21, s11, -6
	s_waitcnt lgkmcnt(2)
	v_fmac_f64_e32 v[94:95], v[120:121], v[104:105]
	s_set_gpr_idx_on s20, gpr_idx(SRC0)
	v_mov_b32_e32 v103, v34
	s_set_gpr_idx_off
	s_add_i32 s22, s11, -3
	v_fmac_f64_e32 v[94:95], v[100:101], v[106:107]
	s_set_gpr_idx_on s21, gpr_idx(SRC0)
	v_mov_b32_e32 v102, v34
	s_set_gpr_idx_off
	s_add_i32 s23, s11, -4
	s_waitcnt lgkmcnt(1)
	v_fmac_f64_e32 v[94:95], v[102:103], v[108:109]
	s_set_gpr_idx_on s22, gpr_idx(SRC0)
	v_mov_b32_e32 v101, v34
	s_set_gpr_idx_off
	s_add_i32 s24, s11, -1
	s_set_gpr_idx_on s23, gpr_idx(SRC0)
	v_mov_b32_e32 v100, v34
	s_set_gpr_idx_off
	s_add_i32 s25, s11, -2
	v_fmac_f64_e32 v[94:95], v[100:101], v[110:111]
	s_set_gpr_idx_on s24, gpr_idx(SRC0)
	v_mov_b32_e32 v101, v34
	s_set_gpr_idx_off
	s_add_u32 s4, s4, 8
	s_set_gpr_idx_on s25, gpr_idx(SRC0)
	v_mov_b32_e32 v100, v34
	s_set_gpr_idx_off
	v_add_u32_e32 v96, s4, v98
	s_waitcnt lgkmcnt(0)
	v_fmac_f64_e32 v[94:95], v[100:101], v[112:113]
	s_set_gpr_idx_on s11, gpr_idx(SRC0)
	v_mov_b32_e32 v101, v35
	s_set_gpr_idx_off
	s_addc_u32 s5, s5, 0
	s_add_i32 s10, s10, 64
	s_add_i32 s12, s4, -7
	v_cmp_eq_u32_e32 vcc, 7, v96
	s_set_gpr_idx_on s11, gpr_idx(SRC0)
	v_mov_b32_e32 v100, v34
	s_set_gpr_idx_off
	v_mov_b32_e32 v96, s12
	s_or_b64 s[8:9], vcc, s[8:9]
	v_fmac_f64_e32 v[94:95], v[100:101], v[114:115]
	s_andn2_b64 exec, exec, s[8:9]
	s_cbranch_execnz .LBB77_73
; %bb.74:
	s_or_b64 exec, exec, s[8:9]
.LBB77_75:
	s_or_b64 exec, exec, s[0:1]
	v_and_b32_e32 v62, 7, v0
	v_cmp_ne_u32_e32 vcc, 0, v62
	s_and_saveexec_b64 s[8:9], vcc
	s_cbranch_execz .LBB77_79
; %bb.76:
	v_mov_b32_e32 v63, 0x70
	v_lshl_add_u32 v63, v96, 3, v63
	v_mov_b32_e32 v97, 0
	s_mov_b64 s[10:11], 0
.LBB77_77:                              ; =>This Inner Loop Header: Depth=1
	v_cmp_eq_u32_e32 vcc, 1, v96
	v_add_u32_e32 v62, -1, v62
	v_cmp_eq_u32_e64 s[0:1], 2, v96
	v_cndmask_b32_e32 v98, v35, v37, vcc
	v_cndmask_b32_e32 v100, v34, v36, vcc
	v_cndmask_b32_e64 v98, v98, v39, s[0:1]
	v_cmp_eq_u32_e32 vcc, 0, v62
	v_cmp_eq_u32_e64 s[4:5], 3, v96
	v_cndmask_b32_e64 v100, v100, v38, s[0:1]
	s_or_b64 s[10:11], vcc, s[10:11]
	v_cndmask_b32_e64 v98, v98, v41, s[4:5]
	v_cmp_eq_u32_e32 vcc, 4, v96
	v_cndmask_b32_e64 v100, v100, v40, s[4:5]
	v_cmp_eq_u32_e64 s[0:1], 5, v96
	v_cndmask_b32_e32 v98, v98, v43, vcc
	v_cndmask_b32_e32 v100, v100, v42, vcc
	v_cndmask_b32_e64 v98, v98, v45, s[0:1]
	v_cmp_eq_u32_e32 vcc, 6, v96
	v_cndmask_b32_e64 v100, v100, v44, s[0:1]
	v_cmp_eq_u32_e64 s[0:1], 7, v96
	v_cndmask_b32_e32 v98, v98, v47, vcc
	v_cndmask_b32_e32 v100, v100, v46, vcc
	;; [unrolled: 6-line block ×3, first 2 shown]
	v_cndmask_b32_e64 v98, v98, v53, s[0:1]
	v_cmp_eq_u32_e32 vcc, 10, v96
	ds_read_b64 v[64:65], v63
	v_cndmask_b32_e64 v100, v100, v52, s[0:1]
	v_cndmask_b32_e32 v98, v98, v55, vcc
	v_cmp_eq_u32_e64 s[0:1], 11, v96
	v_cndmask_b32_e32 v100, v100, v54, vcc
	v_cmp_eq_u32_e32 vcc, 12, v96
	v_cndmask_b32_e64 v98, v98, v57, s[0:1]
	v_cmp_eq_u32_e64 s[4:5], 13, v96
	v_cndmask_b32_e32 v98, v98, v59, vcc
	v_cndmask_b32_e64 v100, v100, v56, s[0:1]
	v_cndmask_b32_e64 v101, v98, v61, s[4:5]
	v_cndmask_b32_e32 v98, v100, v58, vcc
	v_cndmask_b32_e64 v100, v98, v60, s[4:5]
	v_add_u32_e32 v63, 8, v63
	v_lshl_add_u64 v[96:97], v[96:97], 0, 1
	s_waitcnt lgkmcnt(0)
	v_fmac_f64_e32 v[94:95], v[100:101], v[64:65]
	s_andn2_b64 exec, exec, s[10:11]
	s_cbranch_execnz .LBB77_77
; %bb.78:
	s_or_b64 exec, exec, s[10:11]
.LBB77_79:
	s_or_b64 exec, exec, s[8:9]
.LBB77_80:
	s_or_b64 exec, exec, s[6:7]
	v_mov_b32_e32 v48, 0
	ds_read_b64 v[48:49], v48 offset:56
	s_waitcnt lgkmcnt(0)
	v_mul_f64 v[48:49], v[94:95], v[48:49]
.LBB77_81:
	s_or_b64 exec, exec, s[28:29]
	v_cmp_lt_u32_e64 s[0:1], 6, v0
	ds_write_b64 v99, v[46:47]
	s_waitcnt lgkmcnt(0)
	; wave barrier
	s_and_saveexec_b64 s[28:29], s[0:1]
	s_cbranch_execz .LBB77_97
; %bb.82:
	s_andn2_b64 vcc, exec, s[30:31]
	s_cbranch_vccnz .LBB77_84
; %bb.83:
	v_cmp_eq_u32_e32 vcc, 1, v0
	v_cmp_eq_u32_e64 s[4:5], 2, v0
	v_cmp_eq_u32_e64 s[6:7], 3, v0
	v_cndmask_b32_e32 v94, v35, v37, vcc
	v_cndmask_b32_e64 v94, v94, v39, s[4:5]
	v_cndmask_b32_e64 v94, v94, v41, s[6:7]
	v_cmp_eq_u32_e64 s[8:9], 4, v0
	v_cmp_eq_u32_e64 s[10:11], 5, v0
	v_cmp_eq_u32_e64 s[12:13], 6, v0
	v_cndmask_b32_e64 v94, v94, v43, s[8:9]
	v_cndmask_b32_e64 v94, v94, v45, s[10:11]
	v_cndmask_b32_e64 v94, v94, v47, s[12:13]
	v_cmp_eq_u32_e64 s[14:15], 7, v0
	v_cmp_eq_u32_e64 s[16:17], 8, v0
	v_cmp_eq_u32_e64 s[18:19], 9, v0
	v_cndmask_b32_e64 v94, v94, v49, s[14:15]
	;; [unrolled: 6-line block ×3, first 2 shown]
	v_cndmask_b32_e64 v94, v94, v57, s[22:23]
	v_cndmask_b32_e64 v94, v94, v59, s[24:25]
	v_cmp_eq_u32_e64 s[26:27], 13, v0
	ds_read_b64 v[96:97], v99
	s_nop 0
	v_cndmask_b32_e64 v95, v94, v61, s[26:27]
	v_cndmask_b32_e32 v94, v34, v36, vcc
	v_cndmask_b32_e64 v94, v94, v38, s[4:5]
	v_cndmask_b32_e64 v94, v94, v40, s[6:7]
	;; [unrolled: 1-line block ×12, first 2 shown]
	s_waitcnt lgkmcnt(0)
	v_mul_f64 v[94:95], v[94:95], v[96:97]
	s_cbranch_execz .LBB77_85
	s_branch .LBB77_86
.LBB77_84:
                                        ; implicit-def: $vgpr94_vgpr95
.LBB77_85:
	ds_read_b64 v[94:95], v99
.LBB77_86:
	s_and_saveexec_b64 s[6:7], s[2:3]
	s_cbranch_execz .LBB77_96
; %bb.87:
	v_add_u32_e32 v96, -8, v0
	v_add_u32_e32 v97, -7, v0
	v_cmp_lt_u32_e32 vcc, 6, v96
	v_mov_b32_e32 v96, 7
	s_and_saveexec_b64 s[2:3], vcc
	s_cbranch_execz .LBB77_91
; %bb.88:
	v_and_b32_e32 v96, -8, v97
	v_sub_u32_e32 v98, 0, v96
	s_mov_b64 s[4:5], 14
	s_movk_i32 s10, 0xa8
	s_mov_b64 s[8:9], 0
.LBB77_89:                              ; =>This Inner Loop Header: Depth=1
	s_lshl_b32 s11, s4, 1
	s_add_i32 s12, s11, -13
	v_mov_b32_e32 v114, s10
	s_add_i32 s13, s11, -14
	s_set_gpr_idx_on s12, gpr_idx(SRC0)
	v_mov_b32_e32 v109, v34
	s_set_gpr_idx_off
	s_add_i32 s14, s11, -11
	s_set_gpr_idx_on s13, gpr_idx(SRC0)
	v_mov_b32_e32 v108, v34
	s_set_gpr_idx_off
	ds_read2_b64 v[100:103], v114 offset1:1
	s_add_i32 s15, s11, -12
	s_set_gpr_idx_on s14, gpr_idx(SRC0)
	v_mov_b32_e32 v111, v34
	s_set_gpr_idx_off
	s_add_i32 s16, s11, -9
	s_set_gpr_idx_on s15, gpr_idx(SRC0)
	v_mov_b32_e32 v110, v34
	s_set_gpr_idx_off
	;; [unrolled: 4-line block ×4, first 2 shown]
	ds_read2_b64 v[104:107], v114 offset0:2 offset1:3
	s_add_i32 s19, s11, -8
	s_waitcnt lgkmcnt(1)
	v_fmac_f64_e32 v[94:95], v[108:109], v[100:101]
	s_set_gpr_idx_on s18, gpr_idx(SRC0)
	v_mov_b32_e32 v109, v34
	s_set_gpr_idx_off
	s_add_i32 s20, s11, -5
	v_fmac_f64_e32 v[94:95], v[110:111], v[102:103]
	s_set_gpr_idx_on s19, gpr_idx(SRC0)
	v_mov_b32_e32 v108, v34
	s_set_gpr_idx_off
	s_add_i32 s21, s11, -6
	s_set_gpr_idx_on s20, gpr_idx(SRC0)
	v_mov_b32_e32 v111, v34
	s_set_gpr_idx_off
	s_add_i32 s22, s11, -3
	;; [unrolled: 4-line block ×3, first 2 shown]
	ds_read2_b64 v[100:103], v114 offset0:4 offset1:5
	s_waitcnt lgkmcnt(1)
	v_fmac_f64_e32 v[94:95], v[112:113], v[104:105]
	s_set_gpr_idx_on s22, gpr_idx(SRC0)
	v_mov_b32_e32 v113, v34
	s_set_gpr_idx_off
	s_add_i32 s24, s11, -1
	v_fmac_f64_e32 v[94:95], v[108:109], v[106:107]
	s_set_gpr_idx_on s23, gpr_idx(SRC0)
	v_mov_b32_e32 v112, v34
	s_set_gpr_idx_off
	s_add_i32 s25, s11, -2
	s_set_gpr_idx_on s24, gpr_idx(SRC0)
	v_mov_b32_e32 v109, v34
	s_set_gpr_idx_off
	s_set_gpr_idx_on s25, gpr_idx(SRC0)
	v_mov_b32_e32 v108, v34
	s_set_gpr_idx_off
	ds_read2_b64 v[104:107], v114 offset0:6 offset1:7
	s_add_u32 s4, s4, 8
	s_waitcnt lgkmcnt(1)
	v_fmac_f64_e32 v[94:95], v[110:111], v[100:101]
	s_set_gpr_idx_on s11, gpr_idx(SRC0)
	v_mov_b32_e32 v101, v35
	s_set_gpr_idx_off
	v_add_u32_e32 v96, s4, v98
	v_fmac_f64_e32 v[94:95], v[112:113], v[102:103]
	s_set_gpr_idx_on s11, gpr_idx(SRC0)
	v_mov_b32_e32 v100, v34
	s_set_gpr_idx_off
	s_addc_u32 s5, s5, 0
	s_add_i32 s10, s10, 64
	s_add_i32 s12, s4, -7
	v_cmp_eq_u32_e32 vcc, 14, v96
	s_waitcnt lgkmcnt(0)
	v_fmac_f64_e32 v[94:95], v[108:109], v[104:105]
	v_mov_b32_e32 v96, s12
	s_or_b64 s[8:9], vcc, s[8:9]
	v_fmac_f64_e32 v[94:95], v[100:101], v[106:107]
	s_andn2_b64 exec, exec, s[8:9]
	s_cbranch_execnz .LBB77_89
; %bb.90:
	s_or_b64 exec, exec, s[8:9]
.LBB77_91:
	s_or_b64 exec, exec, s[2:3]
	v_and_b32_e32 v62, 7, v97
	v_cmp_ne_u32_e32 vcc, 0, v62
	s_and_saveexec_b64 s[8:9], vcc
	s_cbranch_execz .LBB77_95
; %bb.92:
	v_mov_b32_e32 v63, 0x70
	v_lshl_add_u32 v63, v96, 3, v63
	v_mov_b32_e32 v97, 0
	s_mov_b64 s[10:11], 0
.LBB77_93:                              ; =>This Inner Loop Header: Depth=1
	v_cmp_eq_u32_e32 vcc, 1, v96
	v_add_u32_e32 v62, -1, v62
	v_cmp_eq_u32_e64 s[2:3], 2, v96
	v_cndmask_b32_e32 v98, v35, v37, vcc
	v_cndmask_b32_e32 v100, v34, v36, vcc
	v_cndmask_b32_e64 v98, v98, v39, s[2:3]
	v_cmp_eq_u32_e32 vcc, 0, v62
	v_cmp_eq_u32_e64 s[4:5], 3, v96
	v_cndmask_b32_e64 v100, v100, v38, s[2:3]
	s_or_b64 s[10:11], vcc, s[10:11]
	v_cndmask_b32_e64 v98, v98, v41, s[4:5]
	v_cmp_eq_u32_e32 vcc, 4, v96
	v_cndmask_b32_e64 v100, v100, v40, s[4:5]
	v_cmp_eq_u32_e64 s[2:3], 5, v96
	v_cndmask_b32_e32 v98, v98, v43, vcc
	v_cndmask_b32_e32 v100, v100, v42, vcc
	v_cndmask_b32_e64 v98, v98, v45, s[2:3]
	v_cmp_eq_u32_e32 vcc, 6, v96
	v_cndmask_b32_e64 v100, v100, v44, s[2:3]
	v_cmp_eq_u32_e64 s[2:3], 7, v96
	v_cndmask_b32_e32 v98, v98, v47, vcc
	v_cndmask_b32_e32 v100, v100, v46, vcc
	;; [unrolled: 6-line block ×3, first 2 shown]
	v_cndmask_b32_e64 v98, v98, v53, s[2:3]
	v_cmp_eq_u32_e32 vcc, 10, v96
	ds_read_b64 v[64:65], v63
	v_cndmask_b32_e64 v100, v100, v52, s[2:3]
	v_cndmask_b32_e32 v98, v98, v55, vcc
	v_cmp_eq_u32_e64 s[2:3], 11, v96
	v_cndmask_b32_e32 v100, v100, v54, vcc
	v_cmp_eq_u32_e32 vcc, 12, v96
	v_cndmask_b32_e64 v98, v98, v57, s[2:3]
	v_cmp_eq_u32_e64 s[4:5], 13, v96
	v_cndmask_b32_e32 v98, v98, v59, vcc
	v_cndmask_b32_e64 v100, v100, v56, s[2:3]
	v_cndmask_b32_e64 v101, v98, v61, s[4:5]
	v_cndmask_b32_e32 v98, v100, v58, vcc
	v_cndmask_b32_e64 v100, v98, v60, s[4:5]
	v_add_u32_e32 v63, 8, v63
	v_lshl_add_u64 v[96:97], v[96:97], 0, 1
	s_waitcnt lgkmcnt(0)
	v_fmac_f64_e32 v[94:95], v[100:101], v[64:65]
	s_andn2_b64 exec, exec, s[10:11]
	s_cbranch_execnz .LBB77_93
; %bb.94:
	s_or_b64 exec, exec, s[10:11]
.LBB77_95:
	s_or_b64 exec, exec, s[8:9]
.LBB77_96:
	s_or_b64 exec, exec, s[6:7]
	v_mov_b32_e32 v46, 0
	ds_read_b64 v[46:47], v46 offset:48
	s_waitcnt lgkmcnt(0)
	v_mul_f64 v[46:47], v[94:95], v[46:47]
.LBB77_97:
	s_or_b64 exec, exec, s[28:29]
	v_cmp_lt_u32_e64 s[2:3], 5, v0
	ds_write_b64 v99, v[44:45]
	s_waitcnt lgkmcnt(0)
	; wave barrier
	s_and_saveexec_b64 s[28:29], s[2:3]
	s_cbranch_execz .LBB77_113
; %bb.98:
	s_andn2_b64 vcc, exec, s[30:31]
	s_cbranch_vccnz .LBB77_100
; %bb.99:
	v_cmp_eq_u32_e32 vcc, 1, v0
	v_cmp_eq_u32_e64 s[4:5], 2, v0
	v_cmp_eq_u32_e64 s[6:7], 3, v0
	v_cndmask_b32_e32 v94, v35, v37, vcc
	v_cndmask_b32_e64 v94, v94, v39, s[4:5]
	v_cndmask_b32_e64 v94, v94, v41, s[6:7]
	v_cmp_eq_u32_e64 s[8:9], 4, v0
	v_cmp_eq_u32_e64 s[10:11], 5, v0
	v_cmp_eq_u32_e64 s[12:13], 6, v0
	v_cndmask_b32_e64 v94, v94, v43, s[8:9]
	v_cndmask_b32_e64 v94, v94, v45, s[10:11]
	v_cndmask_b32_e64 v94, v94, v47, s[12:13]
	v_cmp_eq_u32_e64 s[14:15], 7, v0
	v_cmp_eq_u32_e64 s[16:17], 8, v0
	v_cmp_eq_u32_e64 s[18:19], 9, v0
	v_cndmask_b32_e64 v94, v94, v49, s[14:15]
	;; [unrolled: 6-line block ×3, first 2 shown]
	v_cndmask_b32_e64 v94, v94, v57, s[22:23]
	v_cndmask_b32_e64 v94, v94, v59, s[24:25]
	v_cmp_eq_u32_e64 s[26:27], 13, v0
	ds_read_b64 v[96:97], v99
	s_nop 0
	v_cndmask_b32_e64 v95, v94, v61, s[26:27]
	v_cndmask_b32_e32 v94, v34, v36, vcc
	v_cndmask_b32_e64 v94, v94, v38, s[4:5]
	v_cndmask_b32_e64 v94, v94, v40, s[6:7]
	;; [unrolled: 1-line block ×12, first 2 shown]
	s_waitcnt lgkmcnt(0)
	v_mul_f64 v[94:95], v[94:95], v[96:97]
	s_cbranch_execz .LBB77_101
	s_branch .LBB77_102
.LBB77_100:
                                        ; implicit-def: $vgpr94_vgpr95
.LBB77_101:
	ds_read_b64 v[94:95], v99
.LBB77_102:
	s_and_saveexec_b64 s[6:7], s[0:1]
	s_cbranch_execz .LBB77_112
; %bb.103:
	v_add_u32_e32 v98, -7, v0
	v_add_u32_e32 v97, -6, v0
	v_mov_b32_e32 v96, 6
	v_cmp_lt_u32_e32 vcc, 6, v98
	s_and_saveexec_b64 s[0:1], vcc
	s_cbranch_execz .LBB77_107
; %bb.104:
	v_and_b32_e32 v96, -8, v97
	v_sub_u32_e32 v98, 0, v96
	s_mov_b64 s[4:5], 13
	s_movk_i32 s10, 0xa0
	s_mov_b64 s[8:9], 0
.LBB77_105:                             ; =>This Inner Loop Header: Depth=1
	s_lshl_b32 s11, s4, 1
	s_add_i32 s12, s11, -13
	s_add_i32 s13, s11, -14
	s_set_gpr_idx_on s12, gpr_idx(SRC0)
	v_mov_b32_e32 v117, v34
	s_set_gpr_idx_off
	v_mov_b32_e32 v96, s10
	s_add_i32 s14, s11, -11
	s_set_gpr_idx_on s13, gpr_idx(SRC0)
	v_mov_b32_e32 v116, v34
	s_set_gpr_idx_off
	s_add_i32 s15, s11, -12
	ds_read_b128 v[100:103], v96
	ds_read_b128 v[104:107], v96 offset:16
	ds_read_b128 v[108:111], v96 offset:32
	;; [unrolled: 1-line block ×3, first 2 shown]
	s_set_gpr_idx_on s14, gpr_idx(SRC0)
	v_mov_b32_e32 v119, v34
	s_set_gpr_idx_off
	s_add_i32 s16, s11, -9
	s_set_gpr_idx_on s15, gpr_idx(SRC0)
	v_mov_b32_e32 v118, v34
	s_set_gpr_idx_off
	s_add_i32 s17, s11, -10
	;; [unrolled: 4-line block ×4, first 2 shown]
	s_waitcnt lgkmcnt(3)
	v_fmac_f64_e32 v[94:95], v[116:117], v[100:101]
	s_set_gpr_idx_on s18, gpr_idx(SRC0)
	v_mov_b32_e32 v101, v34
	s_set_gpr_idx_off
	s_add_i32 s20, s11, -5
	v_fmac_f64_e32 v[94:95], v[118:119], v[102:103]
	s_set_gpr_idx_on s19, gpr_idx(SRC0)
	v_mov_b32_e32 v100, v34
	s_set_gpr_idx_off
	s_add_i32 s21, s11, -6
	s_waitcnt lgkmcnt(2)
	v_fmac_f64_e32 v[94:95], v[120:121], v[104:105]
	s_set_gpr_idx_on s20, gpr_idx(SRC0)
	v_mov_b32_e32 v103, v34
	s_set_gpr_idx_off
	s_add_i32 s22, s11, -3
	v_fmac_f64_e32 v[94:95], v[100:101], v[106:107]
	s_set_gpr_idx_on s21, gpr_idx(SRC0)
	v_mov_b32_e32 v102, v34
	s_set_gpr_idx_off
	s_add_i32 s23, s11, -4
	s_waitcnt lgkmcnt(1)
	v_fmac_f64_e32 v[94:95], v[102:103], v[108:109]
	s_set_gpr_idx_on s22, gpr_idx(SRC0)
	v_mov_b32_e32 v101, v34
	s_set_gpr_idx_off
	s_add_i32 s24, s11, -1
	s_set_gpr_idx_on s23, gpr_idx(SRC0)
	v_mov_b32_e32 v100, v34
	s_set_gpr_idx_off
	s_add_i32 s25, s11, -2
	v_fmac_f64_e32 v[94:95], v[100:101], v[110:111]
	s_set_gpr_idx_on s24, gpr_idx(SRC0)
	v_mov_b32_e32 v101, v34
	s_set_gpr_idx_off
	s_add_u32 s4, s4, 8
	s_set_gpr_idx_on s25, gpr_idx(SRC0)
	v_mov_b32_e32 v100, v34
	s_set_gpr_idx_off
	v_add_u32_e32 v96, s4, v98
	s_waitcnt lgkmcnt(0)
	v_fmac_f64_e32 v[94:95], v[100:101], v[112:113]
	s_set_gpr_idx_on s11, gpr_idx(SRC0)
	v_mov_b32_e32 v101, v35
	s_set_gpr_idx_off
	s_addc_u32 s5, s5, 0
	s_add_i32 s10, s10, 64
	s_add_i32 s12, s4, -7
	v_cmp_eq_u32_e32 vcc, 13, v96
	s_set_gpr_idx_on s11, gpr_idx(SRC0)
	v_mov_b32_e32 v100, v34
	s_set_gpr_idx_off
	v_mov_b32_e32 v96, s12
	s_or_b64 s[8:9], vcc, s[8:9]
	v_fmac_f64_e32 v[94:95], v[100:101], v[114:115]
	s_andn2_b64 exec, exec, s[8:9]
	s_cbranch_execnz .LBB77_105
; %bb.106:
	s_or_b64 exec, exec, s[8:9]
.LBB77_107:
	s_or_b64 exec, exec, s[0:1]
	v_and_b32_e32 v62, 7, v97
	v_cmp_ne_u32_e32 vcc, 0, v62
	s_and_saveexec_b64 s[8:9], vcc
	s_cbranch_execz .LBB77_111
; %bb.108:
	v_mov_b32_e32 v63, 0x70
	v_lshl_add_u32 v63, v96, 3, v63
	v_mov_b32_e32 v97, 0
	s_mov_b64 s[10:11], 0
.LBB77_109:                             ; =>This Inner Loop Header: Depth=1
	v_cmp_eq_u32_e32 vcc, 1, v96
	v_add_u32_e32 v62, -1, v62
	v_cmp_eq_u32_e64 s[0:1], 2, v96
	v_cndmask_b32_e32 v98, v35, v37, vcc
	v_cndmask_b32_e32 v100, v34, v36, vcc
	v_cndmask_b32_e64 v98, v98, v39, s[0:1]
	v_cmp_eq_u32_e32 vcc, 0, v62
	v_cmp_eq_u32_e64 s[4:5], 3, v96
	v_cndmask_b32_e64 v100, v100, v38, s[0:1]
	s_or_b64 s[10:11], vcc, s[10:11]
	v_cndmask_b32_e64 v98, v98, v41, s[4:5]
	v_cmp_eq_u32_e32 vcc, 4, v96
	v_cndmask_b32_e64 v100, v100, v40, s[4:5]
	v_cmp_eq_u32_e64 s[0:1], 5, v96
	v_cndmask_b32_e32 v98, v98, v43, vcc
	v_cndmask_b32_e32 v100, v100, v42, vcc
	v_cndmask_b32_e64 v98, v98, v45, s[0:1]
	v_cmp_eq_u32_e32 vcc, 6, v96
	v_cndmask_b32_e64 v100, v100, v44, s[0:1]
	v_cmp_eq_u32_e64 s[0:1], 7, v96
	v_cndmask_b32_e32 v98, v98, v47, vcc
	v_cndmask_b32_e32 v100, v100, v46, vcc
	;; [unrolled: 6-line block ×3, first 2 shown]
	v_cndmask_b32_e64 v98, v98, v53, s[0:1]
	v_cmp_eq_u32_e32 vcc, 10, v96
	ds_read_b64 v[64:65], v63
	v_cndmask_b32_e64 v100, v100, v52, s[0:1]
	v_cndmask_b32_e32 v98, v98, v55, vcc
	v_cmp_eq_u32_e64 s[0:1], 11, v96
	v_cndmask_b32_e32 v100, v100, v54, vcc
	v_cmp_eq_u32_e32 vcc, 12, v96
	v_cndmask_b32_e64 v98, v98, v57, s[0:1]
	v_cmp_eq_u32_e64 s[4:5], 13, v96
	v_cndmask_b32_e32 v98, v98, v59, vcc
	v_cndmask_b32_e64 v100, v100, v56, s[0:1]
	v_cndmask_b32_e64 v101, v98, v61, s[4:5]
	v_cndmask_b32_e32 v98, v100, v58, vcc
	v_cndmask_b32_e64 v100, v98, v60, s[4:5]
	v_add_u32_e32 v63, 8, v63
	v_lshl_add_u64 v[96:97], v[96:97], 0, 1
	s_waitcnt lgkmcnt(0)
	v_fmac_f64_e32 v[94:95], v[100:101], v[64:65]
	s_andn2_b64 exec, exec, s[10:11]
	s_cbranch_execnz .LBB77_109
; %bb.110:
	s_or_b64 exec, exec, s[10:11]
.LBB77_111:
	s_or_b64 exec, exec, s[8:9]
.LBB77_112:
	s_or_b64 exec, exec, s[6:7]
	v_mov_b32_e32 v44, 0
	ds_read_b64 v[44:45], v44 offset:40
	s_waitcnt lgkmcnt(0)
	v_mul_f64 v[44:45], v[94:95], v[44:45]
.LBB77_113:
	s_or_b64 exec, exec, s[28:29]
	v_cmp_lt_u32_e64 s[0:1], 4, v0
	ds_write_b64 v99, v[42:43]
	s_waitcnt lgkmcnt(0)
	; wave barrier
	s_and_saveexec_b64 s[28:29], s[0:1]
	s_cbranch_execz .LBB77_129
; %bb.114:
	s_andn2_b64 vcc, exec, s[30:31]
	s_cbranch_vccnz .LBB77_116
; %bb.115:
	v_cmp_eq_u32_e32 vcc, 1, v0
	v_cmp_eq_u32_e64 s[4:5], 2, v0
	v_cmp_eq_u32_e64 s[6:7], 3, v0
	v_cndmask_b32_e32 v94, v35, v37, vcc
	v_cndmask_b32_e64 v94, v94, v39, s[4:5]
	v_cndmask_b32_e64 v94, v94, v41, s[6:7]
	v_cmp_eq_u32_e64 s[8:9], 4, v0
	v_cmp_eq_u32_e64 s[10:11], 5, v0
	v_cmp_eq_u32_e64 s[12:13], 6, v0
	v_cndmask_b32_e64 v94, v94, v43, s[8:9]
	v_cndmask_b32_e64 v94, v94, v45, s[10:11]
	v_cndmask_b32_e64 v94, v94, v47, s[12:13]
	v_cmp_eq_u32_e64 s[14:15], 7, v0
	v_cmp_eq_u32_e64 s[16:17], 8, v0
	v_cmp_eq_u32_e64 s[18:19], 9, v0
	v_cndmask_b32_e64 v94, v94, v49, s[14:15]
	v_cndmask_b32_e64 v94, v94, v51, s[16:17]
	v_cndmask_b32_e64 v94, v94, v53, s[18:19]
	v_cmp_eq_u32_e64 s[20:21], 10, v0
	v_cmp_eq_u32_e64 s[22:23], 11, v0
	v_cmp_eq_u32_e64 s[24:25], 12, v0
	v_cndmask_b32_e64 v94, v94, v55, s[20:21]
	v_cndmask_b32_e64 v94, v94, v57, s[22:23]
	v_cndmask_b32_e64 v94, v94, v59, s[24:25]
	v_cmp_eq_u32_e64 s[26:27], 13, v0
	ds_read_b64 v[96:97], v99
	s_nop 0
	v_cndmask_b32_e64 v95, v94, v61, s[26:27]
	v_cndmask_b32_e32 v94, v34, v36, vcc
	v_cndmask_b32_e64 v94, v94, v38, s[4:5]
	v_cndmask_b32_e64 v94, v94, v40, s[6:7]
	;; [unrolled: 1-line block ×12, first 2 shown]
	s_waitcnt lgkmcnt(0)
	v_mul_f64 v[94:95], v[94:95], v[96:97]
	s_cbranch_execz .LBB77_117
	s_branch .LBB77_118
.LBB77_116:
                                        ; implicit-def: $vgpr94_vgpr95
.LBB77_117:
	ds_read_b64 v[94:95], v99
.LBB77_118:
	s_and_saveexec_b64 s[6:7], s[2:3]
	s_cbranch_execz .LBB77_128
; %bb.119:
	v_add_u32_e32 v96, -6, v0
	v_add_u32_e32 v97, -5, v0
	v_cmp_lt_u32_e32 vcc, 6, v96
	v_mov_b32_e32 v96, 5
	s_and_saveexec_b64 s[2:3], vcc
	s_cbranch_execz .LBB77_123
; %bb.120:
	v_and_b32_e32 v96, -8, v97
	v_sub_u32_e32 v98, 0, v96
	s_mov_b64 s[4:5], 12
	s_movk_i32 s10, 0x98
	s_mov_b64 s[8:9], 0
.LBB77_121:                             ; =>This Inner Loop Header: Depth=1
	s_lshl_b32 s11, s4, 1
	s_add_i32 s12, s11, -13
	v_mov_b32_e32 v114, s10
	s_add_i32 s13, s11, -14
	s_set_gpr_idx_on s12, gpr_idx(SRC0)
	v_mov_b32_e32 v109, v34
	s_set_gpr_idx_off
	s_add_i32 s14, s11, -11
	s_set_gpr_idx_on s13, gpr_idx(SRC0)
	v_mov_b32_e32 v108, v34
	s_set_gpr_idx_off
	ds_read2_b64 v[100:103], v114 offset1:1
	s_add_i32 s15, s11, -12
	s_set_gpr_idx_on s14, gpr_idx(SRC0)
	v_mov_b32_e32 v111, v34
	s_set_gpr_idx_off
	s_add_i32 s16, s11, -9
	s_set_gpr_idx_on s15, gpr_idx(SRC0)
	v_mov_b32_e32 v110, v34
	s_set_gpr_idx_off
	;; [unrolled: 4-line block ×4, first 2 shown]
	ds_read2_b64 v[104:107], v114 offset0:2 offset1:3
	s_add_i32 s19, s11, -8
	s_waitcnt lgkmcnt(1)
	v_fmac_f64_e32 v[94:95], v[108:109], v[100:101]
	s_set_gpr_idx_on s18, gpr_idx(SRC0)
	v_mov_b32_e32 v109, v34
	s_set_gpr_idx_off
	s_add_i32 s20, s11, -5
	v_fmac_f64_e32 v[94:95], v[110:111], v[102:103]
	s_set_gpr_idx_on s19, gpr_idx(SRC0)
	v_mov_b32_e32 v108, v34
	s_set_gpr_idx_off
	s_add_i32 s21, s11, -6
	s_set_gpr_idx_on s20, gpr_idx(SRC0)
	v_mov_b32_e32 v111, v34
	s_set_gpr_idx_off
	s_add_i32 s22, s11, -3
	;; [unrolled: 4-line block ×3, first 2 shown]
	ds_read2_b64 v[100:103], v114 offset0:4 offset1:5
	s_waitcnt lgkmcnt(1)
	v_fmac_f64_e32 v[94:95], v[112:113], v[104:105]
	s_set_gpr_idx_on s22, gpr_idx(SRC0)
	v_mov_b32_e32 v113, v34
	s_set_gpr_idx_off
	s_add_i32 s24, s11, -1
	v_fmac_f64_e32 v[94:95], v[108:109], v[106:107]
	s_set_gpr_idx_on s23, gpr_idx(SRC0)
	v_mov_b32_e32 v112, v34
	s_set_gpr_idx_off
	s_add_i32 s25, s11, -2
	s_set_gpr_idx_on s24, gpr_idx(SRC0)
	v_mov_b32_e32 v109, v34
	s_set_gpr_idx_off
	s_set_gpr_idx_on s25, gpr_idx(SRC0)
	v_mov_b32_e32 v108, v34
	s_set_gpr_idx_off
	ds_read2_b64 v[104:107], v114 offset0:6 offset1:7
	s_add_u32 s4, s4, 8
	s_waitcnt lgkmcnt(1)
	v_fmac_f64_e32 v[94:95], v[110:111], v[100:101]
	s_set_gpr_idx_on s11, gpr_idx(SRC0)
	v_mov_b32_e32 v101, v35
	s_set_gpr_idx_off
	v_add_u32_e32 v96, s4, v98
	v_fmac_f64_e32 v[94:95], v[112:113], v[102:103]
	s_set_gpr_idx_on s11, gpr_idx(SRC0)
	v_mov_b32_e32 v100, v34
	s_set_gpr_idx_off
	s_addc_u32 s5, s5, 0
	s_add_i32 s10, s10, 64
	s_add_i32 s12, s4, -7
	v_cmp_eq_u32_e32 vcc, 12, v96
	s_waitcnt lgkmcnt(0)
	v_fmac_f64_e32 v[94:95], v[108:109], v[104:105]
	v_mov_b32_e32 v96, s12
	s_or_b64 s[8:9], vcc, s[8:9]
	v_fmac_f64_e32 v[94:95], v[100:101], v[106:107]
	s_andn2_b64 exec, exec, s[8:9]
	s_cbranch_execnz .LBB77_121
; %bb.122:
	s_or_b64 exec, exec, s[8:9]
.LBB77_123:
	s_or_b64 exec, exec, s[2:3]
	v_and_b32_e32 v62, 7, v97
	v_cmp_ne_u32_e32 vcc, 0, v62
	s_and_saveexec_b64 s[8:9], vcc
	s_cbranch_execz .LBB77_127
; %bb.124:
	v_mov_b32_e32 v63, 0x70
	v_lshl_add_u32 v63, v96, 3, v63
	v_mov_b32_e32 v97, 0
	s_mov_b64 s[10:11], 0
.LBB77_125:                             ; =>This Inner Loop Header: Depth=1
	v_cmp_eq_u32_e32 vcc, 1, v96
	v_add_u32_e32 v62, -1, v62
	v_cmp_eq_u32_e64 s[2:3], 2, v96
	v_cndmask_b32_e32 v98, v35, v37, vcc
	v_cndmask_b32_e32 v100, v34, v36, vcc
	v_cndmask_b32_e64 v98, v98, v39, s[2:3]
	v_cmp_eq_u32_e32 vcc, 0, v62
	v_cmp_eq_u32_e64 s[4:5], 3, v96
	v_cndmask_b32_e64 v100, v100, v38, s[2:3]
	s_or_b64 s[10:11], vcc, s[10:11]
	v_cndmask_b32_e64 v98, v98, v41, s[4:5]
	v_cmp_eq_u32_e32 vcc, 4, v96
	v_cndmask_b32_e64 v100, v100, v40, s[4:5]
	v_cmp_eq_u32_e64 s[2:3], 5, v96
	v_cndmask_b32_e32 v98, v98, v43, vcc
	v_cndmask_b32_e32 v100, v100, v42, vcc
	v_cndmask_b32_e64 v98, v98, v45, s[2:3]
	v_cmp_eq_u32_e32 vcc, 6, v96
	v_cndmask_b32_e64 v100, v100, v44, s[2:3]
	v_cmp_eq_u32_e64 s[2:3], 7, v96
	v_cndmask_b32_e32 v98, v98, v47, vcc
	v_cndmask_b32_e32 v100, v100, v46, vcc
	;; [unrolled: 6-line block ×3, first 2 shown]
	v_cndmask_b32_e64 v98, v98, v53, s[2:3]
	v_cmp_eq_u32_e32 vcc, 10, v96
	ds_read_b64 v[64:65], v63
	v_cndmask_b32_e64 v100, v100, v52, s[2:3]
	v_cndmask_b32_e32 v98, v98, v55, vcc
	v_cmp_eq_u32_e64 s[2:3], 11, v96
	v_cndmask_b32_e32 v100, v100, v54, vcc
	v_cmp_eq_u32_e32 vcc, 12, v96
	v_cndmask_b32_e64 v98, v98, v57, s[2:3]
	v_cmp_eq_u32_e64 s[4:5], 13, v96
	v_cndmask_b32_e32 v98, v98, v59, vcc
	v_cndmask_b32_e64 v100, v100, v56, s[2:3]
	v_cndmask_b32_e64 v101, v98, v61, s[4:5]
	v_cndmask_b32_e32 v98, v100, v58, vcc
	v_cndmask_b32_e64 v100, v98, v60, s[4:5]
	v_add_u32_e32 v63, 8, v63
	v_lshl_add_u64 v[96:97], v[96:97], 0, 1
	s_waitcnt lgkmcnt(0)
	v_fmac_f64_e32 v[94:95], v[100:101], v[64:65]
	s_andn2_b64 exec, exec, s[10:11]
	s_cbranch_execnz .LBB77_125
; %bb.126:
	s_or_b64 exec, exec, s[10:11]
.LBB77_127:
	s_or_b64 exec, exec, s[8:9]
.LBB77_128:
	s_or_b64 exec, exec, s[6:7]
	v_mov_b32_e32 v42, 0
	ds_read_b64 v[42:43], v42 offset:32
	s_waitcnt lgkmcnt(0)
	v_mul_f64 v[42:43], v[94:95], v[42:43]
.LBB77_129:
	s_or_b64 exec, exec, s[28:29]
	v_cmp_lt_u32_e64 s[2:3], 3, v0
	ds_write_b64 v99, v[40:41]
	s_waitcnt lgkmcnt(0)
	; wave barrier
	s_and_saveexec_b64 s[28:29], s[2:3]
	s_cbranch_execz .LBB77_145
; %bb.130:
	s_andn2_b64 vcc, exec, s[30:31]
	s_cbranch_vccnz .LBB77_132
; %bb.131:
	v_cmp_eq_u32_e32 vcc, 1, v0
	v_cmp_eq_u32_e64 s[4:5], 2, v0
	v_cmp_eq_u32_e64 s[6:7], 3, v0
	v_cndmask_b32_e32 v94, v35, v37, vcc
	v_cndmask_b32_e64 v94, v94, v39, s[4:5]
	v_cndmask_b32_e64 v94, v94, v41, s[6:7]
	v_cmp_eq_u32_e64 s[8:9], 4, v0
	v_cmp_eq_u32_e64 s[10:11], 5, v0
	v_cmp_eq_u32_e64 s[12:13], 6, v0
	v_cndmask_b32_e64 v94, v94, v43, s[8:9]
	v_cndmask_b32_e64 v94, v94, v45, s[10:11]
	v_cndmask_b32_e64 v94, v94, v47, s[12:13]
	v_cmp_eq_u32_e64 s[14:15], 7, v0
	v_cmp_eq_u32_e64 s[16:17], 8, v0
	v_cmp_eq_u32_e64 s[18:19], 9, v0
	v_cndmask_b32_e64 v94, v94, v49, s[14:15]
	v_cndmask_b32_e64 v94, v94, v51, s[16:17]
	v_cndmask_b32_e64 v94, v94, v53, s[18:19]
	v_cmp_eq_u32_e64 s[20:21], 10, v0
	v_cmp_eq_u32_e64 s[22:23], 11, v0
	v_cmp_eq_u32_e64 s[24:25], 12, v0
	v_cndmask_b32_e64 v94, v94, v55, s[20:21]
	v_cndmask_b32_e64 v94, v94, v57, s[22:23]
	v_cndmask_b32_e64 v94, v94, v59, s[24:25]
	v_cmp_eq_u32_e64 s[26:27], 13, v0
	ds_read_b64 v[96:97], v99
	s_nop 0
	v_cndmask_b32_e64 v95, v94, v61, s[26:27]
	v_cndmask_b32_e32 v94, v34, v36, vcc
	v_cndmask_b32_e64 v94, v94, v38, s[4:5]
	v_cndmask_b32_e64 v94, v94, v40, s[6:7]
	;; [unrolled: 1-line block ×12, first 2 shown]
	s_waitcnt lgkmcnt(0)
	v_mul_f64 v[94:95], v[94:95], v[96:97]
	s_cbranch_execz .LBB77_133
	s_branch .LBB77_134
.LBB77_132:
                                        ; implicit-def: $vgpr94_vgpr95
.LBB77_133:
	ds_read_b64 v[94:95], v99
.LBB77_134:
	s_and_saveexec_b64 s[6:7], s[0:1]
	s_cbranch_execz .LBB77_144
; %bb.135:
	v_add_u32_e32 v96, -5, v0
	v_add_u32_e32 v97, -4, v0
	v_cmp_lt_u32_e32 vcc, 6, v96
	v_mov_b32_e32 v96, 4
	s_and_saveexec_b64 s[0:1], vcc
	s_cbranch_execz .LBB77_139
; %bb.136:
	v_and_b32_e32 v96, -8, v97
	v_sub_u32_e32 v98, 0, v96
	s_mov_b64 s[4:5], 5
	s_movk_i32 s10, 0x90
	s_mov_b64 s[8:9], 0
.LBB77_137:                             ; =>This Inner Loop Header: Depth=1
	s_lshl_b32 s11, s4, 1
	s_add_i32 s12, s11, -1
	s_add_i32 s13, s11, -2
	s_set_gpr_idx_on s12, gpr_idx(SRC0)
	v_mov_b32_e32 v117, v34
	s_set_gpr_idx_off
	v_mov_b32_e32 v96, s10
	s_set_gpr_idx_on s13, gpr_idx(SRC0)
	v_mov_b32_e32 v116, v34
	s_set_gpr_idx_off
	ds_read_b128 v[100:103], v96
	ds_read_b128 v[104:107], v96 offset:16
	ds_read_b128 v[108:111], v96 offset:32
	;; [unrolled: 1-line block ×3, first 2 shown]
	s_set_gpr_idx_on s11, gpr_idx(SRC0)
	v_mov_b32_e32 v119, v35
	s_add_i32 s14, s11, 3
	v_mov_b32_e32 v118, v34
	s_set_gpr_idx_off
	s_add_i32 s15, s11, 2
	s_set_gpr_idx_on s14, gpr_idx(SRC0)
	v_mov_b32_e32 v121, v34
	s_set_gpr_idx_off
	s_add_i32 s16, s11, 5
	s_set_gpr_idx_on s15, gpr_idx(SRC0)
	v_mov_b32_e32 v120, v34
	s_set_gpr_idx_off
	s_add_i32 s17, s11, 4
	s_waitcnt lgkmcnt(3)
	v_fmac_f64_e32 v[94:95], v[116:117], v[100:101]
	s_set_gpr_idx_on s16, gpr_idx(SRC0)
	v_mov_b32_e32 v101, v34
	s_set_gpr_idx_off
	s_add_i32 s18, s11, 7
	v_fmac_f64_e32 v[94:95], v[118:119], v[102:103]
	s_set_gpr_idx_on s17, gpr_idx(SRC0)
	v_mov_b32_e32 v100, v34
	s_set_gpr_idx_off
	s_add_i32 s19, s11, 6
	s_waitcnt lgkmcnt(2)
	v_fmac_f64_e32 v[94:95], v[120:121], v[104:105]
	s_set_gpr_idx_on s18, gpr_idx(SRC0)
	v_mov_b32_e32 v103, v34
	s_set_gpr_idx_off
	s_add_i32 s20, s11, 9
	v_fmac_f64_e32 v[94:95], v[100:101], v[106:107]
	s_set_gpr_idx_on s19, gpr_idx(SRC0)
	v_mov_b32_e32 v102, v34
	s_set_gpr_idx_off
	s_add_i32 s21, s11, 8
	s_waitcnt lgkmcnt(1)
	v_fmac_f64_e32 v[94:95], v[102:103], v[108:109]
	s_set_gpr_idx_on s20, gpr_idx(SRC0)
	v_mov_b32_e32 v101, v34
	s_set_gpr_idx_off
	s_add_i32 s22, s11, 11
	s_set_gpr_idx_on s21, gpr_idx(SRC0)
	v_mov_b32_e32 v100, v34
	s_set_gpr_idx_off
	s_add_i32 s23, s11, 10
	s_add_i32 s24, s11, 13
	;; [unrolled: 1-line block ×3, first 2 shown]
	v_fmac_f64_e32 v[94:95], v[100:101], v[110:111]
	s_set_gpr_idx_on s22, gpr_idx(SRC0)
	v_mov_b32_e32 v101, v34
	s_set_gpr_idx_off
	s_add_u32 s4, s4, 8
	s_set_gpr_idx_on s23, gpr_idx(SRC0)
	v_mov_b32_e32 v100, v34
	s_set_gpr_idx_off
	v_add_u32_e32 v96, s4, v98
	s_waitcnt lgkmcnt(0)
	v_fmac_f64_e32 v[94:95], v[100:101], v[112:113]
	s_set_gpr_idx_on s24, gpr_idx(SRC0)
	v_mov_b32_e32 v101, v34
	s_set_gpr_idx_off
	s_addc_u32 s5, s5, 0
	s_add_i32 s10, s10, 64
	s_add_i32 s12, s4, -1
	v_cmp_eq_u32_e32 vcc, 5, v96
	s_set_gpr_idx_on s25, gpr_idx(SRC0)
	v_mov_b32_e32 v100, v34
	s_set_gpr_idx_off
	v_mov_b32_e32 v96, s12
	s_or_b64 s[8:9], vcc, s[8:9]
	v_fmac_f64_e32 v[94:95], v[100:101], v[114:115]
	s_andn2_b64 exec, exec, s[8:9]
	s_cbranch_execnz .LBB77_137
; %bb.138:
	s_or_b64 exec, exec, s[8:9]
.LBB77_139:
	s_or_b64 exec, exec, s[0:1]
	v_and_b32_e32 v62, 7, v97
	v_cmp_ne_u32_e32 vcc, 0, v62
	s_and_saveexec_b64 s[8:9], vcc
	s_cbranch_execz .LBB77_143
; %bb.140:
	v_mov_b32_e32 v63, 0x70
	v_lshl_add_u32 v63, v96, 3, v63
	v_mov_b32_e32 v97, 0
	s_mov_b64 s[10:11], 0
.LBB77_141:                             ; =>This Inner Loop Header: Depth=1
	v_cmp_eq_u32_e32 vcc, 1, v96
	v_add_u32_e32 v62, -1, v62
	v_cmp_eq_u32_e64 s[0:1], 2, v96
	v_cndmask_b32_e32 v98, v35, v37, vcc
	v_cndmask_b32_e32 v100, v34, v36, vcc
	v_cndmask_b32_e64 v98, v98, v39, s[0:1]
	v_cmp_eq_u32_e32 vcc, 0, v62
	v_cmp_eq_u32_e64 s[4:5], 3, v96
	v_cndmask_b32_e64 v100, v100, v38, s[0:1]
	s_or_b64 s[10:11], vcc, s[10:11]
	v_cndmask_b32_e64 v98, v98, v41, s[4:5]
	v_cmp_eq_u32_e32 vcc, 4, v96
	v_cndmask_b32_e64 v100, v100, v40, s[4:5]
	v_cmp_eq_u32_e64 s[0:1], 5, v96
	v_cndmask_b32_e32 v98, v98, v43, vcc
	v_cndmask_b32_e32 v100, v100, v42, vcc
	v_cndmask_b32_e64 v98, v98, v45, s[0:1]
	v_cmp_eq_u32_e32 vcc, 6, v96
	v_cndmask_b32_e64 v100, v100, v44, s[0:1]
	v_cmp_eq_u32_e64 s[0:1], 7, v96
	v_cndmask_b32_e32 v98, v98, v47, vcc
	v_cndmask_b32_e32 v100, v100, v46, vcc
	;; [unrolled: 6-line block ×3, first 2 shown]
	v_cndmask_b32_e64 v98, v98, v53, s[0:1]
	v_cmp_eq_u32_e32 vcc, 10, v96
	ds_read_b64 v[64:65], v63
	v_cndmask_b32_e64 v100, v100, v52, s[0:1]
	v_cndmask_b32_e32 v98, v98, v55, vcc
	v_cmp_eq_u32_e64 s[0:1], 11, v96
	v_cndmask_b32_e32 v100, v100, v54, vcc
	v_cmp_eq_u32_e32 vcc, 12, v96
	v_cndmask_b32_e64 v98, v98, v57, s[0:1]
	v_cmp_eq_u32_e64 s[4:5], 13, v96
	v_cndmask_b32_e32 v98, v98, v59, vcc
	v_cndmask_b32_e64 v100, v100, v56, s[0:1]
	v_cndmask_b32_e64 v101, v98, v61, s[4:5]
	v_cndmask_b32_e32 v98, v100, v58, vcc
	v_cndmask_b32_e64 v100, v98, v60, s[4:5]
	v_add_u32_e32 v63, 8, v63
	v_lshl_add_u64 v[96:97], v[96:97], 0, 1
	s_waitcnt lgkmcnt(0)
	v_fmac_f64_e32 v[94:95], v[100:101], v[64:65]
	s_andn2_b64 exec, exec, s[10:11]
	s_cbranch_execnz .LBB77_141
; %bb.142:
	s_or_b64 exec, exec, s[10:11]
.LBB77_143:
	s_or_b64 exec, exec, s[8:9]
.LBB77_144:
	s_or_b64 exec, exec, s[6:7]
	v_mov_b32_e32 v40, 0
	ds_read_b64 v[40:41], v40 offset:24
	s_waitcnt lgkmcnt(0)
	v_mul_f64 v[40:41], v[94:95], v[40:41]
.LBB77_145:
	s_or_b64 exec, exec, s[28:29]
	v_cmp_lt_u32_e64 s[0:1], 2, v0
	ds_write_b64 v99, v[38:39]
	s_waitcnt lgkmcnt(0)
	; wave barrier
	s_and_saveexec_b64 s[28:29], s[0:1]
	s_cbranch_execz .LBB77_161
; %bb.146:
	s_andn2_b64 vcc, exec, s[30:31]
	s_cbranch_vccnz .LBB77_148
; %bb.147:
	v_cmp_eq_u32_e32 vcc, 1, v0
	v_cmp_eq_u32_e64 s[4:5], 2, v0
	v_cmp_eq_u32_e64 s[6:7], 3, v0
	v_cndmask_b32_e32 v94, v35, v37, vcc
	v_cndmask_b32_e64 v94, v94, v39, s[4:5]
	v_cndmask_b32_e64 v94, v94, v41, s[6:7]
	v_cmp_eq_u32_e64 s[8:9], 4, v0
	v_cmp_eq_u32_e64 s[10:11], 5, v0
	v_cmp_eq_u32_e64 s[12:13], 6, v0
	v_cndmask_b32_e64 v94, v94, v43, s[8:9]
	v_cndmask_b32_e64 v94, v94, v45, s[10:11]
	v_cndmask_b32_e64 v94, v94, v47, s[12:13]
	v_cmp_eq_u32_e64 s[14:15], 7, v0
	v_cmp_eq_u32_e64 s[16:17], 8, v0
	v_cmp_eq_u32_e64 s[18:19], 9, v0
	v_cndmask_b32_e64 v94, v94, v49, s[14:15]
	;; [unrolled: 6-line block ×3, first 2 shown]
	v_cndmask_b32_e64 v94, v94, v57, s[22:23]
	v_cndmask_b32_e64 v94, v94, v59, s[24:25]
	v_cmp_eq_u32_e64 s[26:27], 13, v0
	ds_read_b64 v[96:97], v99
	s_nop 0
	v_cndmask_b32_e64 v95, v94, v61, s[26:27]
	v_cndmask_b32_e32 v94, v34, v36, vcc
	v_cndmask_b32_e64 v94, v94, v38, s[4:5]
	v_cndmask_b32_e64 v94, v94, v40, s[6:7]
	;; [unrolled: 1-line block ×12, first 2 shown]
	s_waitcnt lgkmcnt(0)
	v_mul_f64 v[94:95], v[94:95], v[96:97]
	s_cbranch_execz .LBB77_149
	s_branch .LBB77_150
.LBB77_148:
                                        ; implicit-def: $vgpr94_vgpr95
.LBB77_149:
	ds_read_b64 v[94:95], v99
.LBB77_150:
	s_and_saveexec_b64 s[6:7], s[2:3]
	s_cbranch_execz .LBB77_160
; %bb.151:
	v_add_u32_e32 v96, -4, v0
	v_add_u32_e32 v97, -3, v0
	v_cmp_lt_u32_e32 vcc, 6, v96
	v_mov_b32_e32 v96, 3
	s_and_saveexec_b64 s[2:3], vcc
	s_cbranch_execz .LBB77_155
; %bb.152:
	v_and_b32_e32 v96, -8, v97
	v_sub_u32_e32 v98, 0, v96
	s_mov_b64 s[4:5], 10
	s_movk_i32 s10, 0x88
	s_mov_b64 s[8:9], 0
.LBB77_153:                             ; =>This Inner Loop Header: Depth=1
	s_lshl_b32 s11, s4, 1
	s_add_i32 s12, s11, -13
	v_mov_b32_e32 v114, s10
	s_add_i32 s13, s11, -14
	s_set_gpr_idx_on s12, gpr_idx(SRC0)
	v_mov_b32_e32 v109, v34
	s_set_gpr_idx_off
	s_add_i32 s14, s11, -11
	s_set_gpr_idx_on s13, gpr_idx(SRC0)
	v_mov_b32_e32 v108, v34
	s_set_gpr_idx_off
	ds_read2_b64 v[100:103], v114 offset1:1
	s_add_i32 s15, s11, -12
	s_set_gpr_idx_on s14, gpr_idx(SRC0)
	v_mov_b32_e32 v111, v34
	s_set_gpr_idx_off
	s_add_i32 s16, s11, -9
	s_set_gpr_idx_on s15, gpr_idx(SRC0)
	v_mov_b32_e32 v110, v34
	s_set_gpr_idx_off
	;; [unrolled: 4-line block ×4, first 2 shown]
	ds_read2_b64 v[104:107], v114 offset0:2 offset1:3
	s_add_i32 s19, s11, -8
	s_waitcnt lgkmcnt(1)
	v_fmac_f64_e32 v[94:95], v[108:109], v[100:101]
	s_set_gpr_idx_on s18, gpr_idx(SRC0)
	v_mov_b32_e32 v109, v34
	s_set_gpr_idx_off
	s_add_i32 s20, s11, -5
	v_fmac_f64_e32 v[94:95], v[110:111], v[102:103]
	s_set_gpr_idx_on s19, gpr_idx(SRC0)
	v_mov_b32_e32 v108, v34
	s_set_gpr_idx_off
	s_add_i32 s21, s11, -6
	s_set_gpr_idx_on s20, gpr_idx(SRC0)
	v_mov_b32_e32 v111, v34
	s_set_gpr_idx_off
	s_add_i32 s22, s11, -3
	;; [unrolled: 4-line block ×3, first 2 shown]
	ds_read2_b64 v[100:103], v114 offset0:4 offset1:5
	s_waitcnt lgkmcnt(1)
	v_fmac_f64_e32 v[94:95], v[112:113], v[104:105]
	s_set_gpr_idx_on s22, gpr_idx(SRC0)
	v_mov_b32_e32 v113, v34
	s_set_gpr_idx_off
	s_add_i32 s24, s11, -1
	v_fmac_f64_e32 v[94:95], v[108:109], v[106:107]
	s_set_gpr_idx_on s23, gpr_idx(SRC0)
	v_mov_b32_e32 v112, v34
	s_set_gpr_idx_off
	s_add_i32 s25, s11, -2
	s_set_gpr_idx_on s24, gpr_idx(SRC0)
	v_mov_b32_e32 v109, v34
	s_set_gpr_idx_off
	s_set_gpr_idx_on s25, gpr_idx(SRC0)
	v_mov_b32_e32 v108, v34
	s_set_gpr_idx_off
	ds_read2_b64 v[104:107], v114 offset0:6 offset1:7
	s_add_u32 s4, s4, 8
	s_waitcnt lgkmcnt(1)
	v_fmac_f64_e32 v[94:95], v[110:111], v[100:101]
	s_set_gpr_idx_on s11, gpr_idx(SRC0)
	v_mov_b32_e32 v101, v35
	s_set_gpr_idx_off
	v_add_u32_e32 v96, s4, v98
	v_fmac_f64_e32 v[94:95], v[112:113], v[102:103]
	s_set_gpr_idx_on s11, gpr_idx(SRC0)
	v_mov_b32_e32 v100, v34
	s_set_gpr_idx_off
	s_addc_u32 s5, s5, 0
	s_add_i32 s10, s10, 64
	s_add_i32 s12, s4, -7
	v_cmp_eq_u32_e32 vcc, 10, v96
	s_waitcnt lgkmcnt(0)
	v_fmac_f64_e32 v[94:95], v[108:109], v[104:105]
	v_mov_b32_e32 v96, s12
	s_or_b64 s[8:9], vcc, s[8:9]
	v_fmac_f64_e32 v[94:95], v[100:101], v[106:107]
	s_andn2_b64 exec, exec, s[8:9]
	s_cbranch_execnz .LBB77_153
; %bb.154:
	s_or_b64 exec, exec, s[8:9]
.LBB77_155:
	s_or_b64 exec, exec, s[2:3]
	v_and_b32_e32 v62, 7, v97
	v_cmp_ne_u32_e32 vcc, 0, v62
	s_and_saveexec_b64 s[8:9], vcc
	s_cbranch_execz .LBB77_159
; %bb.156:
	v_mov_b32_e32 v63, 0x70
	v_lshl_add_u32 v63, v96, 3, v63
	v_mov_b32_e32 v97, 0
	s_mov_b64 s[10:11], 0
.LBB77_157:                             ; =>This Inner Loop Header: Depth=1
	v_cmp_eq_u32_e32 vcc, 1, v96
	v_add_u32_e32 v62, -1, v62
	v_cmp_eq_u32_e64 s[2:3], 2, v96
	v_cndmask_b32_e32 v98, v35, v37, vcc
	v_cndmask_b32_e32 v100, v34, v36, vcc
	v_cndmask_b32_e64 v98, v98, v39, s[2:3]
	v_cmp_eq_u32_e32 vcc, 0, v62
	v_cmp_eq_u32_e64 s[4:5], 3, v96
	v_cndmask_b32_e64 v100, v100, v38, s[2:3]
	s_or_b64 s[10:11], vcc, s[10:11]
	v_cndmask_b32_e64 v98, v98, v41, s[4:5]
	v_cmp_eq_u32_e32 vcc, 4, v96
	v_cndmask_b32_e64 v100, v100, v40, s[4:5]
	v_cmp_eq_u32_e64 s[2:3], 5, v96
	v_cndmask_b32_e32 v98, v98, v43, vcc
	v_cndmask_b32_e32 v100, v100, v42, vcc
	v_cndmask_b32_e64 v98, v98, v45, s[2:3]
	v_cmp_eq_u32_e32 vcc, 6, v96
	v_cndmask_b32_e64 v100, v100, v44, s[2:3]
	v_cmp_eq_u32_e64 s[2:3], 7, v96
	v_cndmask_b32_e32 v98, v98, v47, vcc
	v_cndmask_b32_e32 v100, v100, v46, vcc
	;; [unrolled: 6-line block ×3, first 2 shown]
	v_cndmask_b32_e64 v98, v98, v53, s[2:3]
	v_cmp_eq_u32_e32 vcc, 10, v96
	ds_read_b64 v[64:65], v63
	v_cndmask_b32_e64 v100, v100, v52, s[2:3]
	v_cndmask_b32_e32 v98, v98, v55, vcc
	v_cmp_eq_u32_e64 s[2:3], 11, v96
	v_cndmask_b32_e32 v100, v100, v54, vcc
	v_cmp_eq_u32_e32 vcc, 12, v96
	v_cndmask_b32_e64 v98, v98, v57, s[2:3]
	v_cmp_eq_u32_e64 s[4:5], 13, v96
	v_cndmask_b32_e32 v98, v98, v59, vcc
	v_cndmask_b32_e64 v100, v100, v56, s[2:3]
	v_cndmask_b32_e64 v101, v98, v61, s[4:5]
	v_cndmask_b32_e32 v98, v100, v58, vcc
	v_cndmask_b32_e64 v100, v98, v60, s[4:5]
	v_add_u32_e32 v63, 8, v63
	v_lshl_add_u64 v[96:97], v[96:97], 0, 1
	s_waitcnt lgkmcnt(0)
	v_fmac_f64_e32 v[94:95], v[100:101], v[64:65]
	s_andn2_b64 exec, exec, s[10:11]
	s_cbranch_execnz .LBB77_157
; %bb.158:
	s_or_b64 exec, exec, s[10:11]
.LBB77_159:
	s_or_b64 exec, exec, s[8:9]
.LBB77_160:
	s_or_b64 exec, exec, s[6:7]
	v_mov_b32_e32 v38, 0
	ds_read_b64 v[38:39], v38 offset:16
	s_waitcnt lgkmcnt(0)
	v_mul_f64 v[38:39], v[94:95], v[38:39]
.LBB77_161:
	s_or_b64 exec, exec, s[28:29]
	v_cmp_lt_u32_e64 s[2:3], 1, v0
	ds_write_b64 v99, v[36:37]
	s_waitcnt lgkmcnt(0)
	; wave barrier
	s_and_saveexec_b64 s[28:29], s[2:3]
	s_cbranch_execz .LBB77_177
; %bb.162:
	s_andn2_b64 vcc, exec, s[30:31]
	s_cbranch_vccnz .LBB77_164
; %bb.163:
	v_cmp_eq_u32_e32 vcc, 1, v0
	v_cmp_eq_u32_e64 s[4:5], 2, v0
	v_cmp_eq_u32_e64 s[6:7], 3, v0
	v_cndmask_b32_e32 v94, v35, v37, vcc
	v_cndmask_b32_e64 v94, v94, v39, s[4:5]
	v_cndmask_b32_e64 v94, v94, v41, s[6:7]
	v_cmp_eq_u32_e64 s[8:9], 4, v0
	v_cmp_eq_u32_e64 s[10:11], 5, v0
	v_cmp_eq_u32_e64 s[12:13], 6, v0
	v_cndmask_b32_e64 v94, v94, v43, s[8:9]
	v_cndmask_b32_e64 v94, v94, v45, s[10:11]
	v_cndmask_b32_e64 v94, v94, v47, s[12:13]
	v_cmp_eq_u32_e64 s[14:15], 7, v0
	v_cmp_eq_u32_e64 s[16:17], 8, v0
	v_cmp_eq_u32_e64 s[18:19], 9, v0
	v_cndmask_b32_e64 v94, v94, v49, s[14:15]
	;; [unrolled: 6-line block ×3, first 2 shown]
	v_cndmask_b32_e64 v94, v94, v57, s[22:23]
	v_cndmask_b32_e64 v94, v94, v59, s[24:25]
	v_cmp_eq_u32_e64 s[26:27], 13, v0
	ds_read_b64 v[96:97], v99
	s_nop 0
	v_cndmask_b32_e64 v95, v94, v61, s[26:27]
	v_cndmask_b32_e32 v94, v34, v36, vcc
	v_cndmask_b32_e64 v94, v94, v38, s[4:5]
	v_cndmask_b32_e64 v94, v94, v40, s[6:7]
	;; [unrolled: 1-line block ×12, first 2 shown]
	s_waitcnt lgkmcnt(0)
	v_mul_f64 v[94:95], v[94:95], v[96:97]
	s_cbranch_execz .LBB77_165
	s_branch .LBB77_166
.LBB77_164:
                                        ; implicit-def: $vgpr94_vgpr95
.LBB77_165:
	ds_read_b64 v[94:95], v99
.LBB77_166:
	s_and_saveexec_b64 s[6:7], s[0:1]
	s_cbranch_execz .LBB77_176
; %bb.167:
	v_add_u32_e32 v96, -3, v0
	v_add_u32_e32 v97, -2, v0
	v_cmp_lt_u32_e32 vcc, 6, v96
	v_mov_b32_e32 v96, 2
	s_and_saveexec_b64 s[0:1], vcc
	s_cbranch_execz .LBB77_171
; %bb.168:
	v_and_b32_e32 v96, -8, v97
	v_sub_u32_e32 v98, 0, v96
	s_mov_b64 s[4:5], 9
	s_movk_i32 s10, 0x80
	s_mov_b64 s[8:9], 0
.LBB77_169:                             ; =>This Inner Loop Header: Depth=1
	s_lshl_b32 s11, s4, 1
	s_add_i32 s12, s11, -13
	s_add_i32 s13, s11, -14
	s_set_gpr_idx_on s12, gpr_idx(SRC0)
	v_mov_b32_e32 v117, v34
	s_set_gpr_idx_off
	v_mov_b32_e32 v96, s10
	s_add_i32 s14, s11, -11
	s_set_gpr_idx_on s13, gpr_idx(SRC0)
	v_mov_b32_e32 v116, v34
	s_set_gpr_idx_off
	s_add_i32 s15, s11, -12
	ds_read_b128 v[100:103], v96
	ds_read_b128 v[104:107], v96 offset:16
	ds_read_b128 v[108:111], v96 offset:32
	;; [unrolled: 1-line block ×3, first 2 shown]
	s_set_gpr_idx_on s14, gpr_idx(SRC0)
	v_mov_b32_e32 v119, v34
	s_set_gpr_idx_off
	s_add_i32 s16, s11, -9
	s_set_gpr_idx_on s15, gpr_idx(SRC0)
	v_mov_b32_e32 v118, v34
	s_set_gpr_idx_off
	s_add_i32 s17, s11, -10
	;; [unrolled: 4-line block ×4, first 2 shown]
	s_waitcnt lgkmcnt(3)
	v_fmac_f64_e32 v[94:95], v[116:117], v[100:101]
	s_set_gpr_idx_on s18, gpr_idx(SRC0)
	v_mov_b32_e32 v101, v34
	s_set_gpr_idx_off
	s_add_i32 s20, s11, -5
	v_fmac_f64_e32 v[94:95], v[118:119], v[102:103]
	s_set_gpr_idx_on s19, gpr_idx(SRC0)
	v_mov_b32_e32 v100, v34
	s_set_gpr_idx_off
	s_add_i32 s21, s11, -6
	s_waitcnt lgkmcnt(2)
	v_fmac_f64_e32 v[94:95], v[120:121], v[104:105]
	s_set_gpr_idx_on s20, gpr_idx(SRC0)
	v_mov_b32_e32 v103, v34
	s_set_gpr_idx_off
	s_add_i32 s22, s11, -3
	v_fmac_f64_e32 v[94:95], v[100:101], v[106:107]
	s_set_gpr_idx_on s21, gpr_idx(SRC0)
	v_mov_b32_e32 v102, v34
	s_set_gpr_idx_off
	s_add_i32 s23, s11, -4
	s_waitcnt lgkmcnt(1)
	v_fmac_f64_e32 v[94:95], v[102:103], v[108:109]
	s_set_gpr_idx_on s22, gpr_idx(SRC0)
	v_mov_b32_e32 v101, v34
	s_set_gpr_idx_off
	s_add_i32 s24, s11, -1
	s_set_gpr_idx_on s23, gpr_idx(SRC0)
	v_mov_b32_e32 v100, v34
	s_set_gpr_idx_off
	s_add_i32 s25, s11, -2
	v_fmac_f64_e32 v[94:95], v[100:101], v[110:111]
	s_set_gpr_idx_on s24, gpr_idx(SRC0)
	v_mov_b32_e32 v101, v34
	s_set_gpr_idx_off
	s_add_u32 s4, s4, 8
	s_set_gpr_idx_on s25, gpr_idx(SRC0)
	v_mov_b32_e32 v100, v34
	s_set_gpr_idx_off
	v_add_u32_e32 v96, s4, v98
	s_waitcnt lgkmcnt(0)
	v_fmac_f64_e32 v[94:95], v[100:101], v[112:113]
	s_set_gpr_idx_on s11, gpr_idx(SRC0)
	v_mov_b32_e32 v101, v35
	s_set_gpr_idx_off
	s_addc_u32 s5, s5, 0
	s_add_i32 s10, s10, 64
	s_add_i32 s12, s4, -7
	v_cmp_eq_u32_e32 vcc, 9, v96
	s_set_gpr_idx_on s11, gpr_idx(SRC0)
	v_mov_b32_e32 v100, v34
	s_set_gpr_idx_off
	v_mov_b32_e32 v96, s12
	s_or_b64 s[8:9], vcc, s[8:9]
	v_fmac_f64_e32 v[94:95], v[100:101], v[114:115]
	s_andn2_b64 exec, exec, s[8:9]
	s_cbranch_execnz .LBB77_169
; %bb.170:
	s_or_b64 exec, exec, s[8:9]
.LBB77_171:
	s_or_b64 exec, exec, s[0:1]
	v_and_b32_e32 v62, 7, v97
	v_cmp_ne_u32_e32 vcc, 0, v62
	s_and_saveexec_b64 s[8:9], vcc
	s_cbranch_execz .LBB77_175
; %bb.172:
	v_mov_b32_e32 v63, 0x70
	v_lshl_add_u32 v63, v96, 3, v63
	v_mov_b32_e32 v97, 0
	s_mov_b64 s[10:11], 0
.LBB77_173:                             ; =>This Inner Loop Header: Depth=1
	v_cmp_eq_u32_e32 vcc, 1, v96
	v_add_u32_e32 v62, -1, v62
	v_cmp_eq_u32_e64 s[0:1], 2, v96
	v_cndmask_b32_e32 v98, v35, v37, vcc
	v_cndmask_b32_e32 v100, v34, v36, vcc
	v_cndmask_b32_e64 v98, v98, v39, s[0:1]
	v_cmp_eq_u32_e32 vcc, 0, v62
	v_cmp_eq_u32_e64 s[4:5], 3, v96
	v_cndmask_b32_e64 v100, v100, v38, s[0:1]
	s_or_b64 s[10:11], vcc, s[10:11]
	v_cndmask_b32_e64 v98, v98, v41, s[4:5]
	v_cmp_eq_u32_e32 vcc, 4, v96
	v_cndmask_b32_e64 v100, v100, v40, s[4:5]
	v_cmp_eq_u32_e64 s[0:1], 5, v96
	v_cndmask_b32_e32 v98, v98, v43, vcc
	v_cndmask_b32_e32 v100, v100, v42, vcc
	v_cndmask_b32_e64 v98, v98, v45, s[0:1]
	v_cmp_eq_u32_e32 vcc, 6, v96
	v_cndmask_b32_e64 v100, v100, v44, s[0:1]
	v_cmp_eq_u32_e64 s[0:1], 7, v96
	v_cndmask_b32_e32 v98, v98, v47, vcc
	v_cndmask_b32_e32 v100, v100, v46, vcc
	;; [unrolled: 6-line block ×3, first 2 shown]
	v_cndmask_b32_e64 v98, v98, v53, s[0:1]
	v_cmp_eq_u32_e32 vcc, 10, v96
	ds_read_b64 v[64:65], v63
	v_cndmask_b32_e64 v100, v100, v52, s[0:1]
	v_cndmask_b32_e32 v98, v98, v55, vcc
	v_cmp_eq_u32_e64 s[0:1], 11, v96
	v_cndmask_b32_e32 v100, v100, v54, vcc
	v_cmp_eq_u32_e32 vcc, 12, v96
	v_cndmask_b32_e64 v98, v98, v57, s[0:1]
	v_cmp_eq_u32_e64 s[4:5], 13, v96
	v_cndmask_b32_e32 v98, v98, v59, vcc
	v_cndmask_b32_e64 v100, v100, v56, s[0:1]
	v_cndmask_b32_e64 v101, v98, v61, s[4:5]
	v_cndmask_b32_e32 v98, v100, v58, vcc
	v_cndmask_b32_e64 v100, v98, v60, s[4:5]
	v_add_u32_e32 v63, 8, v63
	v_lshl_add_u64 v[96:97], v[96:97], 0, 1
	s_waitcnt lgkmcnt(0)
	v_fmac_f64_e32 v[94:95], v[100:101], v[64:65]
	s_andn2_b64 exec, exec, s[10:11]
	s_cbranch_execnz .LBB77_173
; %bb.174:
	s_or_b64 exec, exec, s[10:11]
.LBB77_175:
	s_or_b64 exec, exec, s[8:9]
.LBB77_176:
	s_or_b64 exec, exec, s[6:7]
	v_mov_b32_e32 v36, 0
	ds_read_b64 v[36:37], v36 offset:8
	s_waitcnt lgkmcnt(0)
	v_mul_f64 v[36:37], v[94:95], v[36:37]
.LBB77_177:
	s_or_b64 exec, exec, s[28:29]
	v_cmp_ne_u32_e32 vcc, 0, v0
	ds_write_b64 v99, v[34:35]
	s_waitcnt lgkmcnt(0)
	; wave barrier
	s_and_saveexec_b64 s[26:27], vcc
	s_cbranch_execz .LBB77_193
; %bb.178:
	s_andn2_b64 vcc, exec, s[30:31]
	s_cbranch_vccnz .LBB77_180
; %bb.179:
	v_cmp_eq_u32_e32 vcc, 1, v0
	v_cmp_eq_u32_e64 s[0:1], 2, v0
	v_cmp_eq_u32_e64 s[4:5], 3, v0
	v_cndmask_b32_e32 v94, v35, v37, vcc
	v_cndmask_b32_e64 v94, v94, v39, s[0:1]
	v_cndmask_b32_e64 v94, v94, v41, s[4:5]
	v_cmp_eq_u32_e64 s[6:7], 4, v0
	v_cmp_eq_u32_e64 s[8:9], 5, v0
	v_cmp_eq_u32_e64 s[10:11], 6, v0
	v_cndmask_b32_e64 v94, v94, v43, s[6:7]
	v_cndmask_b32_e64 v94, v94, v45, s[8:9]
	v_cndmask_b32_e64 v94, v94, v47, s[10:11]
	v_cmp_eq_u32_e64 s[12:13], 7, v0
	v_cmp_eq_u32_e64 s[14:15], 8, v0
	v_cmp_eq_u32_e64 s[16:17], 9, v0
	v_cndmask_b32_e64 v94, v94, v49, s[12:13]
	;; [unrolled: 6-line block ×3, first 2 shown]
	v_cndmask_b32_e64 v94, v94, v57, s[20:21]
	v_cndmask_b32_e64 v94, v94, v59, s[22:23]
	v_cmp_eq_u32_e64 s[24:25], 13, v0
	ds_read_b64 v[96:97], v99
	s_nop 0
	v_cndmask_b32_e64 v95, v94, v61, s[24:25]
	v_cndmask_b32_e32 v94, v34, v36, vcc
	v_cndmask_b32_e64 v94, v94, v38, s[0:1]
	v_cndmask_b32_e64 v94, v94, v40, s[4:5]
	;; [unrolled: 1-line block ×12, first 2 shown]
	s_waitcnt lgkmcnt(0)
	v_mul_f64 v[94:95], v[94:95], v[96:97]
	s_cbranch_execz .LBB77_181
	s_branch .LBB77_182
.LBB77_180:
                                        ; implicit-def: $vgpr94_vgpr95
.LBB77_181:
	ds_read_b64 v[94:95], v99
.LBB77_182:
	s_and_saveexec_b64 s[4:5], s[2:3]
	s_cbranch_execz .LBB77_192
; %bb.183:
	v_add_u32_e32 v96, -2, v0
	v_add_u32_e32 v97, -1, v0
	v_cmp_lt_u32_e32 vcc, 6, v96
	v_mov_b32_e32 v96, 1
	s_and_saveexec_b64 s[0:1], vcc
	s_cbranch_execz .LBB77_187
; %bb.184:
	v_and_b32_e32 v96, -8, v97
	v_sub_u32_e32 v98, 0, v96
	s_mov_b64 s[2:3], 8
	s_movk_i32 s8, 0x78
	s_mov_b64 s[6:7], 0
.LBB77_185:                             ; =>This Inner Loop Header: Depth=1
	s_lshl_b32 s9, s2, 1
	s_add_i32 s10, s9, -13
	v_mov_b32_e32 v114, s8
	s_add_i32 s11, s9, -14
	s_set_gpr_idx_on s10, gpr_idx(SRC0)
	v_mov_b32_e32 v109, v34
	s_set_gpr_idx_off
	s_add_i32 s12, s9, -11
	s_set_gpr_idx_on s11, gpr_idx(SRC0)
	v_mov_b32_e32 v108, v34
	s_set_gpr_idx_off
	ds_read2_b64 v[100:103], v114 offset1:1
	s_add_i32 s13, s9, -12
	s_set_gpr_idx_on s12, gpr_idx(SRC0)
	v_mov_b32_e32 v111, v34
	s_set_gpr_idx_off
	s_add_i32 s14, s9, -9
	s_set_gpr_idx_on s13, gpr_idx(SRC0)
	v_mov_b32_e32 v110, v34
	s_set_gpr_idx_off
	s_add_i32 s15, s9, -10
	s_set_gpr_idx_on s14, gpr_idx(SRC0)
	v_mov_b32_e32 v113, v34
	s_set_gpr_idx_off
	s_add_i32 s16, s9, -7
	s_set_gpr_idx_on s15, gpr_idx(SRC0)
	v_mov_b32_e32 v112, v34
	s_set_gpr_idx_off
	ds_read2_b64 v[104:107], v114 offset0:2 offset1:3
	s_add_i32 s17, s9, -8
	s_waitcnt lgkmcnt(1)
	v_fmac_f64_e32 v[94:95], v[108:109], v[100:101]
	s_set_gpr_idx_on s16, gpr_idx(SRC0)
	v_mov_b32_e32 v109, v34
	s_set_gpr_idx_off
	s_add_i32 s18, s9, -5
	v_fmac_f64_e32 v[94:95], v[110:111], v[102:103]
	s_set_gpr_idx_on s17, gpr_idx(SRC0)
	v_mov_b32_e32 v108, v34
	s_set_gpr_idx_off
	s_add_i32 s19, s9, -6
	s_set_gpr_idx_on s18, gpr_idx(SRC0)
	v_mov_b32_e32 v111, v34
	s_set_gpr_idx_off
	s_add_i32 s20, s9, -3
	;; [unrolled: 4-line block ×3, first 2 shown]
	ds_read2_b64 v[100:103], v114 offset0:4 offset1:5
	s_waitcnt lgkmcnt(1)
	v_fmac_f64_e32 v[94:95], v[112:113], v[104:105]
	s_set_gpr_idx_on s20, gpr_idx(SRC0)
	v_mov_b32_e32 v113, v34
	s_set_gpr_idx_off
	s_add_i32 s22, s9, -1
	v_fmac_f64_e32 v[94:95], v[108:109], v[106:107]
	s_set_gpr_idx_on s21, gpr_idx(SRC0)
	v_mov_b32_e32 v112, v34
	s_set_gpr_idx_off
	s_add_i32 s23, s9, -2
	s_set_gpr_idx_on s22, gpr_idx(SRC0)
	v_mov_b32_e32 v109, v34
	s_set_gpr_idx_off
	s_set_gpr_idx_on s23, gpr_idx(SRC0)
	v_mov_b32_e32 v108, v34
	s_set_gpr_idx_off
	ds_read2_b64 v[104:107], v114 offset0:6 offset1:7
	s_add_u32 s2, s2, 8
	s_waitcnt lgkmcnt(1)
	v_fmac_f64_e32 v[94:95], v[110:111], v[100:101]
	s_set_gpr_idx_on s9, gpr_idx(SRC0)
	v_mov_b32_e32 v101, v35
	s_set_gpr_idx_off
	v_add_u32_e32 v96, s2, v98
	v_fmac_f64_e32 v[94:95], v[112:113], v[102:103]
	s_set_gpr_idx_on s9, gpr_idx(SRC0)
	v_mov_b32_e32 v100, v34
	s_set_gpr_idx_off
	s_addc_u32 s3, s3, 0
	s_add_i32 s8, s8, 64
	s_add_i32 s10, s2, -7
	v_cmp_eq_u32_e32 vcc, 8, v96
	s_waitcnt lgkmcnt(0)
	v_fmac_f64_e32 v[94:95], v[108:109], v[104:105]
	v_mov_b32_e32 v96, s10
	s_or_b64 s[6:7], vcc, s[6:7]
	v_fmac_f64_e32 v[94:95], v[100:101], v[106:107]
	s_andn2_b64 exec, exec, s[6:7]
	s_cbranch_execnz .LBB77_185
; %bb.186:
	s_or_b64 exec, exec, s[6:7]
.LBB77_187:
	s_or_b64 exec, exec, s[0:1]
	v_and_b32_e32 v62, 7, v97
	v_cmp_ne_u32_e32 vcc, 0, v62
	s_and_saveexec_b64 s[6:7], vcc
	s_cbranch_execz .LBB77_191
; %bb.188:
	v_mov_b32_e32 v63, 0x70
	v_lshl_add_u32 v63, v96, 3, v63
	v_mov_b32_e32 v97, 0
	s_mov_b64 s[8:9], 0
.LBB77_189:                             ; =>This Inner Loop Header: Depth=1
	v_cmp_eq_u32_e32 vcc, 1, v96
	v_add_u32_e32 v62, -1, v62
	v_cmp_eq_u32_e64 s[0:1], 2, v96
	v_cndmask_b32_e32 v98, v35, v37, vcc
	v_cndmask_b32_e32 v100, v34, v36, vcc
	v_cndmask_b32_e64 v98, v98, v39, s[0:1]
	v_cmp_eq_u32_e32 vcc, 0, v62
	v_cmp_eq_u32_e64 s[2:3], 3, v96
	v_cndmask_b32_e64 v100, v100, v38, s[0:1]
	s_or_b64 s[8:9], vcc, s[8:9]
	v_cndmask_b32_e64 v98, v98, v41, s[2:3]
	v_cmp_eq_u32_e32 vcc, 4, v96
	v_cndmask_b32_e64 v100, v100, v40, s[2:3]
	v_cmp_eq_u32_e64 s[0:1], 5, v96
	v_cndmask_b32_e32 v98, v98, v43, vcc
	v_cndmask_b32_e32 v100, v100, v42, vcc
	v_cndmask_b32_e64 v98, v98, v45, s[0:1]
	v_cmp_eq_u32_e32 vcc, 6, v96
	v_cndmask_b32_e64 v100, v100, v44, s[0:1]
	v_cmp_eq_u32_e64 s[0:1], 7, v96
	v_cndmask_b32_e32 v98, v98, v47, vcc
	v_cndmask_b32_e32 v100, v100, v46, vcc
	;; [unrolled: 6-line block ×3, first 2 shown]
	v_cndmask_b32_e64 v98, v98, v53, s[0:1]
	v_cmp_eq_u32_e32 vcc, 10, v96
	ds_read_b64 v[64:65], v63
	v_cndmask_b32_e64 v100, v100, v52, s[0:1]
	v_cndmask_b32_e32 v98, v98, v55, vcc
	v_cmp_eq_u32_e64 s[0:1], 11, v96
	v_cndmask_b32_e32 v100, v100, v54, vcc
	v_cmp_eq_u32_e32 vcc, 12, v96
	v_cndmask_b32_e64 v98, v98, v57, s[0:1]
	v_cmp_eq_u32_e64 s[2:3], 13, v96
	v_cndmask_b32_e32 v98, v98, v59, vcc
	v_cndmask_b32_e64 v100, v100, v56, s[0:1]
	v_cndmask_b32_e64 v101, v98, v61, s[2:3]
	v_cndmask_b32_e32 v98, v100, v58, vcc
	v_cndmask_b32_e64 v100, v98, v60, s[2:3]
	v_add_u32_e32 v63, 8, v63
	v_lshl_add_u64 v[96:97], v[96:97], 0, 1
	s_waitcnt lgkmcnt(0)
	v_fmac_f64_e32 v[94:95], v[100:101], v[64:65]
	s_andn2_b64 exec, exec, s[8:9]
	s_cbranch_execnz .LBB77_189
; %bb.190:
	s_or_b64 exec, exec, s[8:9]
.LBB77_191:
	s_or_b64 exec, exec, s[6:7]
.LBB77_192:
	s_or_b64 exec, exec, s[4:5]
	v_mov_b32_e32 v34, 0
	ds_read_b64 v[34:35], v34
	s_waitcnt lgkmcnt(0)
	v_mul_f64 v[34:35], v[94:95], v[34:35]
.LBB77_193:
	s_or_b64 exec, exec, s[26:27]
	s_branch .LBB77_327
.LBB77_194:
	v_cmp_eq_u32_e64 s[2:3], 0, v0
	s_waitcnt vmcnt(0) lgkmcnt(0)
	ds_write_b64 v99, v[4:5]
	s_waitcnt lgkmcnt(0)
	; wave barrier
	s_and_saveexec_b64 s[26:27], s[2:3]
	s_cbranch_execz .LBB77_200
; %bb.195:
	s_and_b64 vcc, exec, s[30:31]
	s_cbranch_vccz .LBB77_197
; %bb.196:
	v_cmp_eq_u32_e32 vcc, 1, v0
	v_cmp_eq_u32_e64 s[0:1], 2, v0
	v_cmp_eq_u32_e64 s[4:5], 3, v0
	v_cndmask_b32_e32 v5, v3, v5, vcc
	v_cndmask_b32_e32 v4, v2, v4, vcc
	v_cndmask_b32_e64 v5, v5, v7, s[0:1]
	v_cndmask_b32_e64 v4, v4, v6, s[0:1]
	v_cndmask_b32_e64 v5, v5, v9, s[4:5]
	v_cmp_eq_u32_e64 s[6:7], 4, v0
	v_cndmask_b32_e64 v4, v4, v8, s[4:5]
	v_cmp_eq_u32_e64 s[8:9], 5, v0
	v_cndmask_b32_e64 v5, v5, v11, s[6:7]
	v_cndmask_b32_e64 v4, v4, v10, s[6:7]
	v_cndmask_b32_e64 v5, v5, v13, s[8:9]
	v_cmp_eq_u32_e64 s[10:11], 6, v0
	v_cndmask_b32_e64 v4, v4, v12, s[8:9]
	v_cmp_eq_u32_e64 s[12:13], 7, v0
	;; [unrolled: 6-line block ×3, first 2 shown]
	v_cndmask_b32_e64 v5, v5, v19, s[14:15]
	v_cndmask_b32_e64 v4, v4, v18, s[14:15]
	;; [unrolled: 1-line block ×3, first 2 shown]
	v_cmp_eq_u32_e64 s[18:19], 10, v0
	v_cndmask_b32_e64 v4, v4, v20, s[16:17]
	ds_read_b64 v[30:31], v99
	v_cndmask_b32_e64 v5, v5, v23, s[18:19]
	v_cmp_eq_u32_e64 s[20:21], 11, v0
	v_cndmask_b32_e64 v4, v4, v22, s[18:19]
	v_cmp_eq_u32_e64 s[22:23], 12, v0
	v_cndmask_b32_e64 v5, v5, v25, s[20:21]
	v_cndmask_b32_e64 v4, v4, v24, s[20:21]
	;; [unrolled: 1-line block ×3, first 2 shown]
	v_cmp_eq_u32_e64 s[24:25], 13, v0
	v_cndmask_b32_e64 v4, v4, v26, s[22:23]
	s_nop 0
	v_cndmask_b32_e64 v5, v5, v29, s[24:25]
	v_cndmask_b32_e64 v4, v4, v28, s[24:25]
	s_waitcnt lgkmcnt(0)
	v_mul_f64 v[4:5], v[4:5], v[30:31]
	s_cbranch_execz .LBB77_198
	s_branch .LBB77_199
.LBB77_197:
                                        ; implicit-def: $vgpr4_vgpr5
.LBB77_198:
	ds_read_b64 v[4:5], v99
.LBB77_199:
	v_mov_b32_e32 v30, 0
	ds_read_b64 v[30:31], v30 offset:8
	s_waitcnt lgkmcnt(0)
	v_mul_f64 v[4:5], v[4:5], v[30:31]
.LBB77_200:
	s_or_b64 exec, exec, s[26:27]
	v_cndmask_b32_e64 v34, 0, 1, s[30:31]
	v_cmp_gt_u32_e32 vcc, 2, v0
	v_cmp_ne_u32_e64 s[0:1], 1, v34
	ds_write_b64 v99, v[6:7]
	s_waitcnt lgkmcnt(0)
	; wave barrier
	s_and_saveexec_b64 s[28:29], vcc
	s_cbranch_execz .LBB77_206
; %bb.201:
	s_and_b64 vcc, exec, s[0:1]
	s_cbranch_vccnz .LBB77_203
; %bb.202:
	v_cmp_eq_u32_e32 vcc, 1, v0
	v_cmp_eq_u32_e64 s[4:5], 2, v0
	v_cmp_eq_u32_e64 s[6:7], 3, v0
	v_cndmask_b32_e32 v30, v3, v5, vcc
	v_cndmask_b32_e64 v7, v30, v7, s[4:5]
	v_cndmask_b32_e32 v30, v2, v4, vcc
	v_cndmask_b32_e64 v6, v30, v6, s[4:5]
	v_cndmask_b32_e64 v7, v7, v9, s[6:7]
	v_cmp_eq_u32_e64 s[8:9], 4, v0
	v_cndmask_b32_e64 v6, v6, v8, s[6:7]
	v_cmp_eq_u32_e64 s[10:11], 5, v0
	v_cndmask_b32_e64 v7, v7, v11, s[8:9]
	v_cndmask_b32_e64 v6, v6, v10, s[8:9]
	v_cndmask_b32_e64 v7, v7, v13, s[10:11]
	v_cmp_eq_u32_e64 s[12:13], 6, v0
	v_cndmask_b32_e64 v6, v6, v12, s[10:11]
	v_cmp_eq_u32_e64 s[14:15], 7, v0
	v_cndmask_b32_e64 v7, v7, v15, s[12:13]
	;; [unrolled: 6-line block ×3, first 2 shown]
	v_cndmask_b32_e64 v6, v6, v18, s[16:17]
	v_cndmask_b32_e64 v7, v7, v21, s[18:19]
	v_cmp_eq_u32_e64 s[20:21], 10, v0
	v_cndmask_b32_e64 v6, v6, v20, s[18:19]
	ds_read_b64 v[30:31], v99
	v_cndmask_b32_e64 v7, v7, v23, s[20:21]
	v_cmp_eq_u32_e64 s[22:23], 11, v0
	v_cndmask_b32_e64 v6, v6, v22, s[20:21]
	v_cmp_eq_u32_e64 s[24:25], 12, v0
	v_cndmask_b32_e64 v7, v7, v25, s[22:23]
	v_cndmask_b32_e64 v6, v6, v24, s[22:23]
	;; [unrolled: 1-line block ×3, first 2 shown]
	v_cmp_eq_u32_e64 s[26:27], 13, v0
	v_cndmask_b32_e64 v6, v6, v26, s[24:25]
	s_nop 0
	v_cndmask_b32_e64 v7, v7, v29, s[26:27]
	v_cndmask_b32_e64 v6, v6, v28, s[26:27]
	s_waitcnt lgkmcnt(0)
	v_mul_f64 v[6:7], v[6:7], v[30:31]
	s_cbranch_execz .LBB77_204
	s_branch .LBB77_205
.LBB77_203:
                                        ; implicit-def: $vgpr6_vgpr7
.LBB77_204:
	ds_read_b64 v[6:7], v99
.LBB77_205:
	v_mov_b32_e32 v30, 0
	ds_read2_b64 v[30:33], v30 offset0:2 offset1:15
	s_waitcnt lgkmcnt(0)
	v_fma_f64 v[32:33], v[4:5], v[32:33], v[6:7]
	v_cndmask_b32_e64 v7, v7, v33, s[2:3]
	v_cndmask_b32_e64 v6, v6, v32, s[2:3]
	v_mul_f64 v[6:7], v[6:7], v[30:31]
.LBB77_206:
	s_or_b64 exec, exec, s[28:29]
	v_add_u32_e32 v34, 1, v0
	v_cmp_gt_u32_e64 s[4:5], 3, v0
	ds_write_b64 v99, v[8:9]
	s_waitcnt lgkmcnt(0)
	; wave barrier
	s_and_saveexec_b64 s[30:31], s[4:5]
	s_cbranch_execz .LBB77_214
; %bb.207:
	s_and_b64 vcc, exec, s[0:1]
	s_cbranch_vccnz .LBB77_209
; %bb.208:
	v_cmp_eq_u32_e32 vcc, 1, v0
	v_cmp_eq_u32_e64 s[6:7], 2, v0
	v_cmp_eq_u32_e64 s[8:9], 3, v0
	v_cndmask_b32_e32 v30, v3, v5, vcc
	v_cndmask_b32_e64 v30, v30, v7, s[6:7]
	v_cndmask_b32_e64 v30, v30, v9, s[8:9]
	v_cmp_eq_u32_e64 s[10:11], 4, v0
	v_cmp_eq_u32_e64 s[12:13], 5, v0
	v_cmp_eq_u32_e64 s[14:15], 6, v0
	v_cndmask_b32_e64 v30, v30, v11, s[10:11]
	v_cndmask_b32_e64 v30, v30, v13, s[12:13]
	v_cndmask_b32_e64 v30, v30, v15, s[14:15]
	v_cmp_eq_u32_e64 s[16:17], 7, v0
	v_cmp_eq_u32_e64 s[18:19], 8, v0
	v_cmp_eq_u32_e64 s[20:21], 9, v0
	v_cndmask_b32_e64 v30, v30, v17, s[16:17]
	;; [unrolled: 6-line block ×3, first 2 shown]
	v_cndmask_b32_e64 v30, v30, v25, s[24:25]
	v_cndmask_b32_e64 v30, v30, v27, s[26:27]
	v_cmp_eq_u32_e64 s[28:29], 13, v0
	ds_read_b64 v[32:33], v99
	s_nop 0
	v_cndmask_b32_e64 v31, v30, v29, s[28:29]
	v_cndmask_b32_e32 v30, v2, v4, vcc
	v_cndmask_b32_e64 v30, v30, v6, s[6:7]
	v_cndmask_b32_e64 v30, v30, v8, s[8:9]
	;; [unrolled: 1-line block ×12, first 2 shown]
	s_waitcnt lgkmcnt(0)
	v_mul_f64 v[30:31], v[30:31], v[32:33]
	s_cbranch_execz .LBB77_210
	s_branch .LBB77_211
.LBB77_209:
                                        ; implicit-def: $vgpr30_vgpr31
.LBB77_210:
	ds_read_b64 v[30:31], v99
.LBB77_211:
	v_cmp_ne_u32_e32 vcc, 2, v0
	s_and_saveexec_b64 s[34:35], vcc
	s_cbranch_execz .LBB77_213
; %bb.212:
	v_cmp_eq_u32_e32 vcc, 1, v34
	v_cmp_eq_u32_e64 s[6:7], 2, v34
	v_cmp_eq_u32_e64 s[8:9], 3, v34
	v_cndmask_b32_e32 v32, v3, v5, vcc
	v_cndmask_b32_e64 v32, v32, v7, s[6:7]
	v_cndmask_b32_e64 v9, v32, v9, s[8:9]
	v_cndmask_b32_e32 v32, v2, v4, vcc
	v_cndmask_b32_e64 v32, v32, v6, s[6:7]
	v_cmp_eq_u32_e64 s[10:11], 4, v34
	v_cndmask_b32_e64 v8, v32, v8, s[8:9]
	v_cmp_eq_u32_e64 s[12:13], 5, v34
	v_cndmask_b32_e64 v9, v9, v11, s[10:11]
	v_cndmask_b32_e64 v8, v8, v10, s[10:11]
	v_cndmask_b32_e64 v9, v9, v13, s[12:13]
	v_cmp_eq_u32_e64 s[14:15], 6, v34
	v_cndmask_b32_e64 v8, v8, v12, s[12:13]
	v_cmp_eq_u32_e64 s[16:17], 7, v34
	v_cndmask_b32_e64 v9, v9, v15, s[14:15]
	v_cndmask_b32_e64 v8, v8, v14, s[14:15]
	;; [unrolled: 6-line block ×4, first 2 shown]
	v_mov_b32_e32 v35, 0
	ds_read_b64 v[32:33], v99 offset:8
	ds_read_b64 v[36:37], v35 offset:128
	v_cndmask_b32_e64 v9, v9, v25, s[24:25]
	v_cmp_eq_u32_e64 s[26:27], 12, v34
	v_cndmask_b32_e64 v8, v8, v24, s[24:25]
	v_cmp_eq_u32_e64 s[28:29], 13, v34
	v_cndmask_b32_e64 v9, v9, v27, s[26:27]
	v_cndmask_b32_e64 v8, v8, v26, s[26:27]
	v_cndmask_b32_e64 v9, v9, v29, s[28:29]
	v_cndmask_b32_e64 v8, v8, v28, s[28:29]
	s_waitcnt lgkmcnt(1)
	v_fmac_f64_e32 v[30:31], v[8:9], v[32:33]
	s_waitcnt lgkmcnt(0)
	v_fma_f64 v[8:9], v[6:7], v[36:37], v[30:31]
	v_cndmask_b32_e64 v31, v31, v9, s[2:3]
	v_cndmask_b32_e64 v30, v30, v8, s[2:3]
.LBB77_213:
	s_or_b64 exec, exec, s[34:35]
	v_mov_b32_e32 v8, 0
	ds_read_b64 v[8:9], v8 offset:24
	s_waitcnt lgkmcnt(0)
	v_mul_f64 v[8:9], v[30:31], v[8:9]
.LBB77_214:
	s_or_b64 exec, exec, s[30:31]
	v_cmp_gt_u32_e32 vcc, 4, v0
	ds_write_b64 v99, v[10:11]
	s_waitcnt lgkmcnt(0)
	; wave barrier
	s_and_saveexec_b64 s[30:31], vcc
	s_cbranch_execz .LBB77_224
; %bb.215:
	s_and_b64 vcc, exec, s[0:1]
	s_cbranch_vccnz .LBB77_217
; %bb.216:
	v_cmp_eq_u32_e32 vcc, 1, v0
	v_cmp_eq_u32_e64 s[6:7], 2, v0
	v_cmp_eq_u32_e64 s[8:9], 3, v0
	v_cndmask_b32_e32 v30, v3, v5, vcc
	v_cndmask_b32_e64 v30, v30, v7, s[6:7]
	v_cndmask_b32_e64 v30, v30, v9, s[8:9]
	v_cmp_eq_u32_e64 s[10:11], 4, v0
	v_cmp_eq_u32_e64 s[12:13], 5, v0
	v_cmp_eq_u32_e64 s[14:15], 6, v0
	v_cndmask_b32_e64 v30, v30, v11, s[10:11]
	v_cndmask_b32_e64 v30, v30, v13, s[12:13]
	v_cndmask_b32_e64 v30, v30, v15, s[14:15]
	v_cmp_eq_u32_e64 s[16:17], 7, v0
	v_cmp_eq_u32_e64 s[18:19], 8, v0
	v_cmp_eq_u32_e64 s[20:21], 9, v0
	v_cndmask_b32_e64 v30, v30, v17, s[16:17]
	;; [unrolled: 6-line block ×3, first 2 shown]
	v_cndmask_b32_e64 v30, v30, v25, s[24:25]
	v_cndmask_b32_e64 v30, v30, v27, s[26:27]
	v_cmp_eq_u32_e64 s[28:29], 13, v0
	ds_read_b64 v[32:33], v99
	s_nop 0
	v_cndmask_b32_e64 v31, v30, v29, s[28:29]
	v_cndmask_b32_e32 v30, v2, v4, vcc
	v_cndmask_b32_e64 v30, v30, v6, s[6:7]
	v_cndmask_b32_e64 v30, v30, v8, s[8:9]
	;; [unrolled: 1-line block ×12, first 2 shown]
	s_waitcnt lgkmcnt(0)
	v_mul_f64 v[30:31], v[30:31], v[32:33]
	s_cbranch_execz .LBB77_218
	s_branch .LBB77_219
.LBB77_217:
                                        ; implicit-def: $vgpr30_vgpr31
.LBB77_218:
	ds_read_b64 v[30:31], v99
.LBB77_219:
	v_cmp_ne_u32_e32 vcc, 3, v0
	s_and_saveexec_b64 s[10:11], vcc
	s_cbranch_execz .LBB77_223
; %bb.220:
	v_mov_b32_e32 v32, 0x78
	v_lshl_add_u32 v35, v0, 3, v32
	s_mov_b64 s[12:13], 0
	v_mov_b64_e32 v[32:33], v[0:1]
.LBB77_221:                             ; =>This Inner Loop Header: Depth=1
	v_lshl_add_u64 v[32:33], v[32:33], 0, 1
	v_cmp_eq_u32_e32 vcc, 1, v32
	v_cmp_eq_u32_e64 s[8:9], 2, v32
	v_cmp_lt_u32_e64 s[6:7], 2, v32
	v_cndmask_b32_e32 v38, v3, v5, vcc
	v_cndmask_b32_e64 v38, v38, v7, s[8:9]
	v_cndmask_b32_e32 v39, v2, v4, vcc
	v_cmp_eq_u32_e32 vcc, 3, v32
	s_or_b64 s[12:13], s[6:7], s[12:13]
	v_cndmask_b32_e64 v39, v39, v6, s[8:9]
	v_cndmask_b32_e32 v38, v38, v9, vcc
	v_cmp_eq_u32_e64 s[6:7], 4, v32
	v_cndmask_b32_e32 v39, v39, v8, vcc
	v_cmp_eq_u32_e32 vcc, 5, v32
	v_cndmask_b32_e64 v38, v38, v11, s[6:7]
	v_cndmask_b32_e64 v39, v39, v10, s[6:7]
	v_cndmask_b32_e32 v38, v38, v13, vcc
	v_cmp_eq_u32_e64 s[6:7], 6, v32
	v_cndmask_b32_e32 v39, v39, v12, vcc
	v_cmp_eq_u32_e32 vcc, 7, v32
	v_cndmask_b32_e64 v38, v38, v15, s[6:7]
	;; [unrolled: 6-line block ×3, first 2 shown]
	v_cndmask_b32_e64 v39, v39, v18, s[6:7]
	v_cndmask_b32_e32 v38, v38, v21, vcc
	v_cmp_eq_u32_e64 s[6:7], 10, v32
	ds_read_b64 v[36:37], v35
	v_cndmask_b32_e32 v39, v39, v20, vcc
	v_cndmask_b32_e64 v38, v38, v23, s[6:7]
	v_cmp_eq_u32_e32 vcc, 11, v32
	v_cndmask_b32_e64 v39, v39, v22, s[6:7]
	v_cmp_eq_u32_e64 s[6:7], 12, v32
	v_cndmask_b32_e32 v38, v38, v25, vcc
	v_cndmask_b32_e32 v40, v39, v24, vcc
	v_cndmask_b32_e64 v38, v38, v27, s[6:7]
	v_cmp_eq_u32_e32 vcc, 13, v32
	v_add_u32_e32 v35, 8, v35
	s_nop 0
	v_cndmask_b32_e32 v39, v38, v29, vcc
	v_cndmask_b32_e64 v38, v40, v26, s[6:7]
	v_cndmask_b32_e32 v38, v38, v28, vcc
	s_waitcnt lgkmcnt(0)
	v_fmac_f64_e32 v[30:31], v[38:39], v[36:37]
	s_andn2_b64 exec, exec, s[12:13]
	s_cbranch_execnz .LBB77_221
; %bb.222:
	s_or_b64 exec, exec, s[12:13]
.LBB77_223:
	s_or_b64 exec, exec, s[10:11]
	v_mov_b32_e32 v10, 0
	ds_read_b64 v[10:11], v10 offset:32
	s_waitcnt lgkmcnt(0)
	v_mul_f64 v[10:11], v[30:31], v[10:11]
.LBB77_224:
	s_or_b64 exec, exec, s[30:31]
	v_cmp_gt_u32_e64 s[6:7], 5, v0
	ds_write_b64 v99, v[12:13]
	s_waitcnt lgkmcnt(0)
	; wave barrier
	s_and_saveexec_b64 s[34:35], s[6:7]
	s_cbranch_execz .LBB77_234
; %bb.225:
	s_and_b64 vcc, exec, s[0:1]
	s_cbranch_vccnz .LBB77_227
; %bb.226:
	v_cmp_eq_u32_e32 vcc, 1, v0
	v_cmp_eq_u32_e64 s[8:9], 2, v0
	v_cmp_eq_u32_e64 s[10:11], 3, v0
	v_cndmask_b32_e32 v30, v3, v5, vcc
	v_cndmask_b32_e64 v30, v30, v7, s[8:9]
	v_cndmask_b32_e64 v30, v30, v9, s[10:11]
	v_cmp_eq_u32_e64 s[12:13], 4, v0
	v_cmp_eq_u32_e64 s[14:15], 5, v0
	v_cmp_eq_u32_e64 s[16:17], 6, v0
	v_cndmask_b32_e64 v30, v30, v11, s[12:13]
	v_cndmask_b32_e64 v30, v30, v13, s[14:15]
	v_cndmask_b32_e64 v30, v30, v15, s[16:17]
	v_cmp_eq_u32_e64 s[18:19], 7, v0
	v_cmp_eq_u32_e64 s[20:21], 8, v0
	v_cmp_eq_u32_e64 s[22:23], 9, v0
	v_cndmask_b32_e64 v30, v30, v17, s[18:19]
	;; [unrolled: 6-line block ×3, first 2 shown]
	v_cndmask_b32_e64 v30, v30, v25, s[26:27]
	v_cndmask_b32_e64 v30, v30, v27, s[28:29]
	v_cmp_eq_u32_e64 s[30:31], 13, v0
	ds_read_b64 v[32:33], v99
	s_nop 0
	v_cndmask_b32_e64 v31, v30, v29, s[30:31]
	v_cndmask_b32_e32 v30, v2, v4, vcc
	v_cndmask_b32_e64 v30, v30, v6, s[8:9]
	v_cndmask_b32_e64 v30, v30, v8, s[10:11]
	v_cndmask_b32_e64 v30, v30, v10, s[12:13]
	v_cndmask_b32_e64 v30, v30, v12, s[14:15]
	v_cndmask_b32_e64 v30, v30, v14, s[16:17]
	v_cndmask_b32_e64 v30, v30, v16, s[18:19]
	v_cndmask_b32_e64 v30, v30, v18, s[20:21]
	v_cndmask_b32_e64 v30, v30, v20, s[22:23]
	v_cndmask_b32_e64 v30, v30, v22, s[24:25]
	v_cndmask_b32_e64 v30, v30, v24, s[26:27]
	v_cndmask_b32_e64 v30, v30, v26, s[28:29]
	v_cndmask_b32_e64 v30, v30, v28, s[30:31]
	s_waitcnt lgkmcnt(0)
	v_mul_f64 v[30:31], v[30:31], v[32:33]
	s_cbranch_execz .LBB77_228
	s_branch .LBB77_229
.LBB77_227:
                                        ; implicit-def: $vgpr30_vgpr31
.LBB77_228:
	ds_read_b64 v[30:31], v99
.LBB77_229:
	v_cmp_ne_u32_e32 vcc, 4, v0
	s_and_saveexec_b64 s[12:13], vcc
	s_cbranch_execz .LBB77_233
; %bb.230:
	v_mov_b32_e32 v32, 0x78
	v_lshl_add_u32 v35, v0, 3, v32
	s_mov_b64 s[14:15], 0
	v_mov_b64_e32 v[32:33], v[0:1]
.LBB77_231:                             ; =>This Inner Loop Header: Depth=1
	v_lshl_add_u64 v[32:33], v[32:33], 0, 1
	v_cmp_eq_u32_e32 vcc, 1, v32
	v_cmp_eq_u32_e64 s[10:11], 2, v32
	v_cmp_lt_u32_e64 s[8:9], 3, v32
	v_cndmask_b32_e32 v38, v3, v5, vcc
	v_cndmask_b32_e64 v38, v38, v7, s[10:11]
	v_cndmask_b32_e32 v39, v2, v4, vcc
	v_cmp_eq_u32_e32 vcc, 3, v32
	s_or_b64 s[14:15], s[8:9], s[14:15]
	v_cndmask_b32_e64 v39, v39, v6, s[10:11]
	v_cndmask_b32_e32 v38, v38, v9, vcc
	v_cmp_eq_u32_e64 s[8:9], 4, v32
	v_cndmask_b32_e32 v39, v39, v8, vcc
	v_cmp_eq_u32_e32 vcc, 5, v32
	v_cndmask_b32_e64 v38, v38, v11, s[8:9]
	v_cndmask_b32_e64 v39, v39, v10, s[8:9]
	v_cndmask_b32_e32 v38, v38, v13, vcc
	v_cmp_eq_u32_e64 s[8:9], 6, v32
	v_cndmask_b32_e32 v39, v39, v12, vcc
	v_cmp_eq_u32_e32 vcc, 7, v32
	v_cndmask_b32_e64 v38, v38, v15, s[8:9]
	;; [unrolled: 6-line block ×3, first 2 shown]
	v_cndmask_b32_e64 v39, v39, v18, s[8:9]
	v_cndmask_b32_e32 v38, v38, v21, vcc
	v_cmp_eq_u32_e64 s[8:9], 10, v32
	ds_read_b64 v[36:37], v35
	v_cndmask_b32_e32 v39, v39, v20, vcc
	v_cndmask_b32_e64 v38, v38, v23, s[8:9]
	v_cmp_eq_u32_e32 vcc, 11, v32
	v_cndmask_b32_e64 v39, v39, v22, s[8:9]
	v_cmp_eq_u32_e64 s[8:9], 12, v32
	v_cndmask_b32_e32 v38, v38, v25, vcc
	v_cndmask_b32_e32 v40, v39, v24, vcc
	v_cndmask_b32_e64 v38, v38, v27, s[8:9]
	v_cmp_eq_u32_e32 vcc, 13, v32
	v_add_u32_e32 v35, 8, v35
	s_nop 0
	v_cndmask_b32_e32 v39, v38, v29, vcc
	v_cndmask_b32_e64 v38, v40, v26, s[8:9]
	v_cndmask_b32_e32 v38, v38, v28, vcc
	s_waitcnt lgkmcnt(0)
	v_fmac_f64_e32 v[30:31], v[38:39], v[36:37]
	s_andn2_b64 exec, exec, s[14:15]
	s_cbranch_execnz .LBB77_231
; %bb.232:
	s_or_b64 exec, exec, s[14:15]
.LBB77_233:
	s_or_b64 exec, exec, s[12:13]
	v_mov_b32_e32 v12, 0
	ds_read_b64 v[12:13], v12 offset:40
	s_waitcnt lgkmcnt(0)
	v_mul_f64 v[12:13], v[30:31], v[12:13]
.LBB77_234:
	s_or_b64 exec, exec, s[34:35]
	v_cmp_gt_u32_e32 vcc, 6, v0
	ds_write_b64 v99, v[14:15]
	s_waitcnt lgkmcnt(0)
	; wave barrier
	s_and_saveexec_b64 s[34:35], vcc
	s_cbranch_execz .LBB77_244
; %bb.235:
	s_and_b64 vcc, exec, s[0:1]
	s_cbranch_vccnz .LBB77_237
; %bb.236:
	v_cmp_eq_u32_e32 vcc, 1, v0
	v_cmp_eq_u32_e64 s[8:9], 2, v0
	v_cmp_eq_u32_e64 s[10:11], 3, v0
	v_cndmask_b32_e32 v30, v3, v5, vcc
	v_cndmask_b32_e64 v30, v30, v7, s[8:9]
	v_cndmask_b32_e64 v30, v30, v9, s[10:11]
	v_cmp_eq_u32_e64 s[12:13], 4, v0
	v_cmp_eq_u32_e64 s[14:15], 5, v0
	v_cmp_eq_u32_e64 s[16:17], 6, v0
	v_cndmask_b32_e64 v30, v30, v11, s[12:13]
	v_cndmask_b32_e64 v30, v30, v13, s[14:15]
	v_cndmask_b32_e64 v30, v30, v15, s[16:17]
	v_cmp_eq_u32_e64 s[18:19], 7, v0
	v_cmp_eq_u32_e64 s[20:21], 8, v0
	v_cmp_eq_u32_e64 s[22:23], 9, v0
	v_cndmask_b32_e64 v30, v30, v17, s[18:19]
	;; [unrolled: 6-line block ×3, first 2 shown]
	v_cndmask_b32_e64 v30, v30, v25, s[26:27]
	v_cndmask_b32_e64 v30, v30, v27, s[28:29]
	v_cmp_eq_u32_e64 s[30:31], 13, v0
	ds_read_b64 v[32:33], v99
	s_nop 0
	v_cndmask_b32_e64 v31, v30, v29, s[30:31]
	v_cndmask_b32_e32 v30, v2, v4, vcc
	v_cndmask_b32_e64 v30, v30, v6, s[8:9]
	v_cndmask_b32_e64 v30, v30, v8, s[10:11]
	;; [unrolled: 1-line block ×12, first 2 shown]
	s_waitcnt lgkmcnt(0)
	v_mul_f64 v[30:31], v[30:31], v[32:33]
	s_cbranch_execz .LBB77_238
	s_branch .LBB77_239
.LBB77_237:
                                        ; implicit-def: $vgpr30_vgpr31
.LBB77_238:
	ds_read_b64 v[30:31], v99
.LBB77_239:
	v_cmp_ne_u32_e32 vcc, 5, v0
	s_and_saveexec_b64 s[12:13], vcc
	s_cbranch_execz .LBB77_243
; %bb.240:
	v_mov_b32_e32 v32, 0x78
	v_lshl_add_u32 v35, v0, 3, v32
	s_mov_b64 s[14:15], 0
	v_mov_b64_e32 v[32:33], v[0:1]
.LBB77_241:                             ; =>This Inner Loop Header: Depth=1
	v_lshl_add_u64 v[32:33], v[32:33], 0, 1
	v_cmp_eq_u32_e32 vcc, 1, v32
	v_cmp_eq_u32_e64 s[10:11], 2, v32
	v_cmp_lt_u32_e64 s[8:9], 4, v32
	v_cndmask_b32_e32 v38, v3, v5, vcc
	v_cndmask_b32_e64 v38, v38, v7, s[10:11]
	v_cndmask_b32_e32 v39, v2, v4, vcc
	v_cmp_eq_u32_e32 vcc, 3, v32
	s_or_b64 s[14:15], s[8:9], s[14:15]
	v_cndmask_b32_e64 v39, v39, v6, s[10:11]
	v_cndmask_b32_e32 v38, v38, v9, vcc
	v_cmp_eq_u32_e64 s[8:9], 4, v32
	v_cndmask_b32_e32 v39, v39, v8, vcc
	v_cmp_eq_u32_e32 vcc, 5, v32
	v_cndmask_b32_e64 v38, v38, v11, s[8:9]
	v_cndmask_b32_e64 v39, v39, v10, s[8:9]
	v_cndmask_b32_e32 v38, v38, v13, vcc
	v_cmp_eq_u32_e64 s[8:9], 6, v32
	v_cndmask_b32_e32 v39, v39, v12, vcc
	v_cmp_eq_u32_e32 vcc, 7, v32
	v_cndmask_b32_e64 v38, v38, v15, s[8:9]
	;; [unrolled: 6-line block ×3, first 2 shown]
	v_cndmask_b32_e64 v39, v39, v18, s[8:9]
	v_cndmask_b32_e32 v38, v38, v21, vcc
	v_cmp_eq_u32_e64 s[8:9], 10, v32
	ds_read_b64 v[36:37], v35
	v_cndmask_b32_e32 v39, v39, v20, vcc
	v_cndmask_b32_e64 v38, v38, v23, s[8:9]
	v_cmp_eq_u32_e32 vcc, 11, v32
	v_cndmask_b32_e64 v39, v39, v22, s[8:9]
	v_cmp_eq_u32_e64 s[8:9], 12, v32
	v_cndmask_b32_e32 v38, v38, v25, vcc
	v_cndmask_b32_e32 v40, v39, v24, vcc
	v_cndmask_b32_e64 v38, v38, v27, s[8:9]
	v_cmp_eq_u32_e32 vcc, 13, v32
	v_add_u32_e32 v35, 8, v35
	s_nop 0
	v_cndmask_b32_e32 v39, v38, v29, vcc
	v_cndmask_b32_e64 v38, v40, v26, s[8:9]
	v_cndmask_b32_e32 v38, v38, v28, vcc
	s_waitcnt lgkmcnt(0)
	v_fmac_f64_e32 v[30:31], v[38:39], v[36:37]
	s_andn2_b64 exec, exec, s[14:15]
	s_cbranch_execnz .LBB77_241
; %bb.242:
	s_or_b64 exec, exec, s[14:15]
.LBB77_243:
	s_or_b64 exec, exec, s[12:13]
	v_mov_b32_e32 v14, 0
	ds_read_b64 v[14:15], v14 offset:48
	s_waitcnt lgkmcnt(0)
	v_mul_f64 v[14:15], v[30:31], v[14:15]
.LBB77_244:
	s_or_b64 exec, exec, s[34:35]
	v_cmp_gt_u32_e64 s[8:9], 7, v0
	ds_write_b64 v99, v[16:17]
	s_waitcnt lgkmcnt(0)
	; wave barrier
	s_and_saveexec_b64 s[36:37], s[8:9]
	s_cbranch_execz .LBB77_254
; %bb.245:
	s_and_b64 vcc, exec, s[0:1]
	s_cbranch_vccnz .LBB77_247
; %bb.246:
	v_cmp_eq_u32_e32 vcc, 1, v0
	v_cmp_eq_u32_e64 s[10:11], 2, v0
	v_cmp_eq_u32_e64 s[12:13], 3, v0
	v_cndmask_b32_e32 v30, v3, v5, vcc
	v_cndmask_b32_e64 v30, v30, v7, s[10:11]
	v_cndmask_b32_e64 v30, v30, v9, s[12:13]
	v_cmp_eq_u32_e64 s[14:15], 4, v0
	v_cmp_eq_u32_e64 s[16:17], 5, v0
	v_cmp_eq_u32_e64 s[18:19], 6, v0
	v_cndmask_b32_e64 v30, v30, v11, s[14:15]
	v_cndmask_b32_e64 v30, v30, v13, s[16:17]
	v_cndmask_b32_e64 v30, v30, v15, s[18:19]
	v_cmp_eq_u32_e64 s[20:21], 7, v0
	v_cmp_eq_u32_e64 s[22:23], 8, v0
	v_cmp_eq_u32_e64 s[24:25], 9, v0
	v_cndmask_b32_e64 v30, v30, v17, s[20:21]
	;; [unrolled: 6-line block ×3, first 2 shown]
	v_cndmask_b32_e64 v30, v30, v25, s[28:29]
	v_cndmask_b32_e64 v30, v30, v27, s[30:31]
	v_cmp_eq_u32_e64 s[34:35], 13, v0
	ds_read_b64 v[32:33], v99
	s_nop 0
	v_cndmask_b32_e64 v31, v30, v29, s[34:35]
	v_cndmask_b32_e32 v30, v2, v4, vcc
	v_cndmask_b32_e64 v30, v30, v6, s[10:11]
	v_cndmask_b32_e64 v30, v30, v8, s[12:13]
	;; [unrolled: 1-line block ×12, first 2 shown]
	s_waitcnt lgkmcnt(0)
	v_mul_f64 v[30:31], v[30:31], v[32:33]
	s_cbranch_execz .LBB77_248
	s_branch .LBB77_249
.LBB77_247:
                                        ; implicit-def: $vgpr30_vgpr31
.LBB77_248:
	ds_read_b64 v[30:31], v99
.LBB77_249:
	v_cmp_ne_u32_e32 vcc, 6, v0
	s_and_saveexec_b64 s[14:15], vcc
	s_cbranch_execz .LBB77_253
; %bb.250:
	v_mov_b32_e32 v32, 0x78
	v_lshl_add_u32 v35, v0, 3, v32
	s_mov_b64 s[16:17], 0
	v_mov_b64_e32 v[32:33], v[0:1]
.LBB77_251:                             ; =>This Inner Loop Header: Depth=1
	v_lshl_add_u64 v[32:33], v[32:33], 0, 1
	v_cmp_eq_u32_e32 vcc, 1, v32
	v_cmp_eq_u32_e64 s[12:13], 2, v32
	v_cmp_lt_u32_e64 s[10:11], 5, v32
	v_cndmask_b32_e32 v38, v3, v5, vcc
	v_cndmask_b32_e64 v38, v38, v7, s[12:13]
	v_cndmask_b32_e32 v39, v2, v4, vcc
	v_cmp_eq_u32_e32 vcc, 3, v32
	s_or_b64 s[16:17], s[10:11], s[16:17]
	v_cndmask_b32_e64 v39, v39, v6, s[12:13]
	v_cndmask_b32_e32 v38, v38, v9, vcc
	v_cmp_eq_u32_e64 s[10:11], 4, v32
	v_cndmask_b32_e32 v39, v39, v8, vcc
	v_cmp_eq_u32_e32 vcc, 5, v32
	v_cndmask_b32_e64 v38, v38, v11, s[10:11]
	v_cndmask_b32_e64 v39, v39, v10, s[10:11]
	v_cndmask_b32_e32 v38, v38, v13, vcc
	v_cmp_eq_u32_e64 s[10:11], 6, v32
	v_cndmask_b32_e32 v39, v39, v12, vcc
	v_cmp_eq_u32_e32 vcc, 7, v32
	v_cndmask_b32_e64 v38, v38, v15, s[10:11]
	;; [unrolled: 6-line block ×3, first 2 shown]
	v_cndmask_b32_e64 v39, v39, v18, s[10:11]
	v_cndmask_b32_e32 v38, v38, v21, vcc
	v_cmp_eq_u32_e64 s[10:11], 10, v32
	ds_read_b64 v[36:37], v35
	v_cndmask_b32_e32 v39, v39, v20, vcc
	v_cndmask_b32_e64 v38, v38, v23, s[10:11]
	v_cmp_eq_u32_e32 vcc, 11, v32
	v_cndmask_b32_e64 v39, v39, v22, s[10:11]
	v_cmp_eq_u32_e64 s[10:11], 12, v32
	v_cndmask_b32_e32 v38, v38, v25, vcc
	v_cndmask_b32_e32 v40, v39, v24, vcc
	v_cndmask_b32_e64 v38, v38, v27, s[10:11]
	v_cmp_eq_u32_e32 vcc, 13, v32
	v_add_u32_e32 v35, 8, v35
	s_nop 0
	v_cndmask_b32_e32 v39, v38, v29, vcc
	v_cndmask_b32_e64 v38, v40, v26, s[10:11]
	v_cndmask_b32_e32 v38, v38, v28, vcc
	s_waitcnt lgkmcnt(0)
	v_fmac_f64_e32 v[30:31], v[38:39], v[36:37]
	s_andn2_b64 exec, exec, s[16:17]
	s_cbranch_execnz .LBB77_251
; %bb.252:
	s_or_b64 exec, exec, s[16:17]
.LBB77_253:
	s_or_b64 exec, exec, s[14:15]
	v_mov_b32_e32 v16, 0
	ds_read_b64 v[16:17], v16 offset:56
	s_waitcnt lgkmcnt(0)
	v_mul_f64 v[16:17], v[30:31], v[16:17]
.LBB77_254:
	s_or_b64 exec, exec, s[36:37]
	v_cmp_gt_u32_e32 vcc, 8, v0
	ds_write_b64 v99, v[18:19]
	s_waitcnt lgkmcnt(0)
	; wave barrier
	s_and_saveexec_b64 s[36:37], vcc
	s_cbranch_execz .LBB77_264
; %bb.255:
	s_and_b64 vcc, exec, s[0:1]
	s_cbranch_vccnz .LBB77_257
; %bb.256:
	v_cmp_eq_u32_e32 vcc, 1, v0
	v_cmp_eq_u32_e64 s[10:11], 2, v0
	v_cmp_eq_u32_e64 s[12:13], 3, v0
	v_cndmask_b32_e32 v30, v3, v5, vcc
	v_cndmask_b32_e64 v30, v30, v7, s[10:11]
	v_cndmask_b32_e64 v30, v30, v9, s[12:13]
	v_cmp_eq_u32_e64 s[14:15], 4, v0
	v_cmp_eq_u32_e64 s[16:17], 5, v0
	v_cmp_eq_u32_e64 s[18:19], 6, v0
	v_cndmask_b32_e64 v30, v30, v11, s[14:15]
	v_cndmask_b32_e64 v30, v30, v13, s[16:17]
	v_cndmask_b32_e64 v30, v30, v15, s[18:19]
	v_cmp_eq_u32_e64 s[20:21], 7, v0
	v_cmp_eq_u32_e64 s[22:23], 8, v0
	v_cmp_eq_u32_e64 s[24:25], 9, v0
	v_cndmask_b32_e64 v30, v30, v17, s[20:21]
	v_cndmask_b32_e64 v30, v30, v19, s[22:23]
	v_cndmask_b32_e64 v30, v30, v21, s[24:25]
	v_cmp_eq_u32_e64 s[26:27], 10, v0
	v_cmp_eq_u32_e64 s[28:29], 11, v0
	v_cmp_eq_u32_e64 s[30:31], 12, v0
	v_cndmask_b32_e64 v30, v30, v23, s[26:27]
	v_cndmask_b32_e64 v30, v30, v25, s[28:29]
	v_cndmask_b32_e64 v30, v30, v27, s[30:31]
	v_cmp_eq_u32_e64 s[34:35], 13, v0
	ds_read_b64 v[32:33], v99
	s_nop 0
	v_cndmask_b32_e64 v31, v30, v29, s[34:35]
	v_cndmask_b32_e32 v30, v2, v4, vcc
	v_cndmask_b32_e64 v30, v30, v6, s[10:11]
	v_cndmask_b32_e64 v30, v30, v8, s[12:13]
	;; [unrolled: 1-line block ×12, first 2 shown]
	s_waitcnt lgkmcnt(0)
	v_mul_f64 v[30:31], v[30:31], v[32:33]
	s_cbranch_execz .LBB77_258
	s_branch .LBB77_259
.LBB77_257:
                                        ; implicit-def: $vgpr30_vgpr31
.LBB77_258:
	ds_read_b64 v[30:31], v99
.LBB77_259:
	v_cmp_ne_u32_e32 vcc, 7, v0
	s_and_saveexec_b64 s[14:15], vcc
	s_cbranch_execz .LBB77_263
; %bb.260:
	v_mov_b32_e32 v32, 0x78
	v_lshl_add_u32 v35, v0, 3, v32
	s_mov_b64 s[16:17], 0
	v_mov_b64_e32 v[32:33], v[0:1]
.LBB77_261:                             ; =>This Inner Loop Header: Depth=1
	v_lshl_add_u64 v[32:33], v[32:33], 0, 1
	v_cmp_eq_u32_e32 vcc, 1, v32
	v_cmp_eq_u32_e64 s[12:13], 2, v32
	v_cmp_lt_u32_e64 s[10:11], 6, v32
	v_cndmask_b32_e32 v38, v3, v5, vcc
	v_cndmask_b32_e64 v38, v38, v7, s[12:13]
	v_cndmask_b32_e32 v39, v2, v4, vcc
	v_cmp_eq_u32_e32 vcc, 3, v32
	s_or_b64 s[16:17], s[10:11], s[16:17]
	v_cndmask_b32_e64 v39, v39, v6, s[12:13]
	v_cndmask_b32_e32 v38, v38, v9, vcc
	v_cmp_eq_u32_e64 s[10:11], 4, v32
	v_cndmask_b32_e32 v39, v39, v8, vcc
	v_cmp_eq_u32_e32 vcc, 5, v32
	v_cndmask_b32_e64 v38, v38, v11, s[10:11]
	v_cndmask_b32_e64 v39, v39, v10, s[10:11]
	v_cndmask_b32_e32 v38, v38, v13, vcc
	v_cmp_eq_u32_e64 s[10:11], 6, v32
	v_cndmask_b32_e32 v39, v39, v12, vcc
	v_cmp_eq_u32_e32 vcc, 7, v32
	v_cndmask_b32_e64 v38, v38, v15, s[10:11]
	;; [unrolled: 6-line block ×3, first 2 shown]
	v_cndmask_b32_e64 v39, v39, v18, s[10:11]
	v_cndmask_b32_e32 v38, v38, v21, vcc
	v_cmp_eq_u32_e64 s[10:11], 10, v32
	ds_read_b64 v[36:37], v35
	v_cndmask_b32_e32 v39, v39, v20, vcc
	v_cndmask_b32_e64 v38, v38, v23, s[10:11]
	v_cmp_eq_u32_e32 vcc, 11, v32
	v_cndmask_b32_e64 v39, v39, v22, s[10:11]
	v_cmp_eq_u32_e64 s[10:11], 12, v32
	v_cndmask_b32_e32 v38, v38, v25, vcc
	v_cndmask_b32_e32 v40, v39, v24, vcc
	v_cndmask_b32_e64 v38, v38, v27, s[10:11]
	v_cmp_eq_u32_e32 vcc, 13, v32
	v_add_u32_e32 v35, 8, v35
	s_nop 0
	v_cndmask_b32_e32 v39, v38, v29, vcc
	v_cndmask_b32_e64 v38, v40, v26, s[10:11]
	v_cndmask_b32_e32 v38, v38, v28, vcc
	s_waitcnt lgkmcnt(0)
	v_fmac_f64_e32 v[30:31], v[38:39], v[36:37]
	s_andn2_b64 exec, exec, s[16:17]
	s_cbranch_execnz .LBB77_261
; %bb.262:
	s_or_b64 exec, exec, s[16:17]
.LBB77_263:
	s_or_b64 exec, exec, s[14:15]
	v_mov_b32_e32 v18, 0
	ds_read_b64 v[18:19], v18 offset:64
	s_waitcnt lgkmcnt(0)
	v_mul_f64 v[18:19], v[30:31], v[18:19]
.LBB77_264:
	s_or_b64 exec, exec, s[36:37]
	v_cmp_gt_u32_e32 vcc, 9, v0
	ds_write_b64 v99, v[20:21]
	s_waitcnt lgkmcnt(0)
	; wave barrier
	s_and_saveexec_b64 s[36:37], vcc
	s_cbranch_execz .LBB77_286
; %bb.265:
	s_and_b64 vcc, exec, s[0:1]
	s_cbranch_vccnz .LBB77_267
; %bb.266:
	v_cmp_eq_u32_e32 vcc, 1, v0
	v_cmp_eq_u32_e64 s[10:11], 2, v0
	v_cmp_eq_u32_e64 s[12:13], 3, v0
	v_cndmask_b32_e32 v30, v3, v5, vcc
	v_cndmask_b32_e64 v30, v30, v7, s[10:11]
	v_cndmask_b32_e64 v30, v30, v9, s[12:13]
	v_cmp_eq_u32_e64 s[14:15], 4, v0
	v_cmp_eq_u32_e64 s[16:17], 5, v0
	v_cmp_eq_u32_e64 s[18:19], 6, v0
	v_cndmask_b32_e64 v30, v30, v11, s[14:15]
	v_cndmask_b32_e64 v30, v30, v13, s[16:17]
	v_cndmask_b32_e64 v30, v30, v15, s[18:19]
	v_cmp_eq_u32_e64 s[20:21], 7, v0
	v_cmp_eq_u32_e64 s[22:23], 8, v0
	v_cmp_eq_u32_e64 s[24:25], 9, v0
	v_cndmask_b32_e64 v30, v30, v17, s[20:21]
	;; [unrolled: 6-line block ×3, first 2 shown]
	v_cndmask_b32_e64 v30, v30, v25, s[28:29]
	v_cndmask_b32_e64 v30, v30, v27, s[30:31]
	v_cmp_eq_u32_e64 s[34:35], 13, v0
	ds_read_b64 v[32:33], v99
	s_nop 0
	v_cndmask_b32_e64 v31, v30, v29, s[34:35]
	v_cndmask_b32_e32 v30, v2, v4, vcc
	v_cndmask_b32_e64 v30, v30, v6, s[10:11]
	v_cndmask_b32_e64 v30, v30, v8, s[12:13]
	;; [unrolled: 1-line block ×12, first 2 shown]
	s_waitcnt lgkmcnt(0)
	v_mul_f64 v[30:31], v[30:31], v[32:33]
	s_cbranch_execz .LBB77_268
	s_branch .LBB77_269
.LBB77_267:
                                        ; implicit-def: $vgpr30_vgpr31
.LBB77_268:
	ds_read_b64 v[30:31], v99
.LBB77_269:
	v_cmp_ne_u32_e32 vcc, 8, v0
	s_and_saveexec_b64 s[38:39], vcc
	s_cbranch_execz .LBB77_285
; %bb.270:
	v_cmp_eq_u32_e32 vcc, 1, v34
	v_cmp_eq_u32_e64 s[10:11], 2, v34
	v_cmp_eq_u32_e64 s[12:13], 3, v34
	v_cndmask_b32_e32 v32, v3, v5, vcc
	v_cndmask_b32_e64 v32, v32, v7, s[10:11]
	v_cndmask_b32_e64 v32, v32, v9, s[12:13]
	v_cmp_eq_u32_e64 s[14:15], 4, v34
	v_cmp_eq_u32_e64 s[16:17], 5, v34
	v_cmp_eq_u32_e64 s[18:19], 6, v34
	v_cndmask_b32_e64 v32, v32, v11, s[14:15]
	v_cndmask_b32_e64 v32, v32, v13, s[16:17]
	v_cndmask_b32_e64 v32, v32, v15, s[18:19]
	v_cmp_eq_u32_e64 s[20:21], 7, v34
	v_cmp_eq_u32_e64 s[22:23], 8, v34
	v_cmp_eq_u32_e64 s[24:25], 9, v34
	v_cndmask_b32_e64 v32, v32, v17, s[20:21]
	v_cndmask_b32_e64 v32, v32, v19, s[22:23]
	v_cndmask_b32_e64 v32, v32, v21, s[24:25]
	v_cmp_eq_u32_e64 s[26:27], 10, v34
	v_cmp_eq_u32_e64 s[28:29], 11, v34
	v_cmp_eq_u32_e64 s[30:31], 12, v34
	v_cndmask_b32_e64 v32, v32, v23, s[26:27]
	v_cndmask_b32_e64 v32, v32, v25, s[28:29]
	v_cndmask_b32_e64 v32, v32, v27, s[30:31]
	v_cmp_eq_u32_e64 s[34:35], 13, v34
	ds_read_b64 v[34:35], v99 offset:8
	s_nop 0
	v_cndmask_b32_e64 v33, v32, v29, s[34:35]
	v_cndmask_b32_e32 v32, v2, v4, vcc
	v_cndmask_b32_e64 v32, v32, v6, s[10:11]
	v_cndmask_b32_e64 v32, v32, v8, s[12:13]
	;; [unrolled: 1-line block ×12, first 2 shown]
	s_waitcnt lgkmcnt(0)
	v_fmac_f64_e32 v[30:31], v[32:33], v[34:35]
	s_and_saveexec_b64 s[34:35], s[8:9]
	s_cbranch_execz .LBB77_284
; %bb.271:
	v_add_u32_e32 v32, 2, v0
	v_cmp_eq_u32_e32 vcc, 1, v32
	v_cmp_eq_u32_e64 s[8:9], 2, v32
	v_cmp_eq_u32_e64 s[10:11], 3, v32
	v_cndmask_b32_e32 v33, v3, v5, vcc
	v_cmp_eq_u32_e64 s[12:13], 4, v32
	v_cmp_eq_u32_e64 s[14:15], 5, v32
	;; [unrolled: 1-line block ×10, first 2 shown]
	v_cndmask_b32_e32 v32, v2, v4, vcc
	v_cndmask_b32_e64 v33, v33, v7, s[8:9]
	v_cndmask_b32_e64 v32, v32, v6, s[8:9]
	;; [unrolled: 1-line block ×16, first 2 shown]
	ds_read_b64 v[34:35], v99 offset:16
	v_cndmask_b32_e64 v33, v33, v23, s[24:25]
	v_cndmask_b32_e64 v32, v32, v22, s[24:25]
	;; [unrolled: 1-line block ×8, first 2 shown]
	s_waitcnt lgkmcnt(0)
	v_fmac_f64_e32 v[30:31], v[32:33], v[34:35]
	v_cmp_ne_u32_e32 vcc, 6, v0
	s_and_saveexec_b64 s[40:41], vcc
	s_cbranch_execz .LBB77_283
; %bb.272:
	v_add_u32_e32 v32, 3, v0
	v_cmp_eq_u32_e32 vcc, 1, v32
	v_cmp_eq_u32_e64 s[8:9], 2, v32
	v_cmp_eq_u32_e64 s[10:11], 3, v32
	v_cndmask_b32_e32 v33, v3, v5, vcc
	v_cmp_eq_u32_e64 s[12:13], 4, v32
	v_cmp_eq_u32_e64 s[14:15], 5, v32
	;; [unrolled: 1-line block ×10, first 2 shown]
	v_cndmask_b32_e32 v32, v2, v4, vcc
	v_cndmask_b32_e64 v33, v33, v7, s[8:9]
	v_cndmask_b32_e64 v32, v32, v6, s[8:9]
	;; [unrolled: 1-line block ×16, first 2 shown]
	ds_read_b64 v[34:35], v99 offset:24
	v_cndmask_b32_e64 v33, v33, v23, s[24:25]
	v_cndmask_b32_e64 v32, v32, v22, s[24:25]
	;; [unrolled: 1-line block ×8, first 2 shown]
	s_waitcnt lgkmcnt(0)
	v_fmac_f64_e32 v[30:31], v[32:33], v[34:35]
	s_and_saveexec_b64 s[30:31], s[6:7]
	s_cbranch_execz .LBB77_282
; %bb.273:
	v_add_u32_e32 v32, 4, v0
	v_cmp_eq_u32_e32 vcc, 1, v32
	v_cmp_eq_u32_e64 s[6:7], 2, v32
	v_cmp_eq_u32_e64 s[8:9], 3, v32
	v_cndmask_b32_e32 v33, v3, v5, vcc
	v_cmp_eq_u32_e64 s[10:11], 4, v32
	v_cmp_eq_u32_e64 s[12:13], 5, v32
	;; [unrolled: 1-line block ×10, first 2 shown]
	v_cndmask_b32_e32 v32, v2, v4, vcc
	v_cndmask_b32_e64 v33, v33, v7, s[6:7]
	v_cndmask_b32_e64 v32, v32, v6, s[6:7]
	;; [unrolled: 1-line block ×16, first 2 shown]
	ds_read_b64 v[34:35], v99 offset:32
	v_cndmask_b32_e64 v33, v33, v23, s[22:23]
	v_cndmask_b32_e64 v32, v32, v22, s[22:23]
	;; [unrolled: 1-line block ×8, first 2 shown]
	s_waitcnt lgkmcnt(0)
	v_fmac_f64_e32 v[30:31], v[32:33], v[34:35]
	v_cmp_ne_u32_e32 vcc, 4, v0
	s_and_saveexec_b64 s[42:43], vcc
	s_cbranch_execz .LBB77_281
; %bb.274:
	v_add_u32_e32 v32, 5, v0
	v_cmp_eq_u32_e32 vcc, 1, v32
	v_cmp_eq_u32_e64 s[6:7], 2, v32
	v_cmp_eq_u32_e64 s[8:9], 3, v32
	v_cndmask_b32_e32 v33, v3, v5, vcc
	v_cmp_eq_u32_e64 s[10:11], 4, v32
	v_cmp_eq_u32_e64 s[12:13], 5, v32
	;; [unrolled: 1-line block ×10, first 2 shown]
	v_cndmask_b32_e32 v32, v2, v4, vcc
	v_cndmask_b32_e64 v33, v33, v7, s[6:7]
	v_cndmask_b32_e64 v32, v32, v6, s[6:7]
	;; [unrolled: 1-line block ×16, first 2 shown]
	ds_read_b64 v[34:35], v99 offset:40
	v_cndmask_b32_e64 v33, v33, v23, s[22:23]
	v_cndmask_b32_e64 v32, v32, v22, s[22:23]
	;; [unrolled: 1-line block ×8, first 2 shown]
	s_waitcnt lgkmcnt(0)
	v_fmac_f64_e32 v[30:31], v[32:33], v[34:35]
	s_and_saveexec_b64 s[28:29], s[4:5]
	s_cbranch_execz .LBB77_280
; %bb.275:
	v_add_u32_e32 v32, 6, v0
	v_cmp_eq_u32_e32 vcc, 1, v32
	v_cmp_eq_u32_e64 s[4:5], 2, v32
	v_cmp_eq_u32_e64 s[6:7], 3, v32
	v_cndmask_b32_e32 v33, v3, v5, vcc
	v_cmp_eq_u32_e64 s[8:9], 4, v32
	v_cmp_eq_u32_e64 s[10:11], 5, v32
	;; [unrolled: 1-line block ×10, first 2 shown]
	v_cndmask_b32_e32 v32, v2, v4, vcc
	v_cndmask_b32_e64 v33, v33, v7, s[4:5]
	v_cndmask_b32_e64 v32, v32, v6, s[4:5]
	;; [unrolled: 1-line block ×16, first 2 shown]
	ds_read_b64 v[34:35], v99 offset:48
	v_cndmask_b32_e64 v33, v33, v23, s[20:21]
	v_cndmask_b32_e64 v32, v32, v22, s[20:21]
	;; [unrolled: 1-line block ×8, first 2 shown]
	s_waitcnt lgkmcnt(0)
	v_fmac_f64_e32 v[30:31], v[32:33], v[34:35]
	v_cmp_ne_u32_e32 vcc, 2, v0
	s_and_saveexec_b64 s[44:45], vcc
	s_cbranch_execz .LBB77_279
; %bb.276:
	v_add_u32_e32 v32, 7, v0
	v_cmp_eq_u32_e32 vcc, 1, v32
	v_cmp_eq_u32_e64 s[4:5], 2, v32
	v_cmp_eq_u32_e64 s[6:7], 3, v32
	v_cndmask_b32_e32 v33, v3, v5, vcc
	v_cmp_eq_u32_e64 s[8:9], 4, v32
	v_cmp_eq_u32_e64 s[10:11], 5, v32
	;; [unrolled: 1-line block ×10, first 2 shown]
	v_cndmask_b32_e32 v32, v2, v4, vcc
	v_cndmask_b32_e64 v33, v33, v7, s[4:5]
	v_cndmask_b32_e64 v32, v32, v6, s[4:5]
	;; [unrolled: 1-line block ×16, first 2 shown]
	ds_read_b64 v[32:33], v99 offset:56
	v_cndmask_b32_e64 v21, v21, v23, s[20:21]
	v_cndmask_b32_e64 v20, v20, v22, s[20:21]
	v_cndmask_b32_e64 v21, v21, v25, s[22:23]
	v_cndmask_b32_e64 v20, v20, v24, s[22:23]
	v_cndmask_b32_e64 v21, v21, v27, s[24:25]
	v_cndmask_b32_e64 v20, v20, v26, s[24:25]
	v_cndmask_b32_e64 v21, v21, v29, s[26:27]
	v_cndmask_b32_e64 v20, v20, v28, s[26:27]
	s_waitcnt lgkmcnt(0)
	v_fmac_f64_e32 v[30:31], v[20:21], v[32:33]
	s_and_saveexec_b64 s[4:5], s[2:3]
	s_cbranch_execz .LBB77_278
; %bb.277:
	ds_read_b64 v[20:21], v99 offset:64
	s_waitcnt lgkmcnt(0)
	v_fmac_f64_e32 v[30:31], v[18:19], v[20:21]
.LBB77_278:
	s_or_b64 exec, exec, s[4:5]
.LBB77_279:
	s_or_b64 exec, exec, s[44:45]
.LBB77_280:
	s_or_b64 exec, exec, s[28:29]
.LBB77_281:
	s_or_b64 exec, exec, s[42:43]
.LBB77_282:
	s_or_b64 exec, exec, s[30:31]
.LBB77_283:
	s_or_b64 exec, exec, s[40:41]
.LBB77_284:
	s_or_b64 exec, exec, s[34:35]
.LBB77_285:
	s_or_b64 exec, exec, s[38:39]
	v_mov_b32_e32 v20, 0
	ds_read_b64 v[20:21], v20 offset:72
	s_waitcnt lgkmcnt(0)
	v_mul_f64 v[20:21], v[30:31], v[20:21]
.LBB77_286:
	s_or_b64 exec, exec, s[36:37]
	v_cmp_gt_u32_e32 vcc, 10, v0
	ds_write_b64 v99, v[22:23]
	s_waitcnt lgkmcnt(0)
	; wave barrier
	s_and_saveexec_b64 s[26:27], vcc
	s_cbranch_execz .LBB77_296
; %bb.287:
	s_and_b64 vcc, exec, s[0:1]
	s_cbranch_vccnz .LBB77_289
; %bb.288:
	v_cmp_eq_u32_e32 vcc, 1, v0
	v_cmp_eq_u32_e64 s[2:3], 2, v0
	v_cmp_eq_u32_e64 s[4:5], 3, v0
	v_cndmask_b32_e32 v30, v3, v5, vcc
	v_cndmask_b32_e64 v30, v30, v7, s[2:3]
	v_cndmask_b32_e64 v30, v30, v9, s[4:5]
	v_cmp_eq_u32_e64 s[6:7], 4, v0
	v_cmp_eq_u32_e64 s[8:9], 5, v0
	v_cmp_eq_u32_e64 s[10:11], 6, v0
	v_cndmask_b32_e64 v30, v30, v11, s[6:7]
	v_cndmask_b32_e64 v30, v30, v13, s[8:9]
	v_cndmask_b32_e64 v30, v30, v15, s[10:11]
	v_cmp_eq_u32_e64 s[12:13], 7, v0
	v_cmp_eq_u32_e64 s[14:15], 8, v0
	v_cmp_eq_u32_e64 s[16:17], 9, v0
	v_cndmask_b32_e64 v30, v30, v17, s[12:13]
	;; [unrolled: 6-line block ×3, first 2 shown]
	v_cndmask_b32_e64 v30, v30, v25, s[20:21]
	v_cndmask_b32_e64 v30, v30, v27, s[22:23]
	v_cmp_eq_u32_e64 s[24:25], 13, v0
	ds_read_b64 v[32:33], v99
	s_nop 0
	v_cndmask_b32_e64 v31, v30, v29, s[24:25]
	v_cndmask_b32_e32 v30, v2, v4, vcc
	v_cndmask_b32_e64 v30, v30, v6, s[2:3]
	v_cndmask_b32_e64 v30, v30, v8, s[4:5]
	;; [unrolled: 1-line block ×12, first 2 shown]
	s_waitcnt lgkmcnt(0)
	v_mul_f64 v[30:31], v[30:31], v[32:33]
	s_cbranch_execz .LBB77_290
	s_branch .LBB77_291
.LBB77_289:
                                        ; implicit-def: $vgpr30_vgpr31
.LBB77_290:
	ds_read_b64 v[30:31], v99
.LBB77_291:
	v_cmp_ne_u32_e32 vcc, 9, v0
	s_and_saveexec_b64 s[6:7], vcc
	s_cbranch_execz .LBB77_295
; %bb.292:
	v_mov_b32_e32 v32, 0x78
	v_lshl_add_u32 v34, v0, 3, v32
	s_mov_b64 s[8:9], 0
	v_mov_b64_e32 v[32:33], v[0:1]
.LBB77_293:                             ; =>This Inner Loop Header: Depth=1
	v_lshl_add_u64 v[32:33], v[32:33], 0, 1
	v_cmp_eq_u32_e32 vcc, 1, v32
	v_cmp_eq_u32_e64 s[4:5], 2, v32
	v_cmp_lt_u32_e64 s[2:3], 8, v32
	v_cndmask_b32_e32 v35, v3, v5, vcc
	v_cndmask_b32_e64 v35, v35, v7, s[4:5]
	v_cndmask_b32_e32 v38, v2, v4, vcc
	v_cmp_eq_u32_e32 vcc, 3, v32
	s_or_b64 s[8:9], s[2:3], s[8:9]
	v_cndmask_b32_e64 v38, v38, v6, s[4:5]
	v_cndmask_b32_e32 v35, v35, v9, vcc
	v_cmp_eq_u32_e64 s[2:3], 4, v32
	v_cndmask_b32_e32 v38, v38, v8, vcc
	v_cmp_eq_u32_e32 vcc, 5, v32
	v_cndmask_b32_e64 v35, v35, v11, s[2:3]
	v_cndmask_b32_e64 v38, v38, v10, s[2:3]
	v_cndmask_b32_e32 v35, v35, v13, vcc
	v_cmp_eq_u32_e64 s[2:3], 6, v32
	v_cndmask_b32_e32 v38, v38, v12, vcc
	v_cmp_eq_u32_e32 vcc, 7, v32
	v_cndmask_b32_e64 v35, v35, v15, s[2:3]
	v_cndmask_b32_e64 v38, v38, v14, s[2:3]
	v_cndmask_b32_e32 v35, v35, v17, vcc
	v_cmp_eq_u32_e64 s[2:3], 8, v32
	v_cndmask_b32_e32 v38, v38, v16, vcc
	v_cmp_eq_u32_e32 vcc, 9, v32
	v_cndmask_b32_e64 v35, v35, v19, s[2:3]
	v_cndmask_b32_e64 v38, v38, v18, s[2:3]
	v_cndmask_b32_e32 v35, v35, v21, vcc
	v_cmp_eq_u32_e64 s[2:3], 10, v32
	ds_read_b64 v[36:37], v34
	v_cndmask_b32_e32 v38, v38, v20, vcc
	v_cndmask_b32_e64 v35, v35, v23, s[2:3]
	v_cmp_eq_u32_e32 vcc, 11, v32
	v_cndmask_b32_e64 v38, v38, v22, s[2:3]
	v_cmp_eq_u32_e64 s[2:3], 12, v32
	v_cndmask_b32_e32 v35, v35, v25, vcc
	v_cndmask_b32_e32 v38, v38, v24, vcc
	v_cndmask_b32_e64 v35, v35, v27, s[2:3]
	v_cmp_eq_u32_e32 vcc, 13, v32
	v_add_u32_e32 v34, 8, v34
	s_nop 0
	v_cndmask_b32_e32 v39, v35, v29, vcc
	v_cndmask_b32_e64 v35, v38, v26, s[2:3]
	v_cndmask_b32_e32 v38, v35, v28, vcc
	s_waitcnt lgkmcnt(0)
	v_fmac_f64_e32 v[30:31], v[38:39], v[36:37]
	s_andn2_b64 exec, exec, s[8:9]
	s_cbranch_execnz .LBB77_293
; %bb.294:
	s_or_b64 exec, exec, s[8:9]
.LBB77_295:
	s_or_b64 exec, exec, s[6:7]
	v_mov_b32_e32 v22, 0
	ds_read_b64 v[22:23], v22 offset:80
	s_waitcnt lgkmcnt(0)
	v_mul_f64 v[22:23], v[30:31], v[22:23]
.LBB77_296:
	s_or_b64 exec, exec, s[26:27]
	v_cmp_gt_u32_e32 vcc, 11, v0
	ds_write_b64 v99, v[24:25]
	s_waitcnt lgkmcnt(0)
	; wave barrier
	s_and_saveexec_b64 s[26:27], vcc
	s_cbranch_execz .LBB77_306
; %bb.297:
	s_and_b64 vcc, exec, s[0:1]
	s_cbranch_vccnz .LBB77_299
; %bb.298:
	v_cmp_eq_u32_e32 vcc, 1, v0
	v_cmp_eq_u32_e64 s[2:3], 2, v0
	v_cmp_eq_u32_e64 s[4:5], 3, v0
	v_cndmask_b32_e32 v30, v3, v5, vcc
	v_cndmask_b32_e64 v30, v30, v7, s[2:3]
	v_cndmask_b32_e64 v30, v30, v9, s[4:5]
	v_cmp_eq_u32_e64 s[6:7], 4, v0
	v_cmp_eq_u32_e64 s[8:9], 5, v0
	v_cmp_eq_u32_e64 s[10:11], 6, v0
	v_cndmask_b32_e64 v30, v30, v11, s[6:7]
	v_cndmask_b32_e64 v30, v30, v13, s[8:9]
	v_cndmask_b32_e64 v30, v30, v15, s[10:11]
	v_cmp_eq_u32_e64 s[12:13], 7, v0
	v_cmp_eq_u32_e64 s[14:15], 8, v0
	v_cmp_eq_u32_e64 s[16:17], 9, v0
	v_cndmask_b32_e64 v30, v30, v17, s[12:13]
	;; [unrolled: 6-line block ×3, first 2 shown]
	v_cndmask_b32_e64 v30, v30, v25, s[20:21]
	v_cndmask_b32_e64 v30, v30, v27, s[22:23]
	v_cmp_eq_u32_e64 s[24:25], 13, v0
	ds_read_b64 v[32:33], v99
	s_nop 0
	v_cndmask_b32_e64 v31, v30, v29, s[24:25]
	v_cndmask_b32_e32 v30, v2, v4, vcc
	v_cndmask_b32_e64 v30, v30, v6, s[2:3]
	v_cndmask_b32_e64 v30, v30, v8, s[4:5]
	;; [unrolled: 1-line block ×12, first 2 shown]
	s_waitcnt lgkmcnt(0)
	v_mul_f64 v[30:31], v[30:31], v[32:33]
	s_cbranch_execz .LBB77_300
	s_branch .LBB77_301
.LBB77_299:
                                        ; implicit-def: $vgpr30_vgpr31
.LBB77_300:
	ds_read_b64 v[30:31], v99
.LBB77_301:
	v_cmp_ne_u32_e32 vcc, 10, v0
	s_and_saveexec_b64 s[6:7], vcc
	s_cbranch_execz .LBB77_305
; %bb.302:
	v_mov_b32_e32 v32, 0x78
	v_lshl_add_u32 v34, v0, 3, v32
	s_mov_b64 s[8:9], 0
	v_mov_b64_e32 v[32:33], v[0:1]
.LBB77_303:                             ; =>This Inner Loop Header: Depth=1
	v_lshl_add_u64 v[32:33], v[32:33], 0, 1
	v_cmp_eq_u32_e32 vcc, 1, v32
	v_cmp_eq_u32_e64 s[4:5], 2, v32
	v_cmp_lt_u32_e64 s[2:3], 9, v32
	v_cndmask_b32_e32 v35, v3, v5, vcc
	v_cndmask_b32_e64 v35, v35, v7, s[4:5]
	v_cndmask_b32_e32 v38, v2, v4, vcc
	v_cmp_eq_u32_e32 vcc, 3, v32
	s_or_b64 s[8:9], s[2:3], s[8:9]
	v_cndmask_b32_e64 v38, v38, v6, s[4:5]
	v_cndmask_b32_e32 v35, v35, v9, vcc
	v_cmp_eq_u32_e64 s[2:3], 4, v32
	v_cndmask_b32_e32 v38, v38, v8, vcc
	v_cmp_eq_u32_e32 vcc, 5, v32
	v_cndmask_b32_e64 v35, v35, v11, s[2:3]
	v_cndmask_b32_e64 v38, v38, v10, s[2:3]
	v_cndmask_b32_e32 v35, v35, v13, vcc
	v_cmp_eq_u32_e64 s[2:3], 6, v32
	v_cndmask_b32_e32 v38, v38, v12, vcc
	v_cmp_eq_u32_e32 vcc, 7, v32
	v_cndmask_b32_e64 v35, v35, v15, s[2:3]
	;; [unrolled: 6-line block ×3, first 2 shown]
	v_cndmask_b32_e64 v38, v38, v18, s[2:3]
	v_cndmask_b32_e32 v35, v35, v21, vcc
	v_cmp_eq_u32_e64 s[2:3], 10, v32
	ds_read_b64 v[36:37], v34
	v_cndmask_b32_e32 v38, v38, v20, vcc
	v_cndmask_b32_e64 v35, v35, v23, s[2:3]
	v_cmp_eq_u32_e32 vcc, 11, v32
	v_cndmask_b32_e64 v38, v38, v22, s[2:3]
	v_cmp_eq_u32_e64 s[2:3], 12, v32
	v_cndmask_b32_e32 v35, v35, v25, vcc
	v_cndmask_b32_e32 v38, v38, v24, vcc
	v_cndmask_b32_e64 v35, v35, v27, s[2:3]
	v_cmp_eq_u32_e32 vcc, 13, v32
	v_add_u32_e32 v34, 8, v34
	s_nop 0
	v_cndmask_b32_e32 v39, v35, v29, vcc
	v_cndmask_b32_e64 v35, v38, v26, s[2:3]
	v_cndmask_b32_e32 v38, v35, v28, vcc
	s_waitcnt lgkmcnt(0)
	v_fmac_f64_e32 v[30:31], v[38:39], v[36:37]
	s_andn2_b64 exec, exec, s[8:9]
	s_cbranch_execnz .LBB77_303
; %bb.304:
	s_or_b64 exec, exec, s[8:9]
.LBB77_305:
	s_or_b64 exec, exec, s[6:7]
	v_mov_b32_e32 v24, 0
	ds_read_b64 v[24:25], v24 offset:88
	s_waitcnt lgkmcnt(0)
	v_mul_f64 v[24:25], v[30:31], v[24:25]
.LBB77_306:
	s_or_b64 exec, exec, s[26:27]
	v_cmp_gt_u32_e64 s[2:3], 12, v0
	ds_write_b64 v99, v[26:27]
	s_waitcnt lgkmcnt(0)
	; wave barrier
	s_and_saveexec_b64 s[28:29], s[2:3]
	s_cbranch_execz .LBB77_316
; %bb.307:
	s_and_b64 vcc, exec, s[0:1]
	s_cbranch_vccnz .LBB77_309
; %bb.308:
	v_cmp_eq_u32_e32 vcc, 1, v0
	v_cmp_eq_u32_e64 s[4:5], 2, v0
	v_cmp_eq_u32_e64 s[6:7], 3, v0
	v_cndmask_b32_e32 v30, v3, v5, vcc
	v_cndmask_b32_e64 v30, v30, v7, s[4:5]
	v_cndmask_b32_e64 v30, v30, v9, s[6:7]
	v_cmp_eq_u32_e64 s[8:9], 4, v0
	v_cmp_eq_u32_e64 s[10:11], 5, v0
	v_cmp_eq_u32_e64 s[12:13], 6, v0
	v_cndmask_b32_e64 v30, v30, v11, s[8:9]
	v_cndmask_b32_e64 v30, v30, v13, s[10:11]
	v_cndmask_b32_e64 v30, v30, v15, s[12:13]
	v_cmp_eq_u32_e64 s[14:15], 7, v0
	v_cmp_eq_u32_e64 s[16:17], 8, v0
	v_cmp_eq_u32_e64 s[18:19], 9, v0
	v_cndmask_b32_e64 v30, v30, v17, s[14:15]
	;; [unrolled: 6-line block ×3, first 2 shown]
	v_cndmask_b32_e64 v30, v30, v25, s[22:23]
	v_cndmask_b32_e64 v30, v30, v27, s[24:25]
	v_cmp_eq_u32_e64 s[26:27], 13, v0
	ds_read_b64 v[32:33], v99
	s_nop 0
	v_cndmask_b32_e64 v31, v30, v29, s[26:27]
	v_cndmask_b32_e32 v30, v2, v4, vcc
	v_cndmask_b32_e64 v30, v30, v6, s[4:5]
	v_cndmask_b32_e64 v30, v30, v8, s[6:7]
	;; [unrolled: 1-line block ×12, first 2 shown]
	s_waitcnt lgkmcnt(0)
	v_mul_f64 v[30:31], v[30:31], v[32:33]
	s_cbranch_execz .LBB77_310
	s_branch .LBB77_311
.LBB77_309:
                                        ; implicit-def: $vgpr30_vgpr31
.LBB77_310:
	ds_read_b64 v[30:31], v99
.LBB77_311:
	v_cmp_ne_u32_e32 vcc, 11, v0
	s_and_saveexec_b64 s[8:9], vcc
	s_cbranch_execz .LBB77_315
; %bb.312:
	v_mov_b32_e32 v32, 0x78
	v_lshl_add_u32 v34, v0, 3, v32
	s_mov_b64 s[10:11], 0
	v_mov_b64_e32 v[32:33], v[0:1]
.LBB77_313:                             ; =>This Inner Loop Header: Depth=1
	v_lshl_add_u64 v[32:33], v[32:33], 0, 1
	v_cmp_eq_u32_e32 vcc, 1, v32
	v_cmp_eq_u32_e64 s[6:7], 2, v32
	v_cmp_lt_u32_e64 s[4:5], 10, v32
	v_cndmask_b32_e32 v35, v3, v5, vcc
	v_cndmask_b32_e64 v35, v35, v7, s[6:7]
	v_cndmask_b32_e32 v38, v2, v4, vcc
	v_cmp_eq_u32_e32 vcc, 3, v32
	s_or_b64 s[10:11], s[4:5], s[10:11]
	v_cndmask_b32_e64 v38, v38, v6, s[6:7]
	v_cndmask_b32_e32 v35, v35, v9, vcc
	v_cmp_eq_u32_e64 s[4:5], 4, v32
	v_cndmask_b32_e32 v38, v38, v8, vcc
	v_cmp_eq_u32_e32 vcc, 5, v32
	v_cndmask_b32_e64 v35, v35, v11, s[4:5]
	v_cndmask_b32_e64 v38, v38, v10, s[4:5]
	v_cndmask_b32_e32 v35, v35, v13, vcc
	v_cmp_eq_u32_e64 s[4:5], 6, v32
	v_cndmask_b32_e32 v38, v38, v12, vcc
	v_cmp_eq_u32_e32 vcc, 7, v32
	v_cndmask_b32_e64 v35, v35, v15, s[4:5]
	;; [unrolled: 6-line block ×3, first 2 shown]
	v_cndmask_b32_e64 v38, v38, v18, s[4:5]
	v_cndmask_b32_e32 v35, v35, v21, vcc
	v_cmp_eq_u32_e64 s[4:5], 10, v32
	ds_read_b64 v[36:37], v34
	v_cndmask_b32_e32 v38, v38, v20, vcc
	v_cndmask_b32_e64 v35, v35, v23, s[4:5]
	v_cmp_eq_u32_e32 vcc, 11, v32
	v_cndmask_b32_e64 v38, v38, v22, s[4:5]
	v_cmp_eq_u32_e64 s[4:5], 12, v32
	v_cndmask_b32_e32 v35, v35, v25, vcc
	v_cndmask_b32_e32 v38, v38, v24, vcc
	v_cndmask_b32_e64 v35, v35, v27, s[4:5]
	v_cmp_eq_u32_e32 vcc, 13, v32
	v_add_u32_e32 v34, 8, v34
	s_nop 0
	v_cndmask_b32_e32 v39, v35, v29, vcc
	v_cndmask_b32_e64 v35, v38, v26, s[4:5]
	v_cndmask_b32_e32 v38, v35, v28, vcc
	s_waitcnt lgkmcnt(0)
	v_fmac_f64_e32 v[30:31], v[38:39], v[36:37]
	s_andn2_b64 exec, exec, s[10:11]
	s_cbranch_execnz .LBB77_313
; %bb.314:
	s_or_b64 exec, exec, s[10:11]
.LBB77_315:
	s_or_b64 exec, exec, s[8:9]
	v_mov_b32_e32 v26, 0
	ds_read_b64 v[26:27], v26 offset:96
	s_waitcnt lgkmcnt(0)
	v_mul_f64 v[26:27], v[30:31], v[26:27]
.LBB77_316:
	s_or_b64 exec, exec, s[28:29]
	v_cmp_ne_u32_e32 vcc, 13, v0
	ds_write_b64 v99, v[28:29]
	s_waitcnt lgkmcnt(0)
	; wave barrier
	s_and_saveexec_b64 s[26:27], vcc
	s_cbranch_execz .LBB77_326
; %bb.317:
	s_and_b64 vcc, exec, s[0:1]
	s_cbranch_vccnz .LBB77_319
; %bb.318:
	v_cmp_eq_u32_e32 vcc, 1, v0
	v_cmp_eq_u32_e64 s[0:1], 2, v0
	v_cmp_eq_u32_e64 s[4:5], 3, v0
	v_cndmask_b32_e32 v30, v3, v5, vcc
	v_cndmask_b32_e64 v30, v30, v7, s[0:1]
	v_cndmask_b32_e64 v30, v30, v9, s[4:5]
	v_cmp_eq_u32_e64 s[6:7], 4, v0
	v_cmp_eq_u32_e64 s[8:9], 5, v0
	v_cmp_eq_u32_e64 s[10:11], 6, v0
	v_cndmask_b32_e64 v30, v30, v11, s[6:7]
	v_cndmask_b32_e64 v30, v30, v13, s[8:9]
	v_cndmask_b32_e64 v30, v30, v15, s[10:11]
	v_cmp_eq_u32_e64 s[12:13], 7, v0
	v_cmp_eq_u32_e64 s[14:15], 8, v0
	v_cmp_eq_u32_e64 s[16:17], 9, v0
	v_cndmask_b32_e64 v30, v30, v17, s[12:13]
	;; [unrolled: 6-line block ×3, first 2 shown]
	v_cndmask_b32_e64 v30, v30, v25, s[20:21]
	v_cndmask_b32_e64 v30, v30, v27, s[22:23]
	v_cmp_eq_u32_e64 s[24:25], 13, v0
	ds_read_b64 v[32:33], v99
	s_nop 0
	v_cndmask_b32_e64 v31, v30, v29, s[24:25]
	v_cndmask_b32_e32 v30, v2, v4, vcc
	v_cndmask_b32_e64 v30, v30, v6, s[0:1]
	v_cndmask_b32_e64 v30, v30, v8, s[4:5]
	;; [unrolled: 1-line block ×12, first 2 shown]
	s_waitcnt lgkmcnt(0)
	v_mul_f64 v[30:31], v[30:31], v[32:33]
	s_cbranch_execz .LBB77_320
	s_branch .LBB77_321
.LBB77_319:
                                        ; implicit-def: $vgpr30_vgpr31
.LBB77_320:
	ds_read_b64 v[30:31], v99
.LBB77_321:
	s_and_saveexec_b64 s[4:5], s[2:3]
	s_cbranch_execz .LBB77_325
; %bb.322:
	v_mov_b32_e32 v32, 0x78
	v_lshl_add_u32 v32, v0, 3, v32
	s_mov_b64 s[6:7], 0
.LBB77_323:                             ; =>This Inner Loop Header: Depth=1
	v_lshl_add_u64 v[0:1], v[0:1], 0, 1
	v_cmp_eq_u32_e32 vcc, 1, v0
	v_cmp_eq_u32_e64 s[2:3], 2, v0
	v_cmp_lt_u32_e64 s[0:1], 11, v0
	v_cndmask_b32_e32 v33, v3, v5, vcc
	v_cndmask_b32_e64 v33, v33, v7, s[2:3]
	v_cndmask_b32_e32 v36, v2, v4, vcc
	v_cmp_eq_u32_e32 vcc, 3, v0
	s_or_b64 s[6:7], s[0:1], s[6:7]
	v_cndmask_b32_e64 v36, v36, v6, s[2:3]
	v_cndmask_b32_e32 v33, v33, v9, vcc
	v_cmp_eq_u32_e64 s[0:1], 4, v0
	v_cndmask_b32_e32 v36, v36, v8, vcc
	v_cmp_eq_u32_e32 vcc, 5, v0
	v_cndmask_b32_e64 v33, v33, v11, s[0:1]
	v_cndmask_b32_e64 v36, v36, v10, s[0:1]
	v_cndmask_b32_e32 v33, v33, v13, vcc
	v_cmp_eq_u32_e64 s[0:1], 6, v0
	v_cndmask_b32_e32 v36, v36, v12, vcc
	v_cmp_eq_u32_e32 vcc, 7, v0
	v_cndmask_b32_e64 v33, v33, v15, s[0:1]
	;; [unrolled: 6-line block ×3, first 2 shown]
	v_cndmask_b32_e64 v36, v36, v18, s[0:1]
	v_cndmask_b32_e32 v33, v33, v21, vcc
	v_cmp_eq_u32_e64 s[0:1], 10, v0
	ds_read_b64 v[34:35], v32
	v_cndmask_b32_e32 v36, v36, v20, vcc
	v_cndmask_b32_e64 v33, v33, v23, s[0:1]
	v_cmp_eq_u32_e32 vcc, 11, v0
	v_cndmask_b32_e64 v36, v36, v22, s[0:1]
	v_cmp_eq_u32_e64 s[0:1], 12, v0
	v_cndmask_b32_e32 v33, v33, v25, vcc
	v_cndmask_b32_e32 v36, v36, v24, vcc
	v_cndmask_b32_e64 v33, v33, v27, s[0:1]
	v_cmp_eq_u32_e32 vcc, 13, v0
	v_add_u32_e32 v32, 8, v32
	s_nop 0
	v_cndmask_b32_e32 v37, v33, v29, vcc
	v_cndmask_b32_e64 v33, v36, v26, s[0:1]
	v_cndmask_b32_e32 v36, v33, v28, vcc
	s_waitcnt lgkmcnt(0)
	v_fmac_f64_e32 v[30:31], v[36:37], v[34:35]
	s_andn2_b64 exec, exec, s[6:7]
	s_cbranch_execnz .LBB77_323
; %bb.324:
	s_or_b64 exec, exec, s[6:7]
.LBB77_325:
	s_or_b64 exec, exec, s[4:5]
	v_mov_b32_e32 v0, 0
	ds_read_b64 v[0:1], v0 offset:104
	s_waitcnt lgkmcnt(0)
	v_mul_f64 v[28:29], v[30:31], v[0:1]
.LBB77_326:
	s_or_b64 exec, exec, s[26:27]
	v_mov_b64_e32 v[64:65], v[32:33]
	v_mov_b64_e32 v[62:63], v[30:31]
	;; [unrolled: 1-line block ×16, first 2 shown]
.LBB77_327:
	flat_store_dwordx2 v[66:67], v[34:35]
	flat_store_dwordx2 v[68:69], v[36:37]
	;; [unrolled: 1-line block ×14, first 2 shown]
.LBB77_328:
	s_endpgm
	.section	.rodata,"a",@progbits
	.p2align	6, 0x0
	.amdhsa_kernel _ZN9rocsolver6v33100L18trti2_kernel_smallILi14EdPKPdEEv13rocblas_fill_17rocblas_diagonal_T1_iil
		.amdhsa_group_segment_fixed_size 224
		.amdhsa_private_segment_fixed_size 0
		.amdhsa_kernarg_size 32
		.amdhsa_user_sgpr_count 2
		.amdhsa_user_sgpr_dispatch_ptr 0
		.amdhsa_user_sgpr_queue_ptr 0
		.amdhsa_user_sgpr_kernarg_segment_ptr 1
		.amdhsa_user_sgpr_dispatch_id 0
		.amdhsa_user_sgpr_kernarg_preload_length 0
		.amdhsa_user_sgpr_kernarg_preload_offset 0
		.amdhsa_user_sgpr_private_segment_size 0
		.amdhsa_uses_dynamic_stack 0
		.amdhsa_enable_private_segment 0
		.amdhsa_system_sgpr_workgroup_id_x 1
		.amdhsa_system_sgpr_workgroup_id_y 0
		.amdhsa_system_sgpr_workgroup_id_z 0
		.amdhsa_system_sgpr_workgroup_info 0
		.amdhsa_system_vgpr_workitem_id 0
		.amdhsa_next_free_vgpr 122
		.amdhsa_next_free_sgpr 46
		.amdhsa_accum_offset 124
		.amdhsa_reserve_vcc 1
		.amdhsa_float_round_mode_32 0
		.amdhsa_float_round_mode_16_64 0
		.amdhsa_float_denorm_mode_32 3
		.amdhsa_float_denorm_mode_16_64 3
		.amdhsa_dx10_clamp 1
		.amdhsa_ieee_mode 1
		.amdhsa_fp16_overflow 0
		.amdhsa_tg_split 0
		.amdhsa_exception_fp_ieee_invalid_op 0
		.amdhsa_exception_fp_denorm_src 0
		.amdhsa_exception_fp_ieee_div_zero 0
		.amdhsa_exception_fp_ieee_overflow 0
		.amdhsa_exception_fp_ieee_underflow 0
		.amdhsa_exception_fp_ieee_inexact 0
		.amdhsa_exception_int_div_zero 0
	.end_amdhsa_kernel
	.section	.text._ZN9rocsolver6v33100L18trti2_kernel_smallILi14EdPKPdEEv13rocblas_fill_17rocblas_diagonal_T1_iil,"axG",@progbits,_ZN9rocsolver6v33100L18trti2_kernel_smallILi14EdPKPdEEv13rocblas_fill_17rocblas_diagonal_T1_iil,comdat
.Lfunc_end77:
	.size	_ZN9rocsolver6v33100L18trti2_kernel_smallILi14EdPKPdEEv13rocblas_fill_17rocblas_diagonal_T1_iil, .Lfunc_end77-_ZN9rocsolver6v33100L18trti2_kernel_smallILi14EdPKPdEEv13rocblas_fill_17rocblas_diagonal_T1_iil
                                        ; -- End function
	.set _ZN9rocsolver6v33100L18trti2_kernel_smallILi14EdPKPdEEv13rocblas_fill_17rocblas_diagonal_T1_iil.num_vgpr, 122
	.set _ZN9rocsolver6v33100L18trti2_kernel_smallILi14EdPKPdEEv13rocblas_fill_17rocblas_diagonal_T1_iil.num_agpr, 0
	.set _ZN9rocsolver6v33100L18trti2_kernel_smallILi14EdPKPdEEv13rocblas_fill_17rocblas_diagonal_T1_iil.numbered_sgpr, 46
	.set _ZN9rocsolver6v33100L18trti2_kernel_smallILi14EdPKPdEEv13rocblas_fill_17rocblas_diagonal_T1_iil.num_named_barrier, 0
	.set _ZN9rocsolver6v33100L18trti2_kernel_smallILi14EdPKPdEEv13rocblas_fill_17rocblas_diagonal_T1_iil.private_seg_size, 0
	.set _ZN9rocsolver6v33100L18trti2_kernel_smallILi14EdPKPdEEv13rocblas_fill_17rocblas_diagonal_T1_iil.uses_vcc, 1
	.set _ZN9rocsolver6v33100L18trti2_kernel_smallILi14EdPKPdEEv13rocblas_fill_17rocblas_diagonal_T1_iil.uses_flat_scratch, 0
	.set _ZN9rocsolver6v33100L18trti2_kernel_smallILi14EdPKPdEEv13rocblas_fill_17rocblas_diagonal_T1_iil.has_dyn_sized_stack, 0
	.set _ZN9rocsolver6v33100L18trti2_kernel_smallILi14EdPKPdEEv13rocblas_fill_17rocblas_diagonal_T1_iil.has_recursion, 0
	.set _ZN9rocsolver6v33100L18trti2_kernel_smallILi14EdPKPdEEv13rocblas_fill_17rocblas_diagonal_T1_iil.has_indirect_call, 0
	.section	.AMDGPU.csdata,"",@progbits
; Kernel info:
; codeLenInByte = 26176
; TotalNumSgprs: 52
; NumVgprs: 122
; NumAgprs: 0
; TotalNumVgprs: 122
; ScratchSize: 0
; MemoryBound: 0
; FloatMode: 240
; IeeeMode: 1
; LDSByteSize: 224 bytes/workgroup (compile time only)
; SGPRBlocks: 6
; VGPRBlocks: 15
; NumSGPRsForWavesPerEU: 52
; NumVGPRsForWavesPerEU: 122
; AccumOffset: 124
; Occupancy: 4
; WaveLimiterHint : 1
; COMPUTE_PGM_RSRC2:SCRATCH_EN: 0
; COMPUTE_PGM_RSRC2:USER_SGPR: 2
; COMPUTE_PGM_RSRC2:TRAP_HANDLER: 0
; COMPUTE_PGM_RSRC2:TGID_X_EN: 1
; COMPUTE_PGM_RSRC2:TGID_Y_EN: 0
; COMPUTE_PGM_RSRC2:TGID_Z_EN: 0
; COMPUTE_PGM_RSRC2:TIDIG_COMP_CNT: 0
; COMPUTE_PGM_RSRC3_GFX90A:ACCUM_OFFSET: 30
; COMPUTE_PGM_RSRC3_GFX90A:TG_SPLIT: 0
	.section	.text._ZN9rocsolver6v33100L18trti2_kernel_smallILi15EdPKPdEEv13rocblas_fill_17rocblas_diagonal_T1_iil,"axG",@progbits,_ZN9rocsolver6v33100L18trti2_kernel_smallILi15EdPKPdEEv13rocblas_fill_17rocblas_diagonal_T1_iil,comdat
	.globl	_ZN9rocsolver6v33100L18trti2_kernel_smallILi15EdPKPdEEv13rocblas_fill_17rocblas_diagonal_T1_iil ; -- Begin function _ZN9rocsolver6v33100L18trti2_kernel_smallILi15EdPKPdEEv13rocblas_fill_17rocblas_diagonal_T1_iil
	.p2align	8
	.type	_ZN9rocsolver6v33100L18trti2_kernel_smallILi15EdPKPdEEv13rocblas_fill_17rocblas_diagonal_T1_iil,@function
_ZN9rocsolver6v33100L18trti2_kernel_smallILi15EdPKPdEEv13rocblas_fill_17rocblas_diagonal_T1_iil: ; @_ZN9rocsolver6v33100L18trti2_kernel_smallILi15EdPKPdEEv13rocblas_fill_17rocblas_diagonal_T1_iil
; %bb.0:
	v_cmp_gt_u32_e32 vcc, 15, v0
	s_and_saveexec_b64 s[4:5], vcc
	s_cbranch_execz .LBB78_354
; %bb.1:
	s_load_dwordx2 s[4:5], s[0:1], 0x10
	s_load_dwordx4 s[28:31], s[0:1], 0x0
	s_ashr_i32 s3, s2, 31
	s_lshl_b64 s[0:1], s[2:3], 3
	v_mov_b32_e32 v1, 0
	s_waitcnt lgkmcnt(0)
	s_ashr_i32 s3, s4, 31
	s_add_u32 s0, s30, s0
	s_addc_u32 s1, s31, s1
	s_load_dwordx2 s[0:1], s[0:1], 0x0
	s_mov_b32 s2, s4
	s_lshl_b64 s[2:3], s[2:3], 3
	v_lshlrev_b32_e32 v34, 3, v0
	v_mov_b32_e32 v35, v1
	s_waitcnt lgkmcnt(0)
	s_add_u32 s0, s0, s2
	s_addc_u32 s1, s1, s3
	v_lshl_add_u64 v[66:67], s[0:1], 0, v[34:35]
	s_ashr_i32 s3, s5, 31
	s_mov_b32 s2, s5
	v_lshl_add_u64 v[68:69], s[2:3], 3, v[66:67]
	s_add_i32 s2, s5, s5
	v_add_u32_e32 v2, s2, v0
	v_add_u32_e32 v10, s5, v2
	v_ashrrev_i32_e32 v11, 31, v10
	v_lshl_add_u64 v[72:73], v[10:11], 3, s[0:1]
	v_add_u32_e32 v10, s5, v10
	v_ashrrev_i32_e32 v11, 31, v10
	v_lshl_add_u64 v[74:75], v[10:11], 3, s[0:1]
	;; [unrolled: 3-line block ×3, first 2 shown]
	v_add_u32_e32 v10, s5, v10
	v_add_u32_e32 v18, s5, v10
	v_ashrrev_i32_e32 v19, 31, v18
	v_lshl_add_u64 v[80:81], v[18:19], 3, s[0:1]
	v_add_u32_e32 v18, s5, v18
	v_ashrrev_i32_e32 v19, 31, v18
	v_lshl_add_u64 v[82:83], v[18:19], 3, s[0:1]
	;; [unrolled: 3-line block ×3, first 2 shown]
	v_add_u32_e32 v18, s5, v18
	v_add_u32_e32 v26, s5, v18
	v_ashrrev_i32_e32 v27, 31, v26
	v_lshl_add_u64 v[88:89], v[26:27], 3, s[0:1]
	v_add_u32_e32 v26, s5, v26
	v_ashrrev_i32_e32 v27, 31, v26
	v_lshl_add_u64 v[90:91], v[26:27], 3, s[0:1]
	v_add_u32_e32 v26, s5, v26
	v_ashrrev_i32_e32 v27, 31, v26
	v_ashrrev_i32_e32 v3, 31, v2
	;; [unrolled: 1-line block ×4, first 2 shown]
	v_lshl_add_u64 v[92:93], v[26:27], 3, s[0:1]
	v_add_u32_e32 v26, s5, v26
	v_lshl_add_u64 v[70:71], v[2:3], 3, s[0:1]
	flat_load_dwordx2 v[2:3], v[66:67]
	flat_load_dwordx2 v[4:5], v[68:69]
	flat_load_dwordx2 v[6:7], v[70:71]
	flat_load_dwordx2 v[8:9], v[72:73]
	v_lshl_add_u64 v[78:79], v[10:11], 3, s[0:1]
	flat_load_dwordx2 v[10:11], v[74:75]
	flat_load_dwordx2 v[12:13], v[76:77]
	flat_load_dwordx2 v[14:15], v[78:79]
	flat_load_dwordx2 v[16:17], v[80:81]
	;; [unrolled: 5-line block ×3, first 2 shown]
	v_ashrrev_i32_e32 v27, 31, v26
	v_lshl_add_u64 v[94:95], v[26:27], 3, s[0:1]
	flat_load_dwordx2 v[26:27], v[90:91]
	flat_load_dwordx2 v[28:29], v[92:93]
	;; [unrolled: 1-line block ×3, first 2 shown]
	s_cmpk_lg_i32 s29, 0x84
	s_cselect_b64 s[30:31], -1, 0
	s_cmpk_eq_i32 s29, 0x84
	v_mov_b64_e32 v[36:37], -1.0
	s_cbranch_scc1 .LBB78_3
; %bb.2:
	v_cmp_eq_u32_e64 s[0:1], 1, v0
	v_cmp_eq_u32_e64 s[2:3], 2, v0
	v_cmp_eq_u32_e64 s[4:5], 3, v0
	s_waitcnt vmcnt(0) lgkmcnt(0)
	v_cndmask_b32_e64 v32, v3, v5, s[0:1]
	v_cndmask_b32_e64 v32, v32, v7, s[2:3]
	v_cndmask_b32_e64 v32, v32, v9, s[4:5]
	v_cmp_eq_u32_e64 s[6:7], 4, v0
	v_cmp_eq_u32_e64 s[8:9], 5, v0
	v_cmp_eq_u32_e64 s[10:11], 6, v0
	v_cndmask_b32_e64 v32, v32, v11, s[6:7]
	v_cndmask_b32_e64 v32, v32, v13, s[8:9]
	v_cndmask_b32_e64 v32, v32, v15, s[10:11]
	v_cmp_eq_u32_e64 s[12:13], 7, v0
	v_cmp_eq_u32_e64 s[14:15], 8, v0
	v_cmp_eq_u32_e64 s[16:17], 9, v0
	;; [unrolled: 6-line block ×3, first 2 shown]
	v_cndmask_b32_e64 v32, v32, v23, s[18:19]
	v_cndmask_b32_e64 v32, v32, v25, s[20:21]
	;; [unrolled: 1-line block ×3, first 2 shown]
	v_cmp_eq_u32_e64 s[24:25], 13, v0
	v_cmp_eq_u32_e64 s[26:27], 14, v0
	s_nop 0
	v_cndmask_b32_e64 v32, v32, v29, s[24:25]
	v_cndmask_b32_e64 v33, v32, v31, s[26:27]
	;; [unrolled: 1-line block ×16, first 2 shown]
	v_div_scale_f64 v[36:37], s[34:35], v[32:33], v[32:33], 1.0
	v_rcp_f64_e32 v[38:39], v[36:37]
	s_nop 0
	v_fma_f64 v[40:41], -v[36:37], v[38:39], 1.0
	v_fmac_f64_e32 v[38:39], v[38:39], v[40:41]
	v_fma_f64 v[40:41], -v[36:37], v[38:39], 1.0
	v_fmac_f64_e32 v[38:39], v[38:39], v[40:41]
	v_div_scale_f64 v[40:41], vcc, 1.0, v[32:33], 1.0
	v_mul_f64 v[42:43], v[40:41], v[38:39]
	v_fma_f64 v[36:37], -v[36:37], v[42:43], v[40:41]
	s_nop 1
	v_div_fmas_f64 v[36:37], v[36:37], v[38:39], v[42:43]
	v_div_fixup_f64 v[36:37], v[36:37], v[32:33], 1.0
	v_cmp_eq_u32_e32 vcc, 0, v0
	v_cndmask_b32_e64 v31, v31, v37, s[26:27]
	v_cndmask_b32_e64 v30, v30, v36, s[26:27]
	;; [unrolled: 1-line block ×28, first 2 shown]
	v_cndmask_b32_e32 v3, v3, v37, vcc
	v_cndmask_b32_e32 v2, v2, v36, vcc
	v_xor_b32_e32 v37, 0x80000000, v37
.LBB78_3:
	s_cmpk_eq_i32 s28, 0x79
	v_add_u32_e32 v101, 0x80, v34
	ds_write_b64 v34, v[36:37]
	s_cbranch_scc1 .LBB78_7
; %bb.4:
	s_waitcnt vmcnt(0) lgkmcnt(0)
	v_mov_b64_e32 v[64:65], v[32:33]
	v_cmp_eq_u32_e64 s[0:1], 14, v0
	v_mov_b64_e32 v[62:63], v[30:31]
	v_mov_b64_e32 v[60:61], v[28:29]
	;; [unrolled: 1-line block ×15, first 2 shown]
	ds_write_b64 v101, v[28:29]
	s_waitcnt lgkmcnt(0)
	; wave barrier
	s_and_saveexec_b64 s[28:29], s[0:1]
	s_cbranch_execz .LBB78_11
; %bb.5:
	s_and_b64 vcc, exec, s[30:31]
	s_cbranch_vccz .LBB78_8
; %bb.6:
	v_cmp_eq_u32_e32 vcc, 1, v0
	v_cmp_eq_u32_e64 s[2:3], 2, v0
	v_cmp_eq_u32_e64 s[4:5], 3, v0
	v_cndmask_b32_e32 v34, v3, v5, vcc
	v_cndmask_b32_e64 v34, v34, v7, s[2:3]
	v_cndmask_b32_e64 v34, v34, v9, s[4:5]
	v_cmp_eq_u32_e64 s[6:7], 4, v0
	v_cmp_eq_u32_e64 s[8:9], 5, v0
	v_cmp_eq_u32_e64 s[10:11], 6, v0
	v_cndmask_b32_e64 v34, v34, v11, s[6:7]
	v_cndmask_b32_e64 v34, v34, v13, s[8:9]
	v_cndmask_b32_e64 v34, v34, v15, s[10:11]
	v_cmp_eq_u32_e64 s[12:13], 7, v0
	v_cmp_eq_u32_e64 s[14:15], 8, v0
	v_cmp_eq_u32_e64 s[16:17], 9, v0
	v_cndmask_b32_e64 v34, v34, v17, s[12:13]
	;; [unrolled: 6-line block ×3, first 2 shown]
	v_cndmask_b32_e64 v34, v34, v25, s[20:21]
	v_cndmask_b32_e64 v34, v34, v27, s[22:23]
	v_cmp_eq_u32_e64 s[24:25], 13, v0
	v_cmp_eq_u32_e64 s[26:27], 14, v0
	ds_read_b64 v[36:37], v101
	v_cndmask_b32_e64 v34, v34, v29, s[24:25]
	v_cndmask_b32_e64 v35, v34, v31, s[26:27]
	v_cndmask_b32_e32 v34, v2, v4, vcc
	v_cndmask_b32_e64 v34, v34, v6, s[2:3]
	v_cndmask_b32_e64 v34, v34, v8, s[4:5]
	;; [unrolled: 1-line block ×13, first 2 shown]
	s_waitcnt lgkmcnt(0)
	v_mul_f64 v[38:39], v[34:35], v[36:37]
	s_cbranch_execz .LBB78_9
	s_branch .LBB78_10
.LBB78_7:
                                        ; implicit-def: $vgpr34_vgpr35_vgpr36_vgpr37_vgpr38_vgpr39_vgpr40_vgpr41_vgpr42_vgpr43_vgpr44_vgpr45_vgpr46_vgpr47_vgpr48_vgpr49_vgpr50_vgpr51_vgpr52_vgpr53_vgpr54_vgpr55_vgpr56_vgpr57_vgpr58_vgpr59_vgpr60_vgpr61_vgpr62_vgpr63_vgpr64_vgpr65
	s_cbranch_execnz .LBB78_210
	s_branch .LBB78_353
.LBB78_8:
                                        ; implicit-def: $vgpr38_vgpr39
.LBB78_9:
	ds_read_b64 v[38:39], v101
.LBB78_10:
	v_mov_b32_e32 v34, 0
	ds_read_b64 v[40:41], v34 offset:104
	v_mov_b32_e32 v34, v2
	v_mov_b32_e32 v35, v3
	;; [unrolled: 1-line block ×4, first 2 shown]
	s_waitcnt lgkmcnt(0)
	v_mul_f64 v[60:61], v[38:39], v[40:41]
	v_mov_b32_e32 v38, v6
	v_mov_b32_e32 v39, v7
	;; [unrolled: 1-line block ×24, first 2 shown]
.LBB78_11:
	s_or_b64 exec, exec, s[28:29]
	v_cmp_lt_u32_e64 s[2:3], 12, v0
	ds_write_b64 v101, v[58:59]
	s_waitcnt lgkmcnt(0)
	; wave barrier
	s_and_saveexec_b64 s[34:35], s[2:3]
	s_cbranch_execz .LBB78_17
; %bb.12:
	s_andn2_b64 vcc, exec, s[30:31]
	s_cbranch_vccnz .LBB78_14
; %bb.13:
	v_cmp_eq_u32_e32 vcc, 1, v0
	v_cmp_eq_u32_e64 s[4:5], 2, v0
	v_cmp_eq_u32_e64 s[6:7], 3, v0
	v_cndmask_b32_e32 v64, v35, v37, vcc
	v_cndmask_b32_e64 v64, v64, v39, s[4:5]
	v_cndmask_b32_e64 v64, v64, v41, s[6:7]
	v_cmp_eq_u32_e64 s[8:9], 4, v0
	v_cmp_eq_u32_e64 s[10:11], 5, v0
	v_cmp_eq_u32_e64 s[12:13], 6, v0
	v_cndmask_b32_e64 v64, v64, v43, s[8:9]
	v_cndmask_b32_e64 v64, v64, v45, s[10:11]
	v_cndmask_b32_e64 v64, v64, v47, s[12:13]
	v_cmp_eq_u32_e64 s[14:15], 7, v0
	v_cmp_eq_u32_e64 s[16:17], 8, v0
	v_cmp_eq_u32_e64 s[18:19], 9, v0
	v_cndmask_b32_e64 v64, v64, v49, s[14:15]
	;; [unrolled: 6-line block ×3, first 2 shown]
	v_cndmask_b32_e64 v64, v64, v57, s[22:23]
	v_cndmask_b32_e64 v59, v64, v59, s[24:25]
	v_cndmask_b32_e32 v64, v34, v36, vcc
	v_cndmask_b32_e64 v64, v64, v38, s[4:5]
	v_cndmask_b32_e64 v64, v64, v40, s[6:7]
	;; [unrolled: 1-line block ×9, first 2 shown]
	ds_read_b64 v[64:65], v101
	v_cndmask_b32_e64 v96, v96, v56, s[22:23]
	v_cmp_eq_u32_e64 s[26:27], 13, v0
	v_cndmask_b32_e64 v58, v96, v58, s[24:25]
	v_cmp_eq_u32_e64 s[28:29], 14, v0
	v_cndmask_b32_e64 v59, v59, v61, s[26:27]
	v_cndmask_b32_e64 v58, v58, v60, s[26:27]
	;; [unrolled: 1-line block ×4, first 2 shown]
	s_waitcnt lgkmcnt(0)
	v_mul_f64 v[58:59], v[58:59], v[64:65]
	s_cbranch_execz .LBB78_15
	s_branch .LBB78_16
.LBB78_14:
                                        ; implicit-def: $vgpr58_vgpr59
.LBB78_15:
	ds_read_b64 v[58:59], v101
.LBB78_16:
	v_mov_b32_e32 v64, 0
	ds_read2_b64 v[96:99], v64 offset0:12 offset1:29
	s_waitcnt lgkmcnt(0)
	v_fma_f64 v[64:65], v[60:61], v[98:99], v[58:59]
	v_cndmask_b32_e64 v59, v59, v65, s[0:1]
	v_cndmask_b32_e64 v58, v58, v64, s[0:1]
	v_mul_f64 v[58:59], v[58:59], v[96:97]
.LBB78_17:
	s_or_b64 exec, exec, s[34:35]
	v_cmp_lt_u32_e64 s[0:1], 11, v0
	ds_write_b64 v101, v[56:57]
	s_waitcnt lgkmcnt(0)
	; wave barrier
	s_and_saveexec_b64 s[34:35], s[0:1]
	s_cbranch_execz .LBB78_33
; %bb.18:
	s_andn2_b64 vcc, exec, s[30:31]
	s_cbranch_vccnz .LBB78_20
; %bb.19:
	v_cmp_eq_u32_e32 vcc, 1, v0
	v_cmp_eq_u32_e64 s[4:5], 2, v0
	v_cmp_eq_u32_e64 s[6:7], 3, v0
	v_cndmask_b32_e32 v96, v35, v37, vcc
	v_cndmask_b32_e64 v96, v96, v39, s[4:5]
	v_cndmask_b32_e64 v96, v96, v41, s[6:7]
	v_cmp_eq_u32_e64 s[8:9], 4, v0
	v_cmp_eq_u32_e64 s[10:11], 5, v0
	v_cmp_eq_u32_e64 s[12:13], 6, v0
	v_cndmask_b32_e64 v96, v96, v43, s[8:9]
	v_cndmask_b32_e64 v96, v96, v45, s[10:11]
	v_cndmask_b32_e64 v96, v96, v47, s[12:13]
	v_cmp_eq_u32_e64 s[14:15], 7, v0
	v_cmp_eq_u32_e64 s[16:17], 8, v0
	v_cmp_eq_u32_e64 s[18:19], 9, v0
	v_cndmask_b32_e64 v96, v96, v49, s[14:15]
	;; [unrolled: 6-line block ×3, first 2 shown]
	v_cndmask_b32_e64 v96, v96, v57, s[22:23]
	v_cndmask_b32_e64 v96, v96, v59, s[24:25]
	v_cmp_eq_u32_e64 s[26:27], 13, v0
	v_cmp_eq_u32_e64 s[28:29], 14, v0
	ds_read_b64 v[98:99], v101
	v_cndmask_b32_e64 v96, v96, v61, s[26:27]
	v_cndmask_b32_e64 v97, v96, v63, s[28:29]
	v_cndmask_b32_e32 v96, v34, v36, vcc
	v_cndmask_b32_e64 v96, v96, v38, s[4:5]
	v_cndmask_b32_e64 v96, v96, v40, s[6:7]
	v_cndmask_b32_e64 v96, v96, v42, s[8:9]
	v_cndmask_b32_e64 v96, v96, v44, s[10:11]
	v_cndmask_b32_e64 v96, v96, v46, s[12:13]
	v_cndmask_b32_e64 v96, v96, v48, s[14:15]
	v_cndmask_b32_e64 v96, v96, v50, s[16:17]
	v_cndmask_b32_e64 v96, v96, v52, s[18:19]
	v_cndmask_b32_e64 v96, v96, v54, s[20:21]
	v_cndmask_b32_e64 v96, v96, v56, s[22:23]
	v_cndmask_b32_e64 v96, v96, v58, s[24:25]
	v_cndmask_b32_e64 v96, v96, v60, s[26:27]
	v_cndmask_b32_e64 v96, v96, v62, s[28:29]
	s_waitcnt lgkmcnt(0)
	v_mul_f64 v[96:97], v[96:97], v[98:99]
	s_cbranch_execz .LBB78_21
	s_branch .LBB78_22
.LBB78_20:
                                        ; implicit-def: $vgpr96_vgpr97
.LBB78_21:
	ds_read_b64 v[96:97], v101
.LBB78_22:
	s_and_saveexec_b64 s[6:7], s[2:3]
	s_cbranch_execz .LBB78_32
; %bb.23:
	v_add_u32_e32 v98, -13, v0
	v_add_u32_e32 v99, -12, v0
	v_cmp_lt_u32_e32 vcc, 6, v98
	v_mov_b32_e32 v98, 12
	s_and_saveexec_b64 s[2:3], vcc
	s_cbranch_execz .LBB78_27
; %bb.24:
	v_and_b32_e32 v98, -8, v99
	v_sub_u32_e32 v100, 0, v98
	s_mov_b64 s[4:5], 19
	s_movk_i32 s10, 0xe0
	s_mov_b64 s[8:9], 0
.LBB78_25:                              ; =>This Inner Loop Header: Depth=1
	s_lshl_b32 s11, s4, 1
	s_add_i32 s12, s11, -13
	s_add_i32 s13, s11, -14
	s_set_gpr_idx_on s12, gpr_idx(SRC0)
	v_mov_b32_e32 v119, v34
	s_set_gpr_idx_off
	v_mov_b32_e32 v98, s10
	s_add_i32 s14, s11, -11
	s_set_gpr_idx_on s13, gpr_idx(SRC0)
	v_mov_b32_e32 v118, v34
	s_set_gpr_idx_off
	s_add_i32 s15, s11, -12
	ds_read_b128 v[102:105], v98
	ds_read_b128 v[106:109], v98 offset:16
	ds_read_b128 v[110:113], v98 offset:32
	;; [unrolled: 1-line block ×3, first 2 shown]
	s_set_gpr_idx_on s14, gpr_idx(SRC0)
	v_mov_b32_e32 v121, v34
	s_set_gpr_idx_off
	s_add_i32 s16, s11, -9
	s_set_gpr_idx_on s15, gpr_idx(SRC0)
	v_mov_b32_e32 v120, v34
	s_set_gpr_idx_off
	s_add_i32 s17, s11, -10
	;; [unrolled: 4-line block ×4, first 2 shown]
	s_waitcnt lgkmcnt(3)
	v_fmac_f64_e32 v[96:97], v[118:119], v[102:103]
	s_set_gpr_idx_on s18, gpr_idx(SRC0)
	v_mov_b32_e32 v103, v34
	s_set_gpr_idx_off
	s_add_i32 s20, s11, -5
	v_fmac_f64_e32 v[96:97], v[120:121], v[104:105]
	s_set_gpr_idx_on s19, gpr_idx(SRC0)
	v_mov_b32_e32 v102, v34
	s_set_gpr_idx_off
	s_add_i32 s21, s11, -6
	s_waitcnt lgkmcnt(2)
	v_fmac_f64_e32 v[96:97], v[122:123], v[106:107]
	s_set_gpr_idx_on s20, gpr_idx(SRC0)
	v_mov_b32_e32 v105, v34
	s_set_gpr_idx_off
	s_add_i32 s22, s11, -3
	v_fmac_f64_e32 v[96:97], v[102:103], v[108:109]
	s_set_gpr_idx_on s21, gpr_idx(SRC0)
	v_mov_b32_e32 v104, v34
	s_set_gpr_idx_off
	s_add_i32 s23, s11, -4
	s_waitcnt lgkmcnt(1)
	v_fmac_f64_e32 v[96:97], v[104:105], v[110:111]
	s_set_gpr_idx_on s22, gpr_idx(SRC0)
	v_mov_b32_e32 v103, v34
	s_set_gpr_idx_off
	s_add_i32 s24, s11, -1
	s_set_gpr_idx_on s23, gpr_idx(SRC0)
	v_mov_b32_e32 v102, v34
	s_set_gpr_idx_off
	s_add_i32 s25, s11, -2
	v_fmac_f64_e32 v[96:97], v[102:103], v[112:113]
	s_set_gpr_idx_on s24, gpr_idx(SRC0)
	v_mov_b32_e32 v103, v34
	s_set_gpr_idx_off
	s_add_u32 s4, s4, 8
	s_set_gpr_idx_on s25, gpr_idx(SRC0)
	v_mov_b32_e32 v102, v34
	s_set_gpr_idx_off
	v_add_u32_e32 v98, s4, v100
	s_waitcnt lgkmcnt(0)
	v_fmac_f64_e32 v[96:97], v[102:103], v[114:115]
	s_set_gpr_idx_on s11, gpr_idx(SRC0)
	v_mov_b32_e32 v103, v35
	s_set_gpr_idx_off
	s_addc_u32 s5, s5, 0
	s_add_i32 s10, s10, 64
	s_add_i32 s12, s4, -7
	v_cmp_eq_u32_e32 vcc, 19, v98
	s_set_gpr_idx_on s11, gpr_idx(SRC0)
	v_mov_b32_e32 v102, v34
	s_set_gpr_idx_off
	v_mov_b32_e32 v98, s12
	s_or_b64 s[8:9], vcc, s[8:9]
	v_fmac_f64_e32 v[96:97], v[102:103], v[116:117]
	s_andn2_b64 exec, exec, s[8:9]
	s_cbranch_execnz .LBB78_25
; %bb.26:
	s_or_b64 exec, exec, s[8:9]
.LBB78_27:
	s_or_b64 exec, exec, s[2:3]
	v_and_b32_e32 v64, 7, v99
	v_cmp_ne_u32_e32 vcc, 0, v64
	s_and_saveexec_b64 s[8:9], vcc
	s_cbranch_execz .LBB78_31
; %bb.28:
	v_mov_b32_e32 v65, 0x80
	v_lshl_add_u32 v65, v98, 3, v65
	v_mov_b32_e32 v99, 0
	s_mov_b64 s[10:11], 0
.LBB78_29:                              ; =>This Inner Loop Header: Depth=1
	v_cmp_eq_u32_e32 vcc, 1, v98
	v_add_u32_e32 v64, -1, v64
	v_cmp_eq_u32_e64 s[2:3], 2, v98
	v_cndmask_b32_e32 v100, v35, v37, vcc
	v_cndmask_b32_e32 v104, v34, v36, vcc
	v_cndmask_b32_e64 v100, v100, v39, s[2:3]
	v_cmp_eq_u32_e32 vcc, 0, v64
	v_cmp_eq_u32_e64 s[4:5], 3, v98
	v_cndmask_b32_e64 v104, v104, v38, s[2:3]
	s_or_b64 s[10:11], vcc, s[10:11]
	v_cndmask_b32_e64 v100, v100, v41, s[4:5]
	v_cmp_eq_u32_e32 vcc, 4, v98
	v_cndmask_b32_e64 v104, v104, v40, s[4:5]
	v_cmp_eq_u32_e64 s[2:3], 5, v98
	v_cndmask_b32_e32 v100, v100, v43, vcc
	v_cndmask_b32_e32 v104, v104, v42, vcc
	v_cndmask_b32_e64 v100, v100, v45, s[2:3]
	v_cmp_eq_u32_e32 vcc, 6, v98
	v_cndmask_b32_e64 v104, v104, v44, s[2:3]
	v_cmp_eq_u32_e64 s[2:3], 7, v98
	v_cndmask_b32_e32 v100, v100, v47, vcc
	v_cndmask_b32_e32 v104, v104, v46, vcc
	;; [unrolled: 6-line block ×3, first 2 shown]
	v_cndmask_b32_e64 v100, v100, v53, s[2:3]
	v_cmp_eq_u32_e32 vcc, 10, v98
	v_cndmask_b32_e64 v104, v104, v52, s[2:3]
	v_cmp_eq_u32_e64 s[2:3], 11, v98
	v_cndmask_b32_e32 v100, v100, v55, vcc
	ds_read_b64 v[102:103], v65
	v_cndmask_b32_e64 v100, v100, v57, s[2:3]
	v_cndmask_b32_e32 v104, v104, v54, vcc
	v_cmp_eq_u32_e32 vcc, 12, v98
	v_cndmask_b32_e64 v104, v104, v56, s[2:3]
	v_cmp_eq_u32_e64 s[2:3], 13, v98
	v_cndmask_b32_e32 v100, v100, v59, vcc
	v_cmp_eq_u32_e64 s[4:5], 14, v98
	v_cndmask_b32_e64 v100, v100, v61, s[2:3]
	v_cndmask_b32_e32 v104, v104, v58, vcc
	v_cndmask_b32_e64 v105, v100, v63, s[4:5]
	v_cndmask_b32_e64 v100, v104, v60, s[2:3]
	;; [unrolled: 1-line block ×3, first 2 shown]
	v_add_u32_e32 v65, 8, v65
	v_lshl_add_u64 v[98:99], v[98:99], 0, 1
	s_waitcnt lgkmcnt(0)
	v_fmac_f64_e32 v[96:97], v[104:105], v[102:103]
	s_andn2_b64 exec, exec, s[10:11]
	s_cbranch_execnz .LBB78_29
; %bb.30:
	s_or_b64 exec, exec, s[10:11]
.LBB78_31:
	s_or_b64 exec, exec, s[8:9]
.LBB78_32:
	s_or_b64 exec, exec, s[6:7]
	v_mov_b32_e32 v56, 0
	ds_read_b64 v[56:57], v56 offset:88
	s_waitcnt lgkmcnt(0)
	v_mul_f64 v[56:57], v[96:97], v[56:57]
.LBB78_33:
	s_or_b64 exec, exec, s[34:35]
	v_cmp_lt_u32_e64 s[2:3], 10, v0
	ds_write_b64 v101, v[54:55]
	s_waitcnt lgkmcnt(0)
	; wave barrier
	s_and_saveexec_b64 s[34:35], s[2:3]
	s_cbranch_execz .LBB78_49
; %bb.34:
	s_andn2_b64 vcc, exec, s[30:31]
	s_cbranch_vccnz .LBB78_36
; %bb.35:
	v_cmp_eq_u32_e32 vcc, 1, v0
	v_cmp_eq_u32_e64 s[4:5], 2, v0
	v_cmp_eq_u32_e64 s[6:7], 3, v0
	v_cndmask_b32_e32 v96, v35, v37, vcc
	v_cndmask_b32_e64 v96, v96, v39, s[4:5]
	v_cndmask_b32_e64 v96, v96, v41, s[6:7]
	v_cmp_eq_u32_e64 s[8:9], 4, v0
	v_cmp_eq_u32_e64 s[10:11], 5, v0
	v_cmp_eq_u32_e64 s[12:13], 6, v0
	v_cndmask_b32_e64 v96, v96, v43, s[8:9]
	v_cndmask_b32_e64 v96, v96, v45, s[10:11]
	v_cndmask_b32_e64 v96, v96, v47, s[12:13]
	v_cmp_eq_u32_e64 s[14:15], 7, v0
	v_cmp_eq_u32_e64 s[16:17], 8, v0
	v_cmp_eq_u32_e64 s[18:19], 9, v0
	v_cndmask_b32_e64 v96, v96, v49, s[14:15]
	;; [unrolled: 6-line block ×3, first 2 shown]
	v_cndmask_b32_e64 v96, v96, v57, s[22:23]
	v_cndmask_b32_e64 v96, v96, v59, s[24:25]
	v_cmp_eq_u32_e64 s[26:27], 13, v0
	v_cmp_eq_u32_e64 s[28:29], 14, v0
	ds_read_b64 v[98:99], v101
	v_cndmask_b32_e64 v96, v96, v61, s[26:27]
	v_cndmask_b32_e64 v97, v96, v63, s[28:29]
	v_cndmask_b32_e32 v96, v34, v36, vcc
	v_cndmask_b32_e64 v96, v96, v38, s[4:5]
	v_cndmask_b32_e64 v96, v96, v40, s[6:7]
	;; [unrolled: 1-line block ×13, first 2 shown]
	s_waitcnt lgkmcnt(0)
	v_mul_f64 v[96:97], v[96:97], v[98:99]
	s_cbranch_execz .LBB78_37
	s_branch .LBB78_38
.LBB78_36:
                                        ; implicit-def: $vgpr96_vgpr97
.LBB78_37:
	ds_read_b64 v[96:97], v101
.LBB78_38:
	s_and_saveexec_b64 s[6:7], s[0:1]
	s_cbranch_execz .LBB78_48
; %bb.39:
	v_add_u32_e32 v98, -12, v0
	v_add_u32_e32 v99, -11, v0
	v_cmp_lt_u32_e32 vcc, 6, v98
	v_mov_b32_e32 v98, 11
	s_and_saveexec_b64 s[0:1], vcc
	s_cbranch_execz .LBB78_43
; %bb.40:
	v_and_b32_e32 v98, -8, v99
	v_sub_u32_e32 v100, 0, v98
	s_mov_b64 s[4:5], 18
	s_movk_i32 s10, 0xd8
	s_mov_b64 s[8:9], 0
.LBB78_41:                              ; =>This Inner Loop Header: Depth=1
	s_lshl_b32 s11, s4, 1
	s_add_i32 s12, s11, -13
	v_mov_b32_e32 v116, s10
	s_add_i32 s13, s11, -14
	s_set_gpr_idx_on s12, gpr_idx(SRC0)
	v_mov_b32_e32 v111, v34
	s_set_gpr_idx_off
	s_add_i32 s14, s11, -11
	s_set_gpr_idx_on s13, gpr_idx(SRC0)
	v_mov_b32_e32 v110, v34
	s_set_gpr_idx_off
	ds_read2_b64 v[102:105], v116 offset1:1
	s_add_i32 s15, s11, -12
	s_set_gpr_idx_on s14, gpr_idx(SRC0)
	v_mov_b32_e32 v113, v34
	s_set_gpr_idx_off
	s_add_i32 s16, s11, -9
	s_set_gpr_idx_on s15, gpr_idx(SRC0)
	v_mov_b32_e32 v112, v34
	s_set_gpr_idx_off
	;; [unrolled: 4-line block ×4, first 2 shown]
	ds_read2_b64 v[106:109], v116 offset0:2 offset1:3
	s_add_i32 s19, s11, -8
	s_waitcnt lgkmcnt(1)
	v_fmac_f64_e32 v[96:97], v[110:111], v[102:103]
	s_set_gpr_idx_on s18, gpr_idx(SRC0)
	v_mov_b32_e32 v111, v34
	s_set_gpr_idx_off
	s_add_i32 s20, s11, -5
	v_fmac_f64_e32 v[96:97], v[112:113], v[104:105]
	s_set_gpr_idx_on s19, gpr_idx(SRC0)
	v_mov_b32_e32 v110, v34
	s_set_gpr_idx_off
	s_add_i32 s21, s11, -6
	s_set_gpr_idx_on s20, gpr_idx(SRC0)
	v_mov_b32_e32 v113, v34
	s_set_gpr_idx_off
	s_add_i32 s22, s11, -3
	;; [unrolled: 4-line block ×3, first 2 shown]
	ds_read2_b64 v[102:105], v116 offset0:4 offset1:5
	s_waitcnt lgkmcnt(1)
	v_fmac_f64_e32 v[96:97], v[114:115], v[106:107]
	s_set_gpr_idx_on s22, gpr_idx(SRC0)
	v_mov_b32_e32 v115, v34
	s_set_gpr_idx_off
	s_add_i32 s24, s11, -1
	v_fmac_f64_e32 v[96:97], v[110:111], v[108:109]
	s_set_gpr_idx_on s23, gpr_idx(SRC0)
	v_mov_b32_e32 v114, v34
	s_set_gpr_idx_off
	s_add_i32 s25, s11, -2
	s_set_gpr_idx_on s24, gpr_idx(SRC0)
	v_mov_b32_e32 v111, v34
	s_set_gpr_idx_off
	s_set_gpr_idx_on s25, gpr_idx(SRC0)
	v_mov_b32_e32 v110, v34
	s_set_gpr_idx_off
	ds_read2_b64 v[106:109], v116 offset0:6 offset1:7
	s_add_u32 s4, s4, 8
	s_waitcnt lgkmcnt(1)
	v_fmac_f64_e32 v[96:97], v[112:113], v[102:103]
	s_set_gpr_idx_on s11, gpr_idx(SRC0)
	v_mov_b32_e32 v103, v35
	s_set_gpr_idx_off
	v_add_u32_e32 v98, s4, v100
	v_fmac_f64_e32 v[96:97], v[114:115], v[104:105]
	s_set_gpr_idx_on s11, gpr_idx(SRC0)
	v_mov_b32_e32 v102, v34
	s_set_gpr_idx_off
	s_addc_u32 s5, s5, 0
	s_add_i32 s10, s10, 64
	s_add_i32 s12, s4, -7
	v_cmp_eq_u32_e32 vcc, 18, v98
	s_waitcnt lgkmcnt(0)
	v_fmac_f64_e32 v[96:97], v[110:111], v[106:107]
	v_mov_b32_e32 v98, s12
	s_or_b64 s[8:9], vcc, s[8:9]
	v_fmac_f64_e32 v[96:97], v[102:103], v[108:109]
	s_andn2_b64 exec, exec, s[8:9]
	s_cbranch_execnz .LBB78_41
; %bb.42:
	s_or_b64 exec, exec, s[8:9]
.LBB78_43:
	s_or_b64 exec, exec, s[0:1]
	v_and_b32_e32 v64, 7, v99
	v_cmp_ne_u32_e32 vcc, 0, v64
	s_and_saveexec_b64 s[8:9], vcc
	s_cbranch_execz .LBB78_47
; %bb.44:
	v_mov_b32_e32 v65, 0x80
	v_lshl_add_u32 v65, v98, 3, v65
	v_mov_b32_e32 v99, 0
	s_mov_b64 s[10:11], 0
.LBB78_45:                              ; =>This Inner Loop Header: Depth=1
	v_cmp_eq_u32_e32 vcc, 1, v98
	v_add_u32_e32 v64, -1, v64
	v_cmp_eq_u32_e64 s[0:1], 2, v98
	v_cndmask_b32_e32 v100, v35, v37, vcc
	v_cndmask_b32_e32 v104, v34, v36, vcc
	v_cndmask_b32_e64 v100, v100, v39, s[0:1]
	v_cmp_eq_u32_e32 vcc, 0, v64
	v_cmp_eq_u32_e64 s[4:5], 3, v98
	v_cndmask_b32_e64 v104, v104, v38, s[0:1]
	s_or_b64 s[10:11], vcc, s[10:11]
	v_cndmask_b32_e64 v100, v100, v41, s[4:5]
	v_cmp_eq_u32_e32 vcc, 4, v98
	v_cndmask_b32_e64 v104, v104, v40, s[4:5]
	v_cmp_eq_u32_e64 s[0:1], 5, v98
	v_cndmask_b32_e32 v100, v100, v43, vcc
	v_cndmask_b32_e32 v104, v104, v42, vcc
	v_cndmask_b32_e64 v100, v100, v45, s[0:1]
	v_cmp_eq_u32_e32 vcc, 6, v98
	v_cndmask_b32_e64 v104, v104, v44, s[0:1]
	v_cmp_eq_u32_e64 s[0:1], 7, v98
	v_cndmask_b32_e32 v100, v100, v47, vcc
	v_cndmask_b32_e32 v104, v104, v46, vcc
	;; [unrolled: 6-line block ×3, first 2 shown]
	v_cndmask_b32_e64 v100, v100, v53, s[0:1]
	v_cmp_eq_u32_e32 vcc, 10, v98
	v_cndmask_b32_e64 v104, v104, v52, s[0:1]
	v_cmp_eq_u32_e64 s[0:1], 11, v98
	v_cndmask_b32_e32 v100, v100, v55, vcc
	ds_read_b64 v[102:103], v65
	v_cndmask_b32_e64 v100, v100, v57, s[0:1]
	v_cndmask_b32_e32 v104, v104, v54, vcc
	v_cmp_eq_u32_e32 vcc, 12, v98
	v_cndmask_b32_e64 v104, v104, v56, s[0:1]
	v_cmp_eq_u32_e64 s[0:1], 13, v98
	v_cndmask_b32_e32 v100, v100, v59, vcc
	v_cmp_eq_u32_e64 s[4:5], 14, v98
	v_cndmask_b32_e64 v100, v100, v61, s[0:1]
	v_cndmask_b32_e32 v104, v104, v58, vcc
	v_cndmask_b32_e64 v105, v100, v63, s[4:5]
	v_cndmask_b32_e64 v100, v104, v60, s[0:1]
	;; [unrolled: 1-line block ×3, first 2 shown]
	v_add_u32_e32 v65, 8, v65
	v_lshl_add_u64 v[98:99], v[98:99], 0, 1
	s_waitcnt lgkmcnt(0)
	v_fmac_f64_e32 v[96:97], v[104:105], v[102:103]
	s_andn2_b64 exec, exec, s[10:11]
	s_cbranch_execnz .LBB78_45
; %bb.46:
	s_or_b64 exec, exec, s[10:11]
.LBB78_47:
	s_or_b64 exec, exec, s[8:9]
.LBB78_48:
	s_or_b64 exec, exec, s[6:7]
	v_mov_b32_e32 v54, 0
	ds_read_b64 v[54:55], v54 offset:80
	s_waitcnt lgkmcnt(0)
	v_mul_f64 v[54:55], v[96:97], v[54:55]
.LBB78_49:
	s_or_b64 exec, exec, s[34:35]
	v_cmp_lt_u32_e64 s[0:1], 9, v0
	ds_write_b64 v101, v[52:53]
	s_waitcnt lgkmcnt(0)
	; wave barrier
	s_and_saveexec_b64 s[34:35], s[0:1]
	s_cbranch_execz .LBB78_65
; %bb.50:
	s_andn2_b64 vcc, exec, s[30:31]
	s_cbranch_vccnz .LBB78_52
; %bb.51:
	v_cmp_eq_u32_e32 vcc, 1, v0
	v_cmp_eq_u32_e64 s[4:5], 2, v0
	v_cmp_eq_u32_e64 s[6:7], 3, v0
	v_cndmask_b32_e32 v96, v35, v37, vcc
	v_cndmask_b32_e64 v96, v96, v39, s[4:5]
	v_cndmask_b32_e64 v96, v96, v41, s[6:7]
	v_cmp_eq_u32_e64 s[8:9], 4, v0
	v_cmp_eq_u32_e64 s[10:11], 5, v0
	v_cmp_eq_u32_e64 s[12:13], 6, v0
	v_cndmask_b32_e64 v96, v96, v43, s[8:9]
	v_cndmask_b32_e64 v96, v96, v45, s[10:11]
	v_cndmask_b32_e64 v96, v96, v47, s[12:13]
	v_cmp_eq_u32_e64 s[14:15], 7, v0
	v_cmp_eq_u32_e64 s[16:17], 8, v0
	v_cmp_eq_u32_e64 s[18:19], 9, v0
	v_cndmask_b32_e64 v96, v96, v49, s[14:15]
	;; [unrolled: 6-line block ×3, first 2 shown]
	v_cndmask_b32_e64 v96, v96, v57, s[22:23]
	v_cndmask_b32_e64 v96, v96, v59, s[24:25]
	v_cmp_eq_u32_e64 s[26:27], 13, v0
	v_cmp_eq_u32_e64 s[28:29], 14, v0
	ds_read_b64 v[98:99], v101
	v_cndmask_b32_e64 v96, v96, v61, s[26:27]
	v_cndmask_b32_e64 v97, v96, v63, s[28:29]
	v_cndmask_b32_e32 v96, v34, v36, vcc
	v_cndmask_b32_e64 v96, v96, v38, s[4:5]
	v_cndmask_b32_e64 v96, v96, v40, s[6:7]
	v_cndmask_b32_e64 v96, v96, v42, s[8:9]
	v_cndmask_b32_e64 v96, v96, v44, s[10:11]
	v_cndmask_b32_e64 v96, v96, v46, s[12:13]
	v_cndmask_b32_e64 v96, v96, v48, s[14:15]
	v_cndmask_b32_e64 v96, v96, v50, s[16:17]
	v_cndmask_b32_e64 v96, v96, v52, s[18:19]
	v_cndmask_b32_e64 v96, v96, v54, s[20:21]
	v_cndmask_b32_e64 v96, v96, v56, s[22:23]
	v_cndmask_b32_e64 v96, v96, v58, s[24:25]
	v_cndmask_b32_e64 v96, v96, v60, s[26:27]
	v_cndmask_b32_e64 v96, v96, v62, s[28:29]
	s_waitcnt lgkmcnt(0)
	v_mul_f64 v[96:97], v[96:97], v[98:99]
	s_cbranch_execz .LBB78_53
	s_branch .LBB78_54
.LBB78_52:
                                        ; implicit-def: $vgpr96_vgpr97
.LBB78_53:
	ds_read_b64 v[96:97], v101
.LBB78_54:
	s_and_saveexec_b64 s[6:7], s[2:3]
	s_cbranch_execz .LBB78_64
; %bb.55:
	v_add_u32_e32 v98, -11, v0
	v_add_u32_e32 v99, -10, v0
	v_cmp_lt_u32_e32 vcc, 6, v98
	v_mov_b32_e32 v98, 10
	s_and_saveexec_b64 s[2:3], vcc
	s_cbranch_execz .LBB78_59
; %bb.56:
	v_and_b32_e32 v98, -8, v99
	v_sub_u32_e32 v100, 0, v98
	s_mov_b64 s[4:5], 17
	s_movk_i32 s10, 0xd0
	s_mov_b64 s[8:9], 0
.LBB78_57:                              ; =>This Inner Loop Header: Depth=1
	s_lshl_b32 s11, s4, 1
	s_add_i32 s12, s11, -13
	s_add_i32 s13, s11, -14
	s_set_gpr_idx_on s12, gpr_idx(SRC0)
	v_mov_b32_e32 v119, v34
	s_set_gpr_idx_off
	v_mov_b32_e32 v98, s10
	s_add_i32 s14, s11, -11
	s_set_gpr_idx_on s13, gpr_idx(SRC0)
	v_mov_b32_e32 v118, v34
	s_set_gpr_idx_off
	s_add_i32 s15, s11, -12
	ds_read_b128 v[102:105], v98
	ds_read_b128 v[106:109], v98 offset:16
	ds_read_b128 v[110:113], v98 offset:32
	;; [unrolled: 1-line block ×3, first 2 shown]
	s_set_gpr_idx_on s14, gpr_idx(SRC0)
	v_mov_b32_e32 v121, v34
	s_set_gpr_idx_off
	s_add_i32 s16, s11, -9
	s_set_gpr_idx_on s15, gpr_idx(SRC0)
	v_mov_b32_e32 v120, v34
	s_set_gpr_idx_off
	s_add_i32 s17, s11, -10
	;; [unrolled: 4-line block ×4, first 2 shown]
	s_waitcnt lgkmcnt(3)
	v_fmac_f64_e32 v[96:97], v[118:119], v[102:103]
	s_set_gpr_idx_on s18, gpr_idx(SRC0)
	v_mov_b32_e32 v103, v34
	s_set_gpr_idx_off
	s_add_i32 s20, s11, -5
	v_fmac_f64_e32 v[96:97], v[120:121], v[104:105]
	s_set_gpr_idx_on s19, gpr_idx(SRC0)
	v_mov_b32_e32 v102, v34
	s_set_gpr_idx_off
	s_add_i32 s21, s11, -6
	s_waitcnt lgkmcnt(2)
	v_fmac_f64_e32 v[96:97], v[122:123], v[106:107]
	s_set_gpr_idx_on s20, gpr_idx(SRC0)
	v_mov_b32_e32 v105, v34
	s_set_gpr_idx_off
	s_add_i32 s22, s11, -3
	v_fmac_f64_e32 v[96:97], v[102:103], v[108:109]
	s_set_gpr_idx_on s21, gpr_idx(SRC0)
	v_mov_b32_e32 v104, v34
	s_set_gpr_idx_off
	s_add_i32 s23, s11, -4
	s_waitcnt lgkmcnt(1)
	v_fmac_f64_e32 v[96:97], v[104:105], v[110:111]
	s_set_gpr_idx_on s22, gpr_idx(SRC0)
	v_mov_b32_e32 v103, v34
	s_set_gpr_idx_off
	s_add_i32 s24, s11, -1
	s_set_gpr_idx_on s23, gpr_idx(SRC0)
	v_mov_b32_e32 v102, v34
	s_set_gpr_idx_off
	s_add_i32 s25, s11, -2
	v_fmac_f64_e32 v[96:97], v[102:103], v[112:113]
	s_set_gpr_idx_on s24, gpr_idx(SRC0)
	v_mov_b32_e32 v103, v34
	s_set_gpr_idx_off
	s_add_u32 s4, s4, 8
	s_set_gpr_idx_on s25, gpr_idx(SRC0)
	v_mov_b32_e32 v102, v34
	s_set_gpr_idx_off
	v_add_u32_e32 v98, s4, v100
	s_waitcnt lgkmcnt(0)
	v_fmac_f64_e32 v[96:97], v[102:103], v[114:115]
	s_set_gpr_idx_on s11, gpr_idx(SRC0)
	v_mov_b32_e32 v103, v35
	s_set_gpr_idx_off
	s_addc_u32 s5, s5, 0
	s_add_i32 s10, s10, 64
	s_add_i32 s12, s4, -7
	v_cmp_eq_u32_e32 vcc, 17, v98
	s_set_gpr_idx_on s11, gpr_idx(SRC0)
	v_mov_b32_e32 v102, v34
	s_set_gpr_idx_off
	v_mov_b32_e32 v98, s12
	s_or_b64 s[8:9], vcc, s[8:9]
	v_fmac_f64_e32 v[96:97], v[102:103], v[116:117]
	s_andn2_b64 exec, exec, s[8:9]
	s_cbranch_execnz .LBB78_57
; %bb.58:
	s_or_b64 exec, exec, s[8:9]
.LBB78_59:
	s_or_b64 exec, exec, s[2:3]
	v_and_b32_e32 v64, 7, v99
	v_cmp_ne_u32_e32 vcc, 0, v64
	s_and_saveexec_b64 s[8:9], vcc
	s_cbranch_execz .LBB78_63
; %bb.60:
	v_mov_b32_e32 v65, 0x80
	v_lshl_add_u32 v65, v98, 3, v65
	v_mov_b32_e32 v99, 0
	s_mov_b64 s[10:11], 0
.LBB78_61:                              ; =>This Inner Loop Header: Depth=1
	v_cmp_eq_u32_e32 vcc, 1, v98
	v_add_u32_e32 v64, -1, v64
	v_cmp_eq_u32_e64 s[2:3], 2, v98
	v_cndmask_b32_e32 v100, v35, v37, vcc
	v_cndmask_b32_e32 v104, v34, v36, vcc
	v_cndmask_b32_e64 v100, v100, v39, s[2:3]
	v_cmp_eq_u32_e32 vcc, 0, v64
	v_cmp_eq_u32_e64 s[4:5], 3, v98
	v_cndmask_b32_e64 v104, v104, v38, s[2:3]
	s_or_b64 s[10:11], vcc, s[10:11]
	v_cndmask_b32_e64 v100, v100, v41, s[4:5]
	v_cmp_eq_u32_e32 vcc, 4, v98
	v_cndmask_b32_e64 v104, v104, v40, s[4:5]
	v_cmp_eq_u32_e64 s[2:3], 5, v98
	v_cndmask_b32_e32 v100, v100, v43, vcc
	v_cndmask_b32_e32 v104, v104, v42, vcc
	v_cndmask_b32_e64 v100, v100, v45, s[2:3]
	v_cmp_eq_u32_e32 vcc, 6, v98
	v_cndmask_b32_e64 v104, v104, v44, s[2:3]
	v_cmp_eq_u32_e64 s[2:3], 7, v98
	v_cndmask_b32_e32 v100, v100, v47, vcc
	v_cndmask_b32_e32 v104, v104, v46, vcc
	;; [unrolled: 6-line block ×3, first 2 shown]
	v_cndmask_b32_e64 v100, v100, v53, s[2:3]
	v_cmp_eq_u32_e32 vcc, 10, v98
	v_cndmask_b32_e64 v104, v104, v52, s[2:3]
	v_cmp_eq_u32_e64 s[2:3], 11, v98
	v_cndmask_b32_e32 v100, v100, v55, vcc
	ds_read_b64 v[102:103], v65
	v_cndmask_b32_e64 v100, v100, v57, s[2:3]
	v_cndmask_b32_e32 v104, v104, v54, vcc
	v_cmp_eq_u32_e32 vcc, 12, v98
	v_cndmask_b32_e64 v104, v104, v56, s[2:3]
	v_cmp_eq_u32_e64 s[2:3], 13, v98
	v_cndmask_b32_e32 v100, v100, v59, vcc
	v_cmp_eq_u32_e64 s[4:5], 14, v98
	v_cndmask_b32_e64 v100, v100, v61, s[2:3]
	v_cndmask_b32_e32 v104, v104, v58, vcc
	v_cndmask_b32_e64 v105, v100, v63, s[4:5]
	v_cndmask_b32_e64 v100, v104, v60, s[2:3]
	;; [unrolled: 1-line block ×3, first 2 shown]
	v_add_u32_e32 v65, 8, v65
	v_lshl_add_u64 v[98:99], v[98:99], 0, 1
	s_waitcnt lgkmcnt(0)
	v_fmac_f64_e32 v[96:97], v[104:105], v[102:103]
	s_andn2_b64 exec, exec, s[10:11]
	s_cbranch_execnz .LBB78_61
; %bb.62:
	s_or_b64 exec, exec, s[10:11]
.LBB78_63:
	s_or_b64 exec, exec, s[8:9]
.LBB78_64:
	s_or_b64 exec, exec, s[6:7]
	v_mov_b32_e32 v52, 0
	ds_read_b64 v[52:53], v52 offset:72
	s_waitcnt lgkmcnt(0)
	v_mul_f64 v[52:53], v[96:97], v[52:53]
.LBB78_65:
	s_or_b64 exec, exec, s[34:35]
	v_cmp_lt_u32_e64 s[2:3], 8, v0
	ds_write_b64 v101, v[50:51]
	s_waitcnt lgkmcnt(0)
	; wave barrier
	s_and_saveexec_b64 s[34:35], s[2:3]
	s_cbranch_execz .LBB78_81
; %bb.66:
	s_andn2_b64 vcc, exec, s[30:31]
	s_cbranch_vccnz .LBB78_68
; %bb.67:
	v_cmp_eq_u32_e32 vcc, 1, v0
	v_cmp_eq_u32_e64 s[4:5], 2, v0
	v_cmp_eq_u32_e64 s[6:7], 3, v0
	v_cndmask_b32_e32 v96, v35, v37, vcc
	v_cndmask_b32_e64 v96, v96, v39, s[4:5]
	v_cndmask_b32_e64 v96, v96, v41, s[6:7]
	v_cmp_eq_u32_e64 s[8:9], 4, v0
	v_cmp_eq_u32_e64 s[10:11], 5, v0
	v_cmp_eq_u32_e64 s[12:13], 6, v0
	v_cndmask_b32_e64 v96, v96, v43, s[8:9]
	v_cndmask_b32_e64 v96, v96, v45, s[10:11]
	v_cndmask_b32_e64 v96, v96, v47, s[12:13]
	v_cmp_eq_u32_e64 s[14:15], 7, v0
	v_cmp_eq_u32_e64 s[16:17], 8, v0
	v_cmp_eq_u32_e64 s[18:19], 9, v0
	v_cndmask_b32_e64 v96, v96, v49, s[14:15]
	;; [unrolled: 6-line block ×3, first 2 shown]
	v_cndmask_b32_e64 v96, v96, v57, s[22:23]
	v_cndmask_b32_e64 v96, v96, v59, s[24:25]
	v_cmp_eq_u32_e64 s[26:27], 13, v0
	v_cmp_eq_u32_e64 s[28:29], 14, v0
	ds_read_b64 v[98:99], v101
	v_cndmask_b32_e64 v96, v96, v61, s[26:27]
	v_cndmask_b32_e64 v97, v96, v63, s[28:29]
	v_cndmask_b32_e32 v96, v34, v36, vcc
	v_cndmask_b32_e64 v96, v96, v38, s[4:5]
	v_cndmask_b32_e64 v96, v96, v40, s[6:7]
	;; [unrolled: 1-line block ×13, first 2 shown]
	s_waitcnt lgkmcnt(0)
	v_mul_f64 v[96:97], v[96:97], v[98:99]
	s_cbranch_execz .LBB78_69
	s_branch .LBB78_70
.LBB78_68:
                                        ; implicit-def: $vgpr96_vgpr97
.LBB78_69:
	ds_read_b64 v[96:97], v101
.LBB78_70:
	s_and_saveexec_b64 s[6:7], s[0:1]
	s_cbranch_execz .LBB78_80
; %bb.71:
	v_add_u32_e32 v98, -10, v0
	v_add_u32_e32 v99, -9, v0
	v_cmp_lt_u32_e32 vcc, 6, v98
	v_mov_b32_e32 v98, 9
	s_and_saveexec_b64 s[0:1], vcc
	s_cbranch_execz .LBB78_75
; %bb.72:
	v_and_b32_e32 v98, -8, v99
	v_sub_u32_e32 v100, 0, v98
	s_mov_b64 s[4:5], 16
	s_movk_i32 s10, 0xc8
	s_mov_b64 s[8:9], 0
.LBB78_73:                              ; =>This Inner Loop Header: Depth=1
	s_lshl_b32 s11, s4, 1
	s_add_i32 s12, s11, -13
	v_mov_b32_e32 v116, s10
	s_add_i32 s13, s11, -14
	s_set_gpr_idx_on s12, gpr_idx(SRC0)
	v_mov_b32_e32 v111, v34
	s_set_gpr_idx_off
	s_add_i32 s14, s11, -11
	s_set_gpr_idx_on s13, gpr_idx(SRC0)
	v_mov_b32_e32 v110, v34
	s_set_gpr_idx_off
	ds_read2_b64 v[102:105], v116 offset1:1
	s_add_i32 s15, s11, -12
	s_set_gpr_idx_on s14, gpr_idx(SRC0)
	v_mov_b32_e32 v113, v34
	s_set_gpr_idx_off
	s_add_i32 s16, s11, -9
	s_set_gpr_idx_on s15, gpr_idx(SRC0)
	v_mov_b32_e32 v112, v34
	s_set_gpr_idx_off
	;; [unrolled: 4-line block ×4, first 2 shown]
	ds_read2_b64 v[106:109], v116 offset0:2 offset1:3
	s_add_i32 s19, s11, -8
	s_waitcnt lgkmcnt(1)
	v_fmac_f64_e32 v[96:97], v[110:111], v[102:103]
	s_set_gpr_idx_on s18, gpr_idx(SRC0)
	v_mov_b32_e32 v111, v34
	s_set_gpr_idx_off
	s_add_i32 s20, s11, -5
	v_fmac_f64_e32 v[96:97], v[112:113], v[104:105]
	s_set_gpr_idx_on s19, gpr_idx(SRC0)
	v_mov_b32_e32 v110, v34
	s_set_gpr_idx_off
	s_add_i32 s21, s11, -6
	s_set_gpr_idx_on s20, gpr_idx(SRC0)
	v_mov_b32_e32 v113, v34
	s_set_gpr_idx_off
	s_add_i32 s22, s11, -3
	;; [unrolled: 4-line block ×3, first 2 shown]
	ds_read2_b64 v[102:105], v116 offset0:4 offset1:5
	s_waitcnt lgkmcnt(1)
	v_fmac_f64_e32 v[96:97], v[114:115], v[106:107]
	s_set_gpr_idx_on s22, gpr_idx(SRC0)
	v_mov_b32_e32 v115, v34
	s_set_gpr_idx_off
	s_add_i32 s24, s11, -1
	v_fmac_f64_e32 v[96:97], v[110:111], v[108:109]
	s_set_gpr_idx_on s23, gpr_idx(SRC0)
	v_mov_b32_e32 v114, v34
	s_set_gpr_idx_off
	s_add_i32 s25, s11, -2
	s_set_gpr_idx_on s24, gpr_idx(SRC0)
	v_mov_b32_e32 v111, v34
	s_set_gpr_idx_off
	s_set_gpr_idx_on s25, gpr_idx(SRC0)
	v_mov_b32_e32 v110, v34
	s_set_gpr_idx_off
	ds_read2_b64 v[106:109], v116 offset0:6 offset1:7
	s_add_u32 s4, s4, 8
	s_waitcnt lgkmcnt(1)
	v_fmac_f64_e32 v[96:97], v[112:113], v[102:103]
	s_set_gpr_idx_on s11, gpr_idx(SRC0)
	v_mov_b32_e32 v103, v35
	s_set_gpr_idx_off
	v_add_u32_e32 v98, s4, v100
	v_fmac_f64_e32 v[96:97], v[114:115], v[104:105]
	s_set_gpr_idx_on s11, gpr_idx(SRC0)
	v_mov_b32_e32 v102, v34
	s_set_gpr_idx_off
	s_addc_u32 s5, s5, 0
	s_add_i32 s10, s10, 64
	s_add_i32 s12, s4, -7
	v_cmp_eq_u32_e32 vcc, 16, v98
	s_waitcnt lgkmcnt(0)
	v_fmac_f64_e32 v[96:97], v[110:111], v[106:107]
	v_mov_b32_e32 v98, s12
	s_or_b64 s[8:9], vcc, s[8:9]
	v_fmac_f64_e32 v[96:97], v[102:103], v[108:109]
	s_andn2_b64 exec, exec, s[8:9]
	s_cbranch_execnz .LBB78_73
; %bb.74:
	s_or_b64 exec, exec, s[8:9]
.LBB78_75:
	s_or_b64 exec, exec, s[0:1]
	v_and_b32_e32 v64, 7, v99
	v_cmp_ne_u32_e32 vcc, 0, v64
	s_and_saveexec_b64 s[8:9], vcc
	s_cbranch_execz .LBB78_79
; %bb.76:
	v_mov_b32_e32 v65, 0x80
	v_lshl_add_u32 v65, v98, 3, v65
	v_mov_b32_e32 v99, 0
	s_mov_b64 s[10:11], 0
.LBB78_77:                              ; =>This Inner Loop Header: Depth=1
	v_cmp_eq_u32_e32 vcc, 1, v98
	v_add_u32_e32 v64, -1, v64
	v_cmp_eq_u32_e64 s[0:1], 2, v98
	v_cndmask_b32_e32 v100, v35, v37, vcc
	v_cndmask_b32_e32 v104, v34, v36, vcc
	v_cndmask_b32_e64 v100, v100, v39, s[0:1]
	v_cmp_eq_u32_e32 vcc, 0, v64
	v_cmp_eq_u32_e64 s[4:5], 3, v98
	v_cndmask_b32_e64 v104, v104, v38, s[0:1]
	s_or_b64 s[10:11], vcc, s[10:11]
	v_cndmask_b32_e64 v100, v100, v41, s[4:5]
	v_cmp_eq_u32_e32 vcc, 4, v98
	v_cndmask_b32_e64 v104, v104, v40, s[4:5]
	v_cmp_eq_u32_e64 s[0:1], 5, v98
	v_cndmask_b32_e32 v100, v100, v43, vcc
	v_cndmask_b32_e32 v104, v104, v42, vcc
	v_cndmask_b32_e64 v100, v100, v45, s[0:1]
	v_cmp_eq_u32_e32 vcc, 6, v98
	v_cndmask_b32_e64 v104, v104, v44, s[0:1]
	v_cmp_eq_u32_e64 s[0:1], 7, v98
	v_cndmask_b32_e32 v100, v100, v47, vcc
	v_cndmask_b32_e32 v104, v104, v46, vcc
	;; [unrolled: 6-line block ×3, first 2 shown]
	v_cndmask_b32_e64 v100, v100, v53, s[0:1]
	v_cmp_eq_u32_e32 vcc, 10, v98
	v_cndmask_b32_e64 v104, v104, v52, s[0:1]
	v_cmp_eq_u32_e64 s[0:1], 11, v98
	v_cndmask_b32_e32 v100, v100, v55, vcc
	ds_read_b64 v[102:103], v65
	v_cndmask_b32_e64 v100, v100, v57, s[0:1]
	v_cndmask_b32_e32 v104, v104, v54, vcc
	v_cmp_eq_u32_e32 vcc, 12, v98
	v_cndmask_b32_e64 v104, v104, v56, s[0:1]
	v_cmp_eq_u32_e64 s[0:1], 13, v98
	v_cndmask_b32_e32 v100, v100, v59, vcc
	v_cmp_eq_u32_e64 s[4:5], 14, v98
	v_cndmask_b32_e64 v100, v100, v61, s[0:1]
	v_cndmask_b32_e32 v104, v104, v58, vcc
	v_cndmask_b32_e64 v105, v100, v63, s[4:5]
	v_cndmask_b32_e64 v100, v104, v60, s[0:1]
	;; [unrolled: 1-line block ×3, first 2 shown]
	v_add_u32_e32 v65, 8, v65
	v_lshl_add_u64 v[98:99], v[98:99], 0, 1
	s_waitcnt lgkmcnt(0)
	v_fmac_f64_e32 v[96:97], v[104:105], v[102:103]
	s_andn2_b64 exec, exec, s[10:11]
	s_cbranch_execnz .LBB78_77
; %bb.78:
	s_or_b64 exec, exec, s[10:11]
.LBB78_79:
	s_or_b64 exec, exec, s[8:9]
.LBB78_80:
	s_or_b64 exec, exec, s[6:7]
	v_mov_b32_e32 v50, 0
	ds_read_b64 v[50:51], v50 offset:64
	s_waitcnt lgkmcnt(0)
	v_mul_f64 v[50:51], v[96:97], v[50:51]
.LBB78_81:
	s_or_b64 exec, exec, s[34:35]
	v_cmp_lt_u32_e64 s[4:5], 7, v0
	ds_write_b64 v101, v[48:49]
	s_waitcnt lgkmcnt(0)
	; wave barrier
	s_and_saveexec_b64 s[34:35], s[4:5]
	s_cbranch_execz .LBB78_97
; %bb.82:
	s_andn2_b64 vcc, exec, s[30:31]
	s_cbranch_vccnz .LBB78_84
; %bb.83:
	v_cmp_eq_u32_e32 vcc, 1, v0
	v_cmp_eq_u32_e64 s[0:1], 2, v0
	v_cmp_eq_u32_e64 s[6:7], 3, v0
	v_cndmask_b32_e32 v96, v35, v37, vcc
	v_cndmask_b32_e64 v96, v96, v39, s[0:1]
	v_cndmask_b32_e64 v96, v96, v41, s[6:7]
	v_cmp_eq_u32_e64 s[8:9], 4, v0
	v_cmp_eq_u32_e64 s[10:11], 5, v0
	v_cmp_eq_u32_e64 s[12:13], 6, v0
	v_cndmask_b32_e64 v96, v96, v43, s[8:9]
	v_cndmask_b32_e64 v96, v96, v45, s[10:11]
	v_cndmask_b32_e64 v96, v96, v47, s[12:13]
	v_cmp_eq_u32_e64 s[14:15], 7, v0
	v_cmp_eq_u32_e64 s[16:17], 8, v0
	v_cmp_eq_u32_e64 s[18:19], 9, v0
	v_cndmask_b32_e64 v96, v96, v49, s[14:15]
	;; [unrolled: 6-line block ×3, first 2 shown]
	v_cndmask_b32_e64 v96, v96, v57, s[22:23]
	v_cndmask_b32_e64 v96, v96, v59, s[24:25]
	v_cmp_eq_u32_e64 s[26:27], 13, v0
	v_cmp_eq_u32_e64 s[28:29], 14, v0
	ds_read_b64 v[98:99], v101
	v_cndmask_b32_e64 v96, v96, v61, s[26:27]
	v_cndmask_b32_e64 v97, v96, v63, s[28:29]
	v_cndmask_b32_e32 v96, v34, v36, vcc
	v_cndmask_b32_e64 v96, v96, v38, s[0:1]
	v_cndmask_b32_e64 v96, v96, v40, s[6:7]
	;; [unrolled: 1-line block ×13, first 2 shown]
	s_waitcnt lgkmcnt(0)
	v_mul_f64 v[96:97], v[96:97], v[98:99]
	s_cbranch_execz .LBB78_85
	s_branch .LBB78_86
.LBB78_84:
                                        ; implicit-def: $vgpr96_vgpr97
.LBB78_85:
	ds_read_b64 v[96:97], v101
.LBB78_86:
	s_and_saveexec_b64 s[6:7], s[2:3]
	s_cbranch_execz .LBB78_96
; %bb.87:
	v_add_u32_e32 v98, -9, v0
	v_cmp_lt_u32_e32 vcc, 6, v98
	v_mov_b32_e32 v98, 8
	s_and_saveexec_b64 s[0:1], vcc
	s_cbranch_execz .LBB78_91
; %bb.88:
	v_and_b32_e32 v98, 8, v0
	v_sub_u32_e32 v100, 0, v98
	s_mov_b64 s[2:3], 15
	s_movk_i32 s10, 0xc0
	s_mov_b64 s[8:9], 0
.LBB78_89:                              ; =>This Inner Loop Header: Depth=1
	s_lshl_b32 s11, s2, 1
	s_add_i32 s12, s11, -13
	s_add_i32 s13, s11, -14
	s_set_gpr_idx_on s12, gpr_idx(SRC0)
	v_mov_b32_e32 v119, v34
	s_set_gpr_idx_off
	v_mov_b32_e32 v98, s10
	s_add_i32 s14, s11, -11
	s_set_gpr_idx_on s13, gpr_idx(SRC0)
	v_mov_b32_e32 v118, v34
	s_set_gpr_idx_off
	s_add_i32 s15, s11, -12
	ds_read_b128 v[102:105], v98
	ds_read_b128 v[106:109], v98 offset:16
	ds_read_b128 v[110:113], v98 offset:32
	;; [unrolled: 1-line block ×3, first 2 shown]
	s_set_gpr_idx_on s14, gpr_idx(SRC0)
	v_mov_b32_e32 v121, v34
	s_set_gpr_idx_off
	s_add_i32 s16, s11, -9
	s_set_gpr_idx_on s15, gpr_idx(SRC0)
	v_mov_b32_e32 v120, v34
	s_set_gpr_idx_off
	s_add_i32 s17, s11, -10
	;; [unrolled: 4-line block ×4, first 2 shown]
	s_waitcnt lgkmcnt(3)
	v_fmac_f64_e32 v[96:97], v[118:119], v[102:103]
	s_set_gpr_idx_on s18, gpr_idx(SRC0)
	v_mov_b32_e32 v103, v34
	s_set_gpr_idx_off
	s_add_i32 s20, s11, -5
	v_fmac_f64_e32 v[96:97], v[120:121], v[104:105]
	s_set_gpr_idx_on s19, gpr_idx(SRC0)
	v_mov_b32_e32 v102, v34
	s_set_gpr_idx_off
	s_add_i32 s21, s11, -6
	s_waitcnt lgkmcnt(2)
	v_fmac_f64_e32 v[96:97], v[122:123], v[106:107]
	s_set_gpr_idx_on s20, gpr_idx(SRC0)
	v_mov_b32_e32 v105, v34
	s_set_gpr_idx_off
	s_add_i32 s22, s11, -3
	v_fmac_f64_e32 v[96:97], v[102:103], v[108:109]
	s_set_gpr_idx_on s21, gpr_idx(SRC0)
	v_mov_b32_e32 v104, v34
	s_set_gpr_idx_off
	s_add_i32 s23, s11, -4
	s_waitcnt lgkmcnt(1)
	v_fmac_f64_e32 v[96:97], v[104:105], v[110:111]
	s_set_gpr_idx_on s22, gpr_idx(SRC0)
	v_mov_b32_e32 v103, v34
	s_set_gpr_idx_off
	s_add_i32 s24, s11, -1
	s_set_gpr_idx_on s23, gpr_idx(SRC0)
	v_mov_b32_e32 v102, v34
	s_set_gpr_idx_off
	s_add_i32 s25, s11, -2
	v_fmac_f64_e32 v[96:97], v[102:103], v[112:113]
	s_set_gpr_idx_on s24, gpr_idx(SRC0)
	v_mov_b32_e32 v103, v34
	s_set_gpr_idx_off
	s_add_u32 s2, s2, 8
	s_set_gpr_idx_on s25, gpr_idx(SRC0)
	v_mov_b32_e32 v102, v34
	s_set_gpr_idx_off
	v_add_u32_e32 v98, s2, v100
	s_waitcnt lgkmcnt(0)
	v_fmac_f64_e32 v[96:97], v[102:103], v[114:115]
	s_set_gpr_idx_on s11, gpr_idx(SRC0)
	v_mov_b32_e32 v103, v35
	s_set_gpr_idx_off
	s_addc_u32 s3, s3, 0
	s_add_i32 s10, s10, 64
	s_add_i32 s12, s2, -7
	v_cmp_eq_u32_e32 vcc, 7, v98
	s_set_gpr_idx_on s11, gpr_idx(SRC0)
	v_mov_b32_e32 v102, v34
	s_set_gpr_idx_off
	v_mov_b32_e32 v98, s12
	s_or_b64 s[8:9], vcc, s[8:9]
	v_fmac_f64_e32 v[96:97], v[102:103], v[116:117]
	s_andn2_b64 exec, exec, s[8:9]
	s_cbranch_execnz .LBB78_89
; %bb.90:
	s_or_b64 exec, exec, s[8:9]
.LBB78_91:
	s_or_b64 exec, exec, s[0:1]
	v_and_b32_e32 v64, 7, v0
	v_cmp_ne_u32_e32 vcc, 0, v64
	s_and_saveexec_b64 s[8:9], vcc
	s_cbranch_execz .LBB78_95
; %bb.92:
	v_mov_b32_e32 v65, 0x80
	v_lshl_add_u32 v65, v98, 3, v65
	v_mov_b32_e32 v99, 0
	s_mov_b64 s[10:11], 0
.LBB78_93:                              ; =>This Inner Loop Header: Depth=1
	v_cmp_eq_u32_e32 vcc, 1, v98
	v_add_u32_e32 v64, -1, v64
	v_cmp_eq_u32_e64 s[0:1], 2, v98
	v_cndmask_b32_e32 v100, v35, v37, vcc
	v_cndmask_b32_e32 v104, v34, v36, vcc
	v_cndmask_b32_e64 v100, v100, v39, s[0:1]
	v_cmp_eq_u32_e32 vcc, 0, v64
	v_cmp_eq_u32_e64 s[2:3], 3, v98
	v_cndmask_b32_e64 v104, v104, v38, s[0:1]
	s_or_b64 s[10:11], vcc, s[10:11]
	v_cndmask_b32_e64 v100, v100, v41, s[2:3]
	v_cmp_eq_u32_e32 vcc, 4, v98
	v_cndmask_b32_e64 v104, v104, v40, s[2:3]
	v_cmp_eq_u32_e64 s[0:1], 5, v98
	v_cndmask_b32_e32 v100, v100, v43, vcc
	v_cndmask_b32_e32 v104, v104, v42, vcc
	v_cndmask_b32_e64 v100, v100, v45, s[0:1]
	v_cmp_eq_u32_e32 vcc, 6, v98
	v_cndmask_b32_e64 v104, v104, v44, s[0:1]
	v_cmp_eq_u32_e64 s[0:1], 7, v98
	v_cndmask_b32_e32 v100, v100, v47, vcc
	v_cndmask_b32_e32 v104, v104, v46, vcc
	;; [unrolled: 6-line block ×3, first 2 shown]
	v_cndmask_b32_e64 v100, v100, v53, s[0:1]
	v_cmp_eq_u32_e32 vcc, 10, v98
	v_cndmask_b32_e64 v104, v104, v52, s[0:1]
	v_cmp_eq_u32_e64 s[0:1], 11, v98
	v_cndmask_b32_e32 v100, v100, v55, vcc
	ds_read_b64 v[102:103], v65
	v_cndmask_b32_e64 v100, v100, v57, s[0:1]
	v_cndmask_b32_e32 v104, v104, v54, vcc
	v_cmp_eq_u32_e32 vcc, 12, v98
	v_cndmask_b32_e64 v104, v104, v56, s[0:1]
	v_cmp_eq_u32_e64 s[0:1], 13, v98
	v_cndmask_b32_e32 v100, v100, v59, vcc
	v_cmp_eq_u32_e64 s[2:3], 14, v98
	v_cndmask_b32_e64 v100, v100, v61, s[0:1]
	v_cndmask_b32_e32 v104, v104, v58, vcc
	v_cndmask_b32_e64 v105, v100, v63, s[2:3]
	v_cndmask_b32_e64 v100, v104, v60, s[0:1]
	;; [unrolled: 1-line block ×3, first 2 shown]
	v_add_u32_e32 v65, 8, v65
	v_lshl_add_u64 v[98:99], v[98:99], 0, 1
	s_waitcnt lgkmcnt(0)
	v_fmac_f64_e32 v[96:97], v[104:105], v[102:103]
	s_andn2_b64 exec, exec, s[10:11]
	s_cbranch_execnz .LBB78_93
; %bb.94:
	s_or_b64 exec, exec, s[10:11]
.LBB78_95:
	s_or_b64 exec, exec, s[8:9]
.LBB78_96:
	s_or_b64 exec, exec, s[6:7]
	v_mov_b32_e32 v48, 0
	ds_read_b64 v[48:49], v48 offset:56
	s_waitcnt lgkmcnt(0)
	v_mul_f64 v[48:49], v[96:97], v[48:49]
.LBB78_97:
	s_or_b64 exec, exec, s[34:35]
	v_cmp_lt_u32_e64 s[0:1], 6, v0
	ds_write_b64 v101, v[46:47]
	s_waitcnt lgkmcnt(0)
	; wave barrier
	s_and_saveexec_b64 s[34:35], s[0:1]
	s_cbranch_execz .LBB78_113
; %bb.98:
	s_andn2_b64 vcc, exec, s[30:31]
	s_cbranch_vccnz .LBB78_100
; %bb.99:
	v_cmp_eq_u32_e32 vcc, 1, v0
	v_cmp_eq_u32_e64 s[2:3], 2, v0
	v_cmp_eq_u32_e64 s[6:7], 3, v0
	v_cndmask_b32_e32 v96, v35, v37, vcc
	v_cndmask_b32_e64 v96, v96, v39, s[2:3]
	v_cndmask_b32_e64 v96, v96, v41, s[6:7]
	v_cmp_eq_u32_e64 s[8:9], 4, v0
	v_cmp_eq_u32_e64 s[10:11], 5, v0
	v_cmp_eq_u32_e64 s[12:13], 6, v0
	v_cndmask_b32_e64 v96, v96, v43, s[8:9]
	v_cndmask_b32_e64 v96, v96, v45, s[10:11]
	v_cndmask_b32_e64 v96, v96, v47, s[12:13]
	v_cmp_eq_u32_e64 s[14:15], 7, v0
	v_cmp_eq_u32_e64 s[16:17], 8, v0
	v_cmp_eq_u32_e64 s[18:19], 9, v0
	v_cndmask_b32_e64 v96, v96, v49, s[14:15]
	;; [unrolled: 6-line block ×3, first 2 shown]
	v_cndmask_b32_e64 v96, v96, v57, s[22:23]
	v_cndmask_b32_e64 v96, v96, v59, s[24:25]
	v_cmp_eq_u32_e64 s[26:27], 13, v0
	v_cmp_eq_u32_e64 s[28:29], 14, v0
	ds_read_b64 v[98:99], v101
	v_cndmask_b32_e64 v96, v96, v61, s[26:27]
	v_cndmask_b32_e64 v97, v96, v63, s[28:29]
	v_cndmask_b32_e32 v96, v34, v36, vcc
	v_cndmask_b32_e64 v96, v96, v38, s[2:3]
	v_cndmask_b32_e64 v96, v96, v40, s[6:7]
	;; [unrolled: 1-line block ×13, first 2 shown]
	s_waitcnt lgkmcnt(0)
	v_mul_f64 v[96:97], v[96:97], v[98:99]
	s_cbranch_execz .LBB78_101
	s_branch .LBB78_102
.LBB78_100:
                                        ; implicit-def: $vgpr96_vgpr97
.LBB78_101:
	ds_read_b64 v[96:97], v101
.LBB78_102:
	s_and_saveexec_b64 s[6:7], s[4:5]
	s_cbranch_execz .LBB78_112
; %bb.103:
	v_add_u32_e32 v98, -8, v0
	v_add_u32_e32 v99, -7, v0
	v_cmp_lt_u32_e32 vcc, 6, v98
	v_mov_b32_e32 v98, 7
	s_and_saveexec_b64 s[2:3], vcc
	s_cbranch_execz .LBB78_107
; %bb.104:
	v_and_b32_e32 v98, -8, v99
	v_sub_u32_e32 v100, 0, v98
	s_mov_b64 s[4:5], 14
	s_movk_i32 s10, 0xb8
	s_mov_b64 s[8:9], 0
.LBB78_105:                             ; =>This Inner Loop Header: Depth=1
	s_lshl_b32 s11, s4, 1
	s_add_i32 s12, s11, -13
	v_mov_b32_e32 v116, s10
	s_add_i32 s13, s11, -14
	s_set_gpr_idx_on s12, gpr_idx(SRC0)
	v_mov_b32_e32 v111, v34
	s_set_gpr_idx_off
	s_add_i32 s14, s11, -11
	s_set_gpr_idx_on s13, gpr_idx(SRC0)
	v_mov_b32_e32 v110, v34
	s_set_gpr_idx_off
	ds_read2_b64 v[102:105], v116 offset1:1
	s_add_i32 s15, s11, -12
	s_set_gpr_idx_on s14, gpr_idx(SRC0)
	v_mov_b32_e32 v113, v34
	s_set_gpr_idx_off
	s_add_i32 s16, s11, -9
	s_set_gpr_idx_on s15, gpr_idx(SRC0)
	v_mov_b32_e32 v112, v34
	s_set_gpr_idx_off
	;; [unrolled: 4-line block ×4, first 2 shown]
	ds_read2_b64 v[106:109], v116 offset0:2 offset1:3
	s_add_i32 s19, s11, -8
	s_waitcnt lgkmcnt(1)
	v_fmac_f64_e32 v[96:97], v[110:111], v[102:103]
	s_set_gpr_idx_on s18, gpr_idx(SRC0)
	v_mov_b32_e32 v111, v34
	s_set_gpr_idx_off
	s_add_i32 s20, s11, -5
	v_fmac_f64_e32 v[96:97], v[112:113], v[104:105]
	s_set_gpr_idx_on s19, gpr_idx(SRC0)
	v_mov_b32_e32 v110, v34
	s_set_gpr_idx_off
	s_add_i32 s21, s11, -6
	s_set_gpr_idx_on s20, gpr_idx(SRC0)
	v_mov_b32_e32 v113, v34
	s_set_gpr_idx_off
	s_add_i32 s22, s11, -3
	;; [unrolled: 4-line block ×3, first 2 shown]
	ds_read2_b64 v[102:105], v116 offset0:4 offset1:5
	s_waitcnt lgkmcnt(1)
	v_fmac_f64_e32 v[96:97], v[114:115], v[106:107]
	s_set_gpr_idx_on s22, gpr_idx(SRC0)
	v_mov_b32_e32 v115, v34
	s_set_gpr_idx_off
	s_add_i32 s24, s11, -1
	v_fmac_f64_e32 v[96:97], v[110:111], v[108:109]
	s_set_gpr_idx_on s23, gpr_idx(SRC0)
	v_mov_b32_e32 v114, v34
	s_set_gpr_idx_off
	s_add_i32 s25, s11, -2
	s_set_gpr_idx_on s24, gpr_idx(SRC0)
	v_mov_b32_e32 v111, v34
	s_set_gpr_idx_off
	s_set_gpr_idx_on s25, gpr_idx(SRC0)
	v_mov_b32_e32 v110, v34
	s_set_gpr_idx_off
	ds_read2_b64 v[106:109], v116 offset0:6 offset1:7
	s_add_u32 s4, s4, 8
	s_waitcnt lgkmcnt(1)
	v_fmac_f64_e32 v[96:97], v[112:113], v[102:103]
	s_set_gpr_idx_on s11, gpr_idx(SRC0)
	v_mov_b32_e32 v103, v35
	s_set_gpr_idx_off
	v_add_u32_e32 v98, s4, v100
	v_fmac_f64_e32 v[96:97], v[114:115], v[104:105]
	s_set_gpr_idx_on s11, gpr_idx(SRC0)
	v_mov_b32_e32 v102, v34
	s_set_gpr_idx_off
	s_addc_u32 s5, s5, 0
	s_add_i32 s10, s10, 64
	s_add_i32 s12, s4, -7
	v_cmp_eq_u32_e32 vcc, 14, v98
	s_waitcnt lgkmcnt(0)
	v_fmac_f64_e32 v[96:97], v[110:111], v[106:107]
	v_mov_b32_e32 v98, s12
	s_or_b64 s[8:9], vcc, s[8:9]
	v_fmac_f64_e32 v[96:97], v[102:103], v[108:109]
	s_andn2_b64 exec, exec, s[8:9]
	s_cbranch_execnz .LBB78_105
; %bb.106:
	s_or_b64 exec, exec, s[8:9]
.LBB78_107:
	s_or_b64 exec, exec, s[2:3]
	v_and_b32_e32 v64, 7, v99
	v_cmp_ne_u32_e32 vcc, 0, v64
	s_and_saveexec_b64 s[8:9], vcc
	s_cbranch_execz .LBB78_111
; %bb.108:
	v_mov_b32_e32 v65, 0x80
	v_lshl_add_u32 v65, v98, 3, v65
	v_mov_b32_e32 v99, 0
	s_mov_b64 s[10:11], 0
.LBB78_109:                             ; =>This Inner Loop Header: Depth=1
	v_cmp_eq_u32_e32 vcc, 1, v98
	v_add_u32_e32 v64, -1, v64
	v_cmp_eq_u32_e64 s[2:3], 2, v98
	v_cndmask_b32_e32 v100, v35, v37, vcc
	v_cndmask_b32_e32 v104, v34, v36, vcc
	v_cndmask_b32_e64 v100, v100, v39, s[2:3]
	v_cmp_eq_u32_e32 vcc, 0, v64
	v_cmp_eq_u32_e64 s[4:5], 3, v98
	v_cndmask_b32_e64 v104, v104, v38, s[2:3]
	s_or_b64 s[10:11], vcc, s[10:11]
	v_cndmask_b32_e64 v100, v100, v41, s[4:5]
	v_cmp_eq_u32_e32 vcc, 4, v98
	v_cndmask_b32_e64 v104, v104, v40, s[4:5]
	v_cmp_eq_u32_e64 s[2:3], 5, v98
	v_cndmask_b32_e32 v100, v100, v43, vcc
	v_cndmask_b32_e32 v104, v104, v42, vcc
	v_cndmask_b32_e64 v100, v100, v45, s[2:3]
	v_cmp_eq_u32_e32 vcc, 6, v98
	v_cndmask_b32_e64 v104, v104, v44, s[2:3]
	v_cmp_eq_u32_e64 s[2:3], 7, v98
	v_cndmask_b32_e32 v100, v100, v47, vcc
	v_cndmask_b32_e32 v104, v104, v46, vcc
	;; [unrolled: 6-line block ×3, first 2 shown]
	v_cndmask_b32_e64 v100, v100, v53, s[2:3]
	v_cmp_eq_u32_e32 vcc, 10, v98
	v_cndmask_b32_e64 v104, v104, v52, s[2:3]
	v_cmp_eq_u32_e64 s[2:3], 11, v98
	v_cndmask_b32_e32 v100, v100, v55, vcc
	ds_read_b64 v[102:103], v65
	v_cndmask_b32_e64 v100, v100, v57, s[2:3]
	v_cndmask_b32_e32 v104, v104, v54, vcc
	v_cmp_eq_u32_e32 vcc, 12, v98
	v_cndmask_b32_e64 v104, v104, v56, s[2:3]
	v_cmp_eq_u32_e64 s[2:3], 13, v98
	v_cndmask_b32_e32 v100, v100, v59, vcc
	v_cmp_eq_u32_e64 s[4:5], 14, v98
	v_cndmask_b32_e64 v100, v100, v61, s[2:3]
	v_cndmask_b32_e32 v104, v104, v58, vcc
	v_cndmask_b32_e64 v105, v100, v63, s[4:5]
	v_cndmask_b32_e64 v100, v104, v60, s[2:3]
	;; [unrolled: 1-line block ×3, first 2 shown]
	v_add_u32_e32 v65, 8, v65
	v_lshl_add_u64 v[98:99], v[98:99], 0, 1
	s_waitcnt lgkmcnt(0)
	v_fmac_f64_e32 v[96:97], v[104:105], v[102:103]
	s_andn2_b64 exec, exec, s[10:11]
	s_cbranch_execnz .LBB78_109
; %bb.110:
	s_or_b64 exec, exec, s[10:11]
.LBB78_111:
	s_or_b64 exec, exec, s[8:9]
.LBB78_112:
	s_or_b64 exec, exec, s[6:7]
	v_mov_b32_e32 v46, 0
	ds_read_b64 v[46:47], v46 offset:48
	s_waitcnt lgkmcnt(0)
	v_mul_f64 v[46:47], v[96:97], v[46:47]
.LBB78_113:
	s_or_b64 exec, exec, s[34:35]
	v_cmp_lt_u32_e64 s[2:3], 5, v0
	ds_write_b64 v101, v[44:45]
	s_waitcnt lgkmcnt(0)
	; wave barrier
	s_and_saveexec_b64 s[34:35], s[2:3]
	s_cbranch_execz .LBB78_129
; %bb.114:
	s_andn2_b64 vcc, exec, s[30:31]
	s_cbranch_vccnz .LBB78_116
; %bb.115:
	v_cmp_eq_u32_e32 vcc, 1, v0
	v_cmp_eq_u32_e64 s[4:5], 2, v0
	v_cmp_eq_u32_e64 s[6:7], 3, v0
	v_cndmask_b32_e32 v96, v35, v37, vcc
	v_cndmask_b32_e64 v96, v96, v39, s[4:5]
	v_cndmask_b32_e64 v96, v96, v41, s[6:7]
	v_cmp_eq_u32_e64 s[8:9], 4, v0
	v_cmp_eq_u32_e64 s[10:11], 5, v0
	v_cmp_eq_u32_e64 s[12:13], 6, v0
	v_cndmask_b32_e64 v96, v96, v43, s[8:9]
	v_cndmask_b32_e64 v96, v96, v45, s[10:11]
	v_cndmask_b32_e64 v96, v96, v47, s[12:13]
	v_cmp_eq_u32_e64 s[14:15], 7, v0
	v_cmp_eq_u32_e64 s[16:17], 8, v0
	v_cmp_eq_u32_e64 s[18:19], 9, v0
	v_cndmask_b32_e64 v96, v96, v49, s[14:15]
	;; [unrolled: 6-line block ×3, first 2 shown]
	v_cndmask_b32_e64 v96, v96, v57, s[22:23]
	v_cndmask_b32_e64 v96, v96, v59, s[24:25]
	v_cmp_eq_u32_e64 s[26:27], 13, v0
	v_cmp_eq_u32_e64 s[28:29], 14, v0
	ds_read_b64 v[98:99], v101
	v_cndmask_b32_e64 v96, v96, v61, s[26:27]
	v_cndmask_b32_e64 v97, v96, v63, s[28:29]
	v_cndmask_b32_e32 v96, v34, v36, vcc
	v_cndmask_b32_e64 v96, v96, v38, s[4:5]
	v_cndmask_b32_e64 v96, v96, v40, s[6:7]
	;; [unrolled: 1-line block ×13, first 2 shown]
	s_waitcnt lgkmcnt(0)
	v_mul_f64 v[96:97], v[96:97], v[98:99]
	s_cbranch_execz .LBB78_117
	s_branch .LBB78_118
.LBB78_116:
                                        ; implicit-def: $vgpr96_vgpr97
.LBB78_117:
	ds_read_b64 v[96:97], v101
.LBB78_118:
	s_and_saveexec_b64 s[6:7], s[0:1]
	s_cbranch_execz .LBB78_128
; %bb.119:
	v_add_u32_e32 v100, -7, v0
	v_add_u32_e32 v99, -6, v0
	v_mov_b32_e32 v98, 6
	v_cmp_lt_u32_e32 vcc, 6, v100
	s_and_saveexec_b64 s[0:1], vcc
	s_cbranch_execz .LBB78_123
; %bb.120:
	v_and_b32_e32 v98, -8, v99
	v_sub_u32_e32 v100, 0, v98
	s_mov_b64 s[4:5], 13
	s_movk_i32 s10, 0xb0
	s_mov_b64 s[8:9], 0
.LBB78_121:                             ; =>This Inner Loop Header: Depth=1
	s_lshl_b32 s11, s4, 1
	s_add_i32 s12, s11, -13
	s_add_i32 s13, s11, -14
	s_set_gpr_idx_on s12, gpr_idx(SRC0)
	v_mov_b32_e32 v119, v34
	s_set_gpr_idx_off
	v_mov_b32_e32 v98, s10
	s_add_i32 s14, s11, -11
	s_set_gpr_idx_on s13, gpr_idx(SRC0)
	v_mov_b32_e32 v118, v34
	s_set_gpr_idx_off
	s_add_i32 s15, s11, -12
	ds_read_b128 v[102:105], v98
	ds_read_b128 v[106:109], v98 offset:16
	ds_read_b128 v[110:113], v98 offset:32
	;; [unrolled: 1-line block ×3, first 2 shown]
	s_set_gpr_idx_on s14, gpr_idx(SRC0)
	v_mov_b32_e32 v121, v34
	s_set_gpr_idx_off
	s_add_i32 s16, s11, -9
	s_set_gpr_idx_on s15, gpr_idx(SRC0)
	v_mov_b32_e32 v120, v34
	s_set_gpr_idx_off
	s_add_i32 s17, s11, -10
	;; [unrolled: 4-line block ×4, first 2 shown]
	s_waitcnt lgkmcnt(3)
	v_fmac_f64_e32 v[96:97], v[118:119], v[102:103]
	s_set_gpr_idx_on s18, gpr_idx(SRC0)
	v_mov_b32_e32 v103, v34
	s_set_gpr_idx_off
	s_add_i32 s20, s11, -5
	v_fmac_f64_e32 v[96:97], v[120:121], v[104:105]
	s_set_gpr_idx_on s19, gpr_idx(SRC0)
	v_mov_b32_e32 v102, v34
	s_set_gpr_idx_off
	s_add_i32 s21, s11, -6
	s_waitcnt lgkmcnt(2)
	v_fmac_f64_e32 v[96:97], v[122:123], v[106:107]
	s_set_gpr_idx_on s20, gpr_idx(SRC0)
	v_mov_b32_e32 v105, v34
	s_set_gpr_idx_off
	s_add_i32 s22, s11, -3
	v_fmac_f64_e32 v[96:97], v[102:103], v[108:109]
	s_set_gpr_idx_on s21, gpr_idx(SRC0)
	v_mov_b32_e32 v104, v34
	s_set_gpr_idx_off
	s_add_i32 s23, s11, -4
	s_waitcnt lgkmcnt(1)
	v_fmac_f64_e32 v[96:97], v[104:105], v[110:111]
	s_set_gpr_idx_on s22, gpr_idx(SRC0)
	v_mov_b32_e32 v103, v34
	s_set_gpr_idx_off
	s_add_i32 s24, s11, -1
	s_set_gpr_idx_on s23, gpr_idx(SRC0)
	v_mov_b32_e32 v102, v34
	s_set_gpr_idx_off
	s_add_i32 s25, s11, -2
	v_fmac_f64_e32 v[96:97], v[102:103], v[112:113]
	s_set_gpr_idx_on s24, gpr_idx(SRC0)
	v_mov_b32_e32 v103, v34
	s_set_gpr_idx_off
	s_add_u32 s4, s4, 8
	s_set_gpr_idx_on s25, gpr_idx(SRC0)
	v_mov_b32_e32 v102, v34
	s_set_gpr_idx_off
	v_add_u32_e32 v98, s4, v100
	s_waitcnt lgkmcnt(0)
	v_fmac_f64_e32 v[96:97], v[102:103], v[114:115]
	s_set_gpr_idx_on s11, gpr_idx(SRC0)
	v_mov_b32_e32 v103, v35
	s_set_gpr_idx_off
	s_addc_u32 s5, s5, 0
	s_add_i32 s10, s10, 64
	s_add_i32 s12, s4, -7
	v_cmp_eq_u32_e32 vcc, 13, v98
	s_set_gpr_idx_on s11, gpr_idx(SRC0)
	v_mov_b32_e32 v102, v34
	s_set_gpr_idx_off
	v_mov_b32_e32 v98, s12
	s_or_b64 s[8:9], vcc, s[8:9]
	v_fmac_f64_e32 v[96:97], v[102:103], v[116:117]
	s_andn2_b64 exec, exec, s[8:9]
	s_cbranch_execnz .LBB78_121
; %bb.122:
	s_or_b64 exec, exec, s[8:9]
.LBB78_123:
	s_or_b64 exec, exec, s[0:1]
	v_and_b32_e32 v64, 7, v99
	v_cmp_ne_u32_e32 vcc, 0, v64
	s_and_saveexec_b64 s[8:9], vcc
	s_cbranch_execz .LBB78_127
; %bb.124:
	v_mov_b32_e32 v65, 0x80
	v_lshl_add_u32 v65, v98, 3, v65
	v_mov_b32_e32 v99, 0
	s_mov_b64 s[10:11], 0
.LBB78_125:                             ; =>This Inner Loop Header: Depth=1
	v_cmp_eq_u32_e32 vcc, 1, v98
	v_add_u32_e32 v64, -1, v64
	v_cmp_eq_u32_e64 s[0:1], 2, v98
	v_cndmask_b32_e32 v100, v35, v37, vcc
	v_cndmask_b32_e32 v104, v34, v36, vcc
	v_cndmask_b32_e64 v100, v100, v39, s[0:1]
	v_cmp_eq_u32_e32 vcc, 0, v64
	v_cmp_eq_u32_e64 s[4:5], 3, v98
	v_cndmask_b32_e64 v104, v104, v38, s[0:1]
	s_or_b64 s[10:11], vcc, s[10:11]
	v_cndmask_b32_e64 v100, v100, v41, s[4:5]
	v_cmp_eq_u32_e32 vcc, 4, v98
	v_cndmask_b32_e64 v104, v104, v40, s[4:5]
	v_cmp_eq_u32_e64 s[0:1], 5, v98
	v_cndmask_b32_e32 v100, v100, v43, vcc
	v_cndmask_b32_e32 v104, v104, v42, vcc
	v_cndmask_b32_e64 v100, v100, v45, s[0:1]
	v_cmp_eq_u32_e32 vcc, 6, v98
	v_cndmask_b32_e64 v104, v104, v44, s[0:1]
	v_cmp_eq_u32_e64 s[0:1], 7, v98
	v_cndmask_b32_e32 v100, v100, v47, vcc
	v_cndmask_b32_e32 v104, v104, v46, vcc
	;; [unrolled: 6-line block ×3, first 2 shown]
	v_cndmask_b32_e64 v100, v100, v53, s[0:1]
	v_cmp_eq_u32_e32 vcc, 10, v98
	v_cndmask_b32_e64 v104, v104, v52, s[0:1]
	v_cmp_eq_u32_e64 s[0:1], 11, v98
	v_cndmask_b32_e32 v100, v100, v55, vcc
	ds_read_b64 v[102:103], v65
	v_cndmask_b32_e64 v100, v100, v57, s[0:1]
	v_cndmask_b32_e32 v104, v104, v54, vcc
	v_cmp_eq_u32_e32 vcc, 12, v98
	v_cndmask_b32_e64 v104, v104, v56, s[0:1]
	v_cmp_eq_u32_e64 s[0:1], 13, v98
	v_cndmask_b32_e32 v100, v100, v59, vcc
	v_cmp_eq_u32_e64 s[4:5], 14, v98
	v_cndmask_b32_e64 v100, v100, v61, s[0:1]
	v_cndmask_b32_e32 v104, v104, v58, vcc
	v_cndmask_b32_e64 v105, v100, v63, s[4:5]
	v_cndmask_b32_e64 v100, v104, v60, s[0:1]
	;; [unrolled: 1-line block ×3, first 2 shown]
	v_add_u32_e32 v65, 8, v65
	v_lshl_add_u64 v[98:99], v[98:99], 0, 1
	s_waitcnt lgkmcnt(0)
	v_fmac_f64_e32 v[96:97], v[104:105], v[102:103]
	s_andn2_b64 exec, exec, s[10:11]
	s_cbranch_execnz .LBB78_125
; %bb.126:
	s_or_b64 exec, exec, s[10:11]
.LBB78_127:
	s_or_b64 exec, exec, s[8:9]
.LBB78_128:
	s_or_b64 exec, exec, s[6:7]
	v_mov_b32_e32 v44, 0
	ds_read_b64 v[44:45], v44 offset:40
	s_waitcnt lgkmcnt(0)
	v_mul_f64 v[44:45], v[96:97], v[44:45]
.LBB78_129:
	s_or_b64 exec, exec, s[34:35]
	v_cmp_lt_u32_e64 s[0:1], 4, v0
	ds_write_b64 v101, v[42:43]
	s_waitcnt lgkmcnt(0)
	; wave barrier
	s_and_saveexec_b64 s[34:35], s[0:1]
	s_cbranch_execz .LBB78_145
; %bb.130:
	s_andn2_b64 vcc, exec, s[30:31]
	s_cbranch_vccnz .LBB78_132
; %bb.131:
	v_cmp_eq_u32_e32 vcc, 1, v0
	v_cmp_eq_u32_e64 s[4:5], 2, v0
	v_cmp_eq_u32_e64 s[6:7], 3, v0
	v_cndmask_b32_e32 v96, v35, v37, vcc
	v_cndmask_b32_e64 v96, v96, v39, s[4:5]
	v_cndmask_b32_e64 v96, v96, v41, s[6:7]
	v_cmp_eq_u32_e64 s[8:9], 4, v0
	v_cmp_eq_u32_e64 s[10:11], 5, v0
	v_cmp_eq_u32_e64 s[12:13], 6, v0
	v_cndmask_b32_e64 v96, v96, v43, s[8:9]
	v_cndmask_b32_e64 v96, v96, v45, s[10:11]
	v_cndmask_b32_e64 v96, v96, v47, s[12:13]
	v_cmp_eq_u32_e64 s[14:15], 7, v0
	v_cmp_eq_u32_e64 s[16:17], 8, v0
	v_cmp_eq_u32_e64 s[18:19], 9, v0
	v_cndmask_b32_e64 v96, v96, v49, s[14:15]
	v_cndmask_b32_e64 v96, v96, v51, s[16:17]
	v_cndmask_b32_e64 v96, v96, v53, s[18:19]
	v_cmp_eq_u32_e64 s[20:21], 10, v0
	v_cmp_eq_u32_e64 s[22:23], 11, v0
	v_cmp_eq_u32_e64 s[24:25], 12, v0
	v_cndmask_b32_e64 v96, v96, v55, s[20:21]
	v_cndmask_b32_e64 v96, v96, v57, s[22:23]
	v_cndmask_b32_e64 v96, v96, v59, s[24:25]
	v_cmp_eq_u32_e64 s[26:27], 13, v0
	v_cmp_eq_u32_e64 s[28:29], 14, v0
	ds_read_b64 v[98:99], v101
	v_cndmask_b32_e64 v96, v96, v61, s[26:27]
	v_cndmask_b32_e64 v97, v96, v63, s[28:29]
	v_cndmask_b32_e32 v96, v34, v36, vcc
	v_cndmask_b32_e64 v96, v96, v38, s[4:5]
	v_cndmask_b32_e64 v96, v96, v40, s[6:7]
	;; [unrolled: 1-line block ×13, first 2 shown]
	s_waitcnt lgkmcnt(0)
	v_mul_f64 v[96:97], v[96:97], v[98:99]
	s_cbranch_execz .LBB78_133
	s_branch .LBB78_134
.LBB78_132:
                                        ; implicit-def: $vgpr96_vgpr97
.LBB78_133:
	ds_read_b64 v[96:97], v101
.LBB78_134:
	s_and_saveexec_b64 s[6:7], s[2:3]
	s_cbranch_execz .LBB78_144
; %bb.135:
	v_add_u32_e32 v98, -6, v0
	v_add_u32_e32 v99, -5, v0
	v_cmp_lt_u32_e32 vcc, 6, v98
	v_mov_b32_e32 v98, 5
	s_and_saveexec_b64 s[2:3], vcc
	s_cbranch_execz .LBB78_139
; %bb.136:
	v_and_b32_e32 v98, -8, v99
	v_sub_u32_e32 v100, 0, v98
	s_mov_b64 s[4:5], 12
	s_movk_i32 s10, 0xa8
	s_mov_b64 s[8:9], 0
.LBB78_137:                             ; =>This Inner Loop Header: Depth=1
	s_lshl_b32 s11, s4, 1
	s_add_i32 s12, s11, -13
	v_mov_b32_e32 v116, s10
	s_add_i32 s13, s11, -14
	s_set_gpr_idx_on s12, gpr_idx(SRC0)
	v_mov_b32_e32 v111, v34
	s_set_gpr_idx_off
	s_add_i32 s14, s11, -11
	s_set_gpr_idx_on s13, gpr_idx(SRC0)
	v_mov_b32_e32 v110, v34
	s_set_gpr_idx_off
	ds_read2_b64 v[102:105], v116 offset1:1
	s_add_i32 s15, s11, -12
	s_set_gpr_idx_on s14, gpr_idx(SRC0)
	v_mov_b32_e32 v113, v34
	s_set_gpr_idx_off
	s_add_i32 s16, s11, -9
	s_set_gpr_idx_on s15, gpr_idx(SRC0)
	v_mov_b32_e32 v112, v34
	s_set_gpr_idx_off
	;; [unrolled: 4-line block ×4, first 2 shown]
	ds_read2_b64 v[106:109], v116 offset0:2 offset1:3
	s_add_i32 s19, s11, -8
	s_waitcnt lgkmcnt(1)
	v_fmac_f64_e32 v[96:97], v[110:111], v[102:103]
	s_set_gpr_idx_on s18, gpr_idx(SRC0)
	v_mov_b32_e32 v111, v34
	s_set_gpr_idx_off
	s_add_i32 s20, s11, -5
	v_fmac_f64_e32 v[96:97], v[112:113], v[104:105]
	s_set_gpr_idx_on s19, gpr_idx(SRC0)
	v_mov_b32_e32 v110, v34
	s_set_gpr_idx_off
	s_add_i32 s21, s11, -6
	s_set_gpr_idx_on s20, gpr_idx(SRC0)
	v_mov_b32_e32 v113, v34
	s_set_gpr_idx_off
	s_add_i32 s22, s11, -3
	;; [unrolled: 4-line block ×3, first 2 shown]
	ds_read2_b64 v[102:105], v116 offset0:4 offset1:5
	s_waitcnt lgkmcnt(1)
	v_fmac_f64_e32 v[96:97], v[114:115], v[106:107]
	s_set_gpr_idx_on s22, gpr_idx(SRC0)
	v_mov_b32_e32 v115, v34
	s_set_gpr_idx_off
	s_add_i32 s24, s11, -1
	v_fmac_f64_e32 v[96:97], v[110:111], v[108:109]
	s_set_gpr_idx_on s23, gpr_idx(SRC0)
	v_mov_b32_e32 v114, v34
	s_set_gpr_idx_off
	s_add_i32 s25, s11, -2
	s_set_gpr_idx_on s24, gpr_idx(SRC0)
	v_mov_b32_e32 v111, v34
	s_set_gpr_idx_off
	s_set_gpr_idx_on s25, gpr_idx(SRC0)
	v_mov_b32_e32 v110, v34
	s_set_gpr_idx_off
	ds_read2_b64 v[106:109], v116 offset0:6 offset1:7
	s_add_u32 s4, s4, 8
	s_waitcnt lgkmcnt(1)
	v_fmac_f64_e32 v[96:97], v[112:113], v[102:103]
	s_set_gpr_idx_on s11, gpr_idx(SRC0)
	v_mov_b32_e32 v103, v35
	s_set_gpr_idx_off
	v_add_u32_e32 v98, s4, v100
	v_fmac_f64_e32 v[96:97], v[114:115], v[104:105]
	s_set_gpr_idx_on s11, gpr_idx(SRC0)
	v_mov_b32_e32 v102, v34
	s_set_gpr_idx_off
	s_addc_u32 s5, s5, 0
	s_add_i32 s10, s10, 64
	s_add_i32 s12, s4, -7
	v_cmp_eq_u32_e32 vcc, 12, v98
	s_waitcnt lgkmcnt(0)
	v_fmac_f64_e32 v[96:97], v[110:111], v[106:107]
	v_mov_b32_e32 v98, s12
	s_or_b64 s[8:9], vcc, s[8:9]
	v_fmac_f64_e32 v[96:97], v[102:103], v[108:109]
	s_andn2_b64 exec, exec, s[8:9]
	s_cbranch_execnz .LBB78_137
; %bb.138:
	s_or_b64 exec, exec, s[8:9]
.LBB78_139:
	s_or_b64 exec, exec, s[2:3]
	v_and_b32_e32 v64, 7, v99
	v_cmp_ne_u32_e32 vcc, 0, v64
	s_and_saveexec_b64 s[8:9], vcc
	s_cbranch_execz .LBB78_143
; %bb.140:
	v_mov_b32_e32 v65, 0x80
	v_lshl_add_u32 v65, v98, 3, v65
	v_mov_b32_e32 v99, 0
	s_mov_b64 s[10:11], 0
.LBB78_141:                             ; =>This Inner Loop Header: Depth=1
	v_cmp_eq_u32_e32 vcc, 1, v98
	v_add_u32_e32 v64, -1, v64
	v_cmp_eq_u32_e64 s[2:3], 2, v98
	v_cndmask_b32_e32 v100, v35, v37, vcc
	v_cndmask_b32_e32 v104, v34, v36, vcc
	v_cndmask_b32_e64 v100, v100, v39, s[2:3]
	v_cmp_eq_u32_e32 vcc, 0, v64
	v_cmp_eq_u32_e64 s[4:5], 3, v98
	v_cndmask_b32_e64 v104, v104, v38, s[2:3]
	s_or_b64 s[10:11], vcc, s[10:11]
	v_cndmask_b32_e64 v100, v100, v41, s[4:5]
	v_cmp_eq_u32_e32 vcc, 4, v98
	v_cndmask_b32_e64 v104, v104, v40, s[4:5]
	v_cmp_eq_u32_e64 s[2:3], 5, v98
	v_cndmask_b32_e32 v100, v100, v43, vcc
	v_cndmask_b32_e32 v104, v104, v42, vcc
	v_cndmask_b32_e64 v100, v100, v45, s[2:3]
	v_cmp_eq_u32_e32 vcc, 6, v98
	v_cndmask_b32_e64 v104, v104, v44, s[2:3]
	v_cmp_eq_u32_e64 s[2:3], 7, v98
	v_cndmask_b32_e32 v100, v100, v47, vcc
	v_cndmask_b32_e32 v104, v104, v46, vcc
	;; [unrolled: 6-line block ×3, first 2 shown]
	v_cndmask_b32_e64 v100, v100, v53, s[2:3]
	v_cmp_eq_u32_e32 vcc, 10, v98
	v_cndmask_b32_e64 v104, v104, v52, s[2:3]
	v_cmp_eq_u32_e64 s[2:3], 11, v98
	v_cndmask_b32_e32 v100, v100, v55, vcc
	ds_read_b64 v[102:103], v65
	v_cndmask_b32_e64 v100, v100, v57, s[2:3]
	v_cndmask_b32_e32 v104, v104, v54, vcc
	v_cmp_eq_u32_e32 vcc, 12, v98
	v_cndmask_b32_e64 v104, v104, v56, s[2:3]
	v_cmp_eq_u32_e64 s[2:3], 13, v98
	v_cndmask_b32_e32 v100, v100, v59, vcc
	v_cmp_eq_u32_e64 s[4:5], 14, v98
	v_cndmask_b32_e64 v100, v100, v61, s[2:3]
	v_cndmask_b32_e32 v104, v104, v58, vcc
	v_cndmask_b32_e64 v105, v100, v63, s[4:5]
	v_cndmask_b32_e64 v100, v104, v60, s[2:3]
	;; [unrolled: 1-line block ×3, first 2 shown]
	v_add_u32_e32 v65, 8, v65
	v_lshl_add_u64 v[98:99], v[98:99], 0, 1
	s_waitcnt lgkmcnt(0)
	v_fmac_f64_e32 v[96:97], v[104:105], v[102:103]
	s_andn2_b64 exec, exec, s[10:11]
	s_cbranch_execnz .LBB78_141
; %bb.142:
	s_or_b64 exec, exec, s[10:11]
.LBB78_143:
	s_or_b64 exec, exec, s[8:9]
.LBB78_144:
	s_or_b64 exec, exec, s[6:7]
	v_mov_b32_e32 v42, 0
	ds_read_b64 v[42:43], v42 offset:32
	s_waitcnt lgkmcnt(0)
	v_mul_f64 v[42:43], v[96:97], v[42:43]
.LBB78_145:
	s_or_b64 exec, exec, s[34:35]
	v_cmp_lt_u32_e64 s[2:3], 3, v0
	ds_write_b64 v101, v[40:41]
	s_waitcnt lgkmcnt(0)
	; wave barrier
	s_and_saveexec_b64 s[34:35], s[2:3]
	s_cbranch_execz .LBB78_161
; %bb.146:
	s_andn2_b64 vcc, exec, s[30:31]
	s_cbranch_vccnz .LBB78_148
; %bb.147:
	v_cmp_eq_u32_e32 vcc, 1, v0
	v_cmp_eq_u32_e64 s[4:5], 2, v0
	v_cmp_eq_u32_e64 s[6:7], 3, v0
	v_cndmask_b32_e32 v96, v35, v37, vcc
	v_cndmask_b32_e64 v96, v96, v39, s[4:5]
	v_cndmask_b32_e64 v96, v96, v41, s[6:7]
	v_cmp_eq_u32_e64 s[8:9], 4, v0
	v_cmp_eq_u32_e64 s[10:11], 5, v0
	v_cmp_eq_u32_e64 s[12:13], 6, v0
	v_cndmask_b32_e64 v96, v96, v43, s[8:9]
	v_cndmask_b32_e64 v96, v96, v45, s[10:11]
	v_cndmask_b32_e64 v96, v96, v47, s[12:13]
	v_cmp_eq_u32_e64 s[14:15], 7, v0
	v_cmp_eq_u32_e64 s[16:17], 8, v0
	v_cmp_eq_u32_e64 s[18:19], 9, v0
	v_cndmask_b32_e64 v96, v96, v49, s[14:15]
	;; [unrolled: 6-line block ×3, first 2 shown]
	v_cndmask_b32_e64 v96, v96, v57, s[22:23]
	v_cndmask_b32_e64 v96, v96, v59, s[24:25]
	v_cmp_eq_u32_e64 s[26:27], 13, v0
	v_cmp_eq_u32_e64 s[28:29], 14, v0
	ds_read_b64 v[98:99], v101
	v_cndmask_b32_e64 v96, v96, v61, s[26:27]
	v_cndmask_b32_e64 v97, v96, v63, s[28:29]
	v_cndmask_b32_e32 v96, v34, v36, vcc
	v_cndmask_b32_e64 v96, v96, v38, s[4:5]
	v_cndmask_b32_e64 v96, v96, v40, s[6:7]
	;; [unrolled: 1-line block ×13, first 2 shown]
	s_waitcnt lgkmcnt(0)
	v_mul_f64 v[96:97], v[96:97], v[98:99]
	s_cbranch_execz .LBB78_149
	s_branch .LBB78_150
.LBB78_148:
                                        ; implicit-def: $vgpr96_vgpr97
.LBB78_149:
	ds_read_b64 v[96:97], v101
.LBB78_150:
	s_and_saveexec_b64 s[6:7], s[0:1]
	s_cbranch_execz .LBB78_160
; %bb.151:
	v_add_u32_e32 v98, -5, v0
	v_add_u32_e32 v99, -4, v0
	v_cmp_lt_u32_e32 vcc, 6, v98
	v_mov_b32_e32 v98, 4
	s_and_saveexec_b64 s[0:1], vcc
	s_cbranch_execz .LBB78_155
; %bb.152:
	v_and_b32_e32 v98, -8, v99
	v_sub_u32_e32 v100, 0, v98
	s_mov_b64 s[4:5], 5
	s_movk_i32 s10, 0xa0
	s_mov_b64 s[8:9], 0
.LBB78_153:                             ; =>This Inner Loop Header: Depth=1
	s_lshl_b32 s11, s4, 1
	s_add_i32 s12, s11, -1
	s_add_i32 s13, s11, -2
	s_set_gpr_idx_on s12, gpr_idx(SRC0)
	v_mov_b32_e32 v119, v34
	s_set_gpr_idx_off
	v_mov_b32_e32 v98, s10
	s_set_gpr_idx_on s13, gpr_idx(SRC0)
	v_mov_b32_e32 v118, v34
	s_set_gpr_idx_off
	ds_read_b128 v[102:105], v98
	ds_read_b128 v[106:109], v98 offset:16
	ds_read_b128 v[110:113], v98 offset:32
	;; [unrolled: 1-line block ×3, first 2 shown]
	s_set_gpr_idx_on s11, gpr_idx(SRC0)
	v_mov_b32_e32 v121, v35
	s_add_i32 s14, s11, 3
	v_mov_b32_e32 v120, v34
	s_set_gpr_idx_off
	s_add_i32 s15, s11, 2
	s_set_gpr_idx_on s14, gpr_idx(SRC0)
	v_mov_b32_e32 v123, v34
	s_set_gpr_idx_off
	s_add_i32 s16, s11, 5
	s_set_gpr_idx_on s15, gpr_idx(SRC0)
	v_mov_b32_e32 v122, v34
	s_set_gpr_idx_off
	s_add_i32 s17, s11, 4
	s_waitcnt lgkmcnt(3)
	v_fmac_f64_e32 v[96:97], v[118:119], v[102:103]
	s_set_gpr_idx_on s16, gpr_idx(SRC0)
	v_mov_b32_e32 v103, v34
	s_set_gpr_idx_off
	s_add_i32 s18, s11, 7
	v_fmac_f64_e32 v[96:97], v[120:121], v[104:105]
	s_set_gpr_idx_on s17, gpr_idx(SRC0)
	v_mov_b32_e32 v102, v34
	s_set_gpr_idx_off
	s_add_i32 s19, s11, 6
	s_waitcnt lgkmcnt(2)
	v_fmac_f64_e32 v[96:97], v[122:123], v[106:107]
	s_set_gpr_idx_on s18, gpr_idx(SRC0)
	v_mov_b32_e32 v105, v34
	s_set_gpr_idx_off
	s_add_i32 s20, s11, 9
	v_fmac_f64_e32 v[96:97], v[102:103], v[108:109]
	s_set_gpr_idx_on s19, gpr_idx(SRC0)
	v_mov_b32_e32 v104, v34
	s_set_gpr_idx_off
	s_add_i32 s21, s11, 8
	s_waitcnt lgkmcnt(1)
	v_fmac_f64_e32 v[96:97], v[104:105], v[110:111]
	s_set_gpr_idx_on s20, gpr_idx(SRC0)
	v_mov_b32_e32 v103, v34
	s_set_gpr_idx_off
	s_add_i32 s22, s11, 11
	s_set_gpr_idx_on s21, gpr_idx(SRC0)
	v_mov_b32_e32 v102, v34
	s_set_gpr_idx_off
	s_add_i32 s23, s11, 10
	s_add_i32 s24, s11, 13
	;; [unrolled: 1-line block ×3, first 2 shown]
	v_fmac_f64_e32 v[96:97], v[102:103], v[112:113]
	s_set_gpr_idx_on s22, gpr_idx(SRC0)
	v_mov_b32_e32 v103, v34
	s_set_gpr_idx_off
	s_add_u32 s4, s4, 8
	s_set_gpr_idx_on s23, gpr_idx(SRC0)
	v_mov_b32_e32 v102, v34
	s_set_gpr_idx_off
	v_add_u32_e32 v98, s4, v100
	s_waitcnt lgkmcnt(0)
	v_fmac_f64_e32 v[96:97], v[102:103], v[114:115]
	s_set_gpr_idx_on s24, gpr_idx(SRC0)
	v_mov_b32_e32 v103, v34
	s_set_gpr_idx_off
	s_addc_u32 s5, s5, 0
	s_add_i32 s10, s10, 64
	s_add_i32 s12, s4, -1
	v_cmp_eq_u32_e32 vcc, 5, v98
	s_set_gpr_idx_on s25, gpr_idx(SRC0)
	v_mov_b32_e32 v102, v34
	s_set_gpr_idx_off
	v_mov_b32_e32 v98, s12
	s_or_b64 s[8:9], vcc, s[8:9]
	v_fmac_f64_e32 v[96:97], v[102:103], v[116:117]
	s_andn2_b64 exec, exec, s[8:9]
	s_cbranch_execnz .LBB78_153
; %bb.154:
	s_or_b64 exec, exec, s[8:9]
.LBB78_155:
	s_or_b64 exec, exec, s[0:1]
	v_and_b32_e32 v64, 7, v99
	v_cmp_ne_u32_e32 vcc, 0, v64
	s_and_saveexec_b64 s[8:9], vcc
	s_cbranch_execz .LBB78_159
; %bb.156:
	v_mov_b32_e32 v65, 0x80
	v_lshl_add_u32 v65, v98, 3, v65
	v_mov_b32_e32 v99, 0
	s_mov_b64 s[10:11], 0
.LBB78_157:                             ; =>This Inner Loop Header: Depth=1
	v_cmp_eq_u32_e32 vcc, 1, v98
	v_add_u32_e32 v64, -1, v64
	v_cmp_eq_u32_e64 s[0:1], 2, v98
	v_cndmask_b32_e32 v100, v35, v37, vcc
	v_cndmask_b32_e32 v104, v34, v36, vcc
	v_cndmask_b32_e64 v100, v100, v39, s[0:1]
	v_cmp_eq_u32_e32 vcc, 0, v64
	v_cmp_eq_u32_e64 s[4:5], 3, v98
	v_cndmask_b32_e64 v104, v104, v38, s[0:1]
	s_or_b64 s[10:11], vcc, s[10:11]
	v_cndmask_b32_e64 v100, v100, v41, s[4:5]
	v_cmp_eq_u32_e32 vcc, 4, v98
	v_cndmask_b32_e64 v104, v104, v40, s[4:5]
	v_cmp_eq_u32_e64 s[0:1], 5, v98
	v_cndmask_b32_e32 v100, v100, v43, vcc
	v_cndmask_b32_e32 v104, v104, v42, vcc
	v_cndmask_b32_e64 v100, v100, v45, s[0:1]
	v_cmp_eq_u32_e32 vcc, 6, v98
	v_cndmask_b32_e64 v104, v104, v44, s[0:1]
	v_cmp_eq_u32_e64 s[0:1], 7, v98
	v_cndmask_b32_e32 v100, v100, v47, vcc
	v_cndmask_b32_e32 v104, v104, v46, vcc
	;; [unrolled: 6-line block ×3, first 2 shown]
	v_cndmask_b32_e64 v100, v100, v53, s[0:1]
	v_cmp_eq_u32_e32 vcc, 10, v98
	v_cndmask_b32_e64 v104, v104, v52, s[0:1]
	v_cmp_eq_u32_e64 s[0:1], 11, v98
	v_cndmask_b32_e32 v100, v100, v55, vcc
	ds_read_b64 v[102:103], v65
	v_cndmask_b32_e64 v100, v100, v57, s[0:1]
	v_cndmask_b32_e32 v104, v104, v54, vcc
	v_cmp_eq_u32_e32 vcc, 12, v98
	v_cndmask_b32_e64 v104, v104, v56, s[0:1]
	v_cmp_eq_u32_e64 s[0:1], 13, v98
	v_cndmask_b32_e32 v100, v100, v59, vcc
	v_cmp_eq_u32_e64 s[4:5], 14, v98
	v_cndmask_b32_e64 v100, v100, v61, s[0:1]
	v_cndmask_b32_e32 v104, v104, v58, vcc
	v_cndmask_b32_e64 v105, v100, v63, s[4:5]
	v_cndmask_b32_e64 v100, v104, v60, s[0:1]
	;; [unrolled: 1-line block ×3, first 2 shown]
	v_add_u32_e32 v65, 8, v65
	v_lshl_add_u64 v[98:99], v[98:99], 0, 1
	s_waitcnt lgkmcnt(0)
	v_fmac_f64_e32 v[96:97], v[104:105], v[102:103]
	s_andn2_b64 exec, exec, s[10:11]
	s_cbranch_execnz .LBB78_157
; %bb.158:
	s_or_b64 exec, exec, s[10:11]
.LBB78_159:
	s_or_b64 exec, exec, s[8:9]
.LBB78_160:
	s_or_b64 exec, exec, s[6:7]
	v_mov_b32_e32 v40, 0
	ds_read_b64 v[40:41], v40 offset:24
	s_waitcnt lgkmcnt(0)
	v_mul_f64 v[40:41], v[96:97], v[40:41]
.LBB78_161:
	s_or_b64 exec, exec, s[34:35]
	v_cmp_lt_u32_e64 s[0:1], 2, v0
	ds_write_b64 v101, v[38:39]
	s_waitcnt lgkmcnt(0)
	; wave barrier
	s_and_saveexec_b64 s[34:35], s[0:1]
	s_cbranch_execz .LBB78_177
; %bb.162:
	s_andn2_b64 vcc, exec, s[30:31]
	s_cbranch_vccnz .LBB78_164
; %bb.163:
	v_cmp_eq_u32_e32 vcc, 1, v0
	v_cmp_eq_u32_e64 s[4:5], 2, v0
	v_cmp_eq_u32_e64 s[6:7], 3, v0
	v_cndmask_b32_e32 v96, v35, v37, vcc
	v_cndmask_b32_e64 v96, v96, v39, s[4:5]
	v_cndmask_b32_e64 v96, v96, v41, s[6:7]
	v_cmp_eq_u32_e64 s[8:9], 4, v0
	v_cmp_eq_u32_e64 s[10:11], 5, v0
	v_cmp_eq_u32_e64 s[12:13], 6, v0
	v_cndmask_b32_e64 v96, v96, v43, s[8:9]
	v_cndmask_b32_e64 v96, v96, v45, s[10:11]
	v_cndmask_b32_e64 v96, v96, v47, s[12:13]
	v_cmp_eq_u32_e64 s[14:15], 7, v0
	v_cmp_eq_u32_e64 s[16:17], 8, v0
	v_cmp_eq_u32_e64 s[18:19], 9, v0
	v_cndmask_b32_e64 v96, v96, v49, s[14:15]
	;; [unrolled: 6-line block ×3, first 2 shown]
	v_cndmask_b32_e64 v96, v96, v57, s[22:23]
	v_cndmask_b32_e64 v96, v96, v59, s[24:25]
	v_cmp_eq_u32_e64 s[26:27], 13, v0
	v_cmp_eq_u32_e64 s[28:29], 14, v0
	ds_read_b64 v[98:99], v101
	v_cndmask_b32_e64 v96, v96, v61, s[26:27]
	v_cndmask_b32_e64 v97, v96, v63, s[28:29]
	v_cndmask_b32_e32 v96, v34, v36, vcc
	v_cndmask_b32_e64 v96, v96, v38, s[4:5]
	v_cndmask_b32_e64 v96, v96, v40, s[6:7]
	;; [unrolled: 1-line block ×13, first 2 shown]
	s_waitcnt lgkmcnt(0)
	v_mul_f64 v[96:97], v[96:97], v[98:99]
	s_cbranch_execz .LBB78_165
	s_branch .LBB78_166
.LBB78_164:
                                        ; implicit-def: $vgpr96_vgpr97
.LBB78_165:
	ds_read_b64 v[96:97], v101
.LBB78_166:
	s_and_saveexec_b64 s[6:7], s[2:3]
	s_cbranch_execz .LBB78_176
; %bb.167:
	v_add_u32_e32 v98, -4, v0
	v_add_u32_e32 v99, -3, v0
	v_cmp_lt_u32_e32 vcc, 6, v98
	v_mov_b32_e32 v98, 3
	s_and_saveexec_b64 s[2:3], vcc
	s_cbranch_execz .LBB78_171
; %bb.168:
	v_and_b32_e32 v98, -8, v99
	v_sub_u32_e32 v100, 0, v98
	s_mov_b64 s[4:5], 10
	s_movk_i32 s10, 0x98
	s_mov_b64 s[8:9], 0
.LBB78_169:                             ; =>This Inner Loop Header: Depth=1
	s_lshl_b32 s11, s4, 1
	s_add_i32 s12, s11, -13
	v_mov_b32_e32 v116, s10
	s_add_i32 s13, s11, -14
	s_set_gpr_idx_on s12, gpr_idx(SRC0)
	v_mov_b32_e32 v111, v34
	s_set_gpr_idx_off
	s_add_i32 s14, s11, -11
	s_set_gpr_idx_on s13, gpr_idx(SRC0)
	v_mov_b32_e32 v110, v34
	s_set_gpr_idx_off
	ds_read2_b64 v[102:105], v116 offset1:1
	s_add_i32 s15, s11, -12
	s_set_gpr_idx_on s14, gpr_idx(SRC0)
	v_mov_b32_e32 v113, v34
	s_set_gpr_idx_off
	s_add_i32 s16, s11, -9
	s_set_gpr_idx_on s15, gpr_idx(SRC0)
	v_mov_b32_e32 v112, v34
	s_set_gpr_idx_off
	;; [unrolled: 4-line block ×4, first 2 shown]
	ds_read2_b64 v[106:109], v116 offset0:2 offset1:3
	s_add_i32 s19, s11, -8
	s_waitcnt lgkmcnt(1)
	v_fmac_f64_e32 v[96:97], v[110:111], v[102:103]
	s_set_gpr_idx_on s18, gpr_idx(SRC0)
	v_mov_b32_e32 v111, v34
	s_set_gpr_idx_off
	s_add_i32 s20, s11, -5
	v_fmac_f64_e32 v[96:97], v[112:113], v[104:105]
	s_set_gpr_idx_on s19, gpr_idx(SRC0)
	v_mov_b32_e32 v110, v34
	s_set_gpr_idx_off
	s_add_i32 s21, s11, -6
	s_set_gpr_idx_on s20, gpr_idx(SRC0)
	v_mov_b32_e32 v113, v34
	s_set_gpr_idx_off
	s_add_i32 s22, s11, -3
	;; [unrolled: 4-line block ×3, first 2 shown]
	ds_read2_b64 v[102:105], v116 offset0:4 offset1:5
	s_waitcnt lgkmcnt(1)
	v_fmac_f64_e32 v[96:97], v[114:115], v[106:107]
	s_set_gpr_idx_on s22, gpr_idx(SRC0)
	v_mov_b32_e32 v115, v34
	s_set_gpr_idx_off
	s_add_i32 s24, s11, -1
	v_fmac_f64_e32 v[96:97], v[110:111], v[108:109]
	s_set_gpr_idx_on s23, gpr_idx(SRC0)
	v_mov_b32_e32 v114, v34
	s_set_gpr_idx_off
	s_add_i32 s25, s11, -2
	s_set_gpr_idx_on s24, gpr_idx(SRC0)
	v_mov_b32_e32 v111, v34
	s_set_gpr_idx_off
	s_set_gpr_idx_on s25, gpr_idx(SRC0)
	v_mov_b32_e32 v110, v34
	s_set_gpr_idx_off
	ds_read2_b64 v[106:109], v116 offset0:6 offset1:7
	s_add_u32 s4, s4, 8
	s_waitcnt lgkmcnt(1)
	v_fmac_f64_e32 v[96:97], v[112:113], v[102:103]
	s_set_gpr_idx_on s11, gpr_idx(SRC0)
	v_mov_b32_e32 v103, v35
	s_set_gpr_idx_off
	v_add_u32_e32 v98, s4, v100
	v_fmac_f64_e32 v[96:97], v[114:115], v[104:105]
	s_set_gpr_idx_on s11, gpr_idx(SRC0)
	v_mov_b32_e32 v102, v34
	s_set_gpr_idx_off
	s_addc_u32 s5, s5, 0
	s_add_i32 s10, s10, 64
	s_add_i32 s12, s4, -7
	v_cmp_eq_u32_e32 vcc, 10, v98
	s_waitcnt lgkmcnt(0)
	v_fmac_f64_e32 v[96:97], v[110:111], v[106:107]
	v_mov_b32_e32 v98, s12
	s_or_b64 s[8:9], vcc, s[8:9]
	v_fmac_f64_e32 v[96:97], v[102:103], v[108:109]
	s_andn2_b64 exec, exec, s[8:9]
	s_cbranch_execnz .LBB78_169
; %bb.170:
	s_or_b64 exec, exec, s[8:9]
.LBB78_171:
	s_or_b64 exec, exec, s[2:3]
	v_and_b32_e32 v64, 7, v99
	v_cmp_ne_u32_e32 vcc, 0, v64
	s_and_saveexec_b64 s[8:9], vcc
	s_cbranch_execz .LBB78_175
; %bb.172:
	v_mov_b32_e32 v65, 0x80
	v_lshl_add_u32 v65, v98, 3, v65
	v_mov_b32_e32 v99, 0
	s_mov_b64 s[10:11], 0
.LBB78_173:                             ; =>This Inner Loop Header: Depth=1
	v_cmp_eq_u32_e32 vcc, 1, v98
	v_add_u32_e32 v64, -1, v64
	v_cmp_eq_u32_e64 s[2:3], 2, v98
	v_cndmask_b32_e32 v100, v35, v37, vcc
	v_cndmask_b32_e32 v104, v34, v36, vcc
	v_cndmask_b32_e64 v100, v100, v39, s[2:3]
	v_cmp_eq_u32_e32 vcc, 0, v64
	v_cmp_eq_u32_e64 s[4:5], 3, v98
	v_cndmask_b32_e64 v104, v104, v38, s[2:3]
	s_or_b64 s[10:11], vcc, s[10:11]
	v_cndmask_b32_e64 v100, v100, v41, s[4:5]
	v_cmp_eq_u32_e32 vcc, 4, v98
	v_cndmask_b32_e64 v104, v104, v40, s[4:5]
	v_cmp_eq_u32_e64 s[2:3], 5, v98
	v_cndmask_b32_e32 v100, v100, v43, vcc
	v_cndmask_b32_e32 v104, v104, v42, vcc
	v_cndmask_b32_e64 v100, v100, v45, s[2:3]
	v_cmp_eq_u32_e32 vcc, 6, v98
	v_cndmask_b32_e64 v104, v104, v44, s[2:3]
	v_cmp_eq_u32_e64 s[2:3], 7, v98
	v_cndmask_b32_e32 v100, v100, v47, vcc
	v_cndmask_b32_e32 v104, v104, v46, vcc
	;; [unrolled: 6-line block ×3, first 2 shown]
	v_cndmask_b32_e64 v100, v100, v53, s[2:3]
	v_cmp_eq_u32_e32 vcc, 10, v98
	v_cndmask_b32_e64 v104, v104, v52, s[2:3]
	v_cmp_eq_u32_e64 s[2:3], 11, v98
	v_cndmask_b32_e32 v100, v100, v55, vcc
	ds_read_b64 v[102:103], v65
	v_cndmask_b32_e64 v100, v100, v57, s[2:3]
	v_cndmask_b32_e32 v104, v104, v54, vcc
	v_cmp_eq_u32_e32 vcc, 12, v98
	v_cndmask_b32_e64 v104, v104, v56, s[2:3]
	v_cmp_eq_u32_e64 s[2:3], 13, v98
	v_cndmask_b32_e32 v100, v100, v59, vcc
	v_cmp_eq_u32_e64 s[4:5], 14, v98
	v_cndmask_b32_e64 v100, v100, v61, s[2:3]
	v_cndmask_b32_e32 v104, v104, v58, vcc
	v_cndmask_b32_e64 v105, v100, v63, s[4:5]
	v_cndmask_b32_e64 v100, v104, v60, s[2:3]
	;; [unrolled: 1-line block ×3, first 2 shown]
	v_add_u32_e32 v65, 8, v65
	v_lshl_add_u64 v[98:99], v[98:99], 0, 1
	s_waitcnt lgkmcnt(0)
	v_fmac_f64_e32 v[96:97], v[104:105], v[102:103]
	s_andn2_b64 exec, exec, s[10:11]
	s_cbranch_execnz .LBB78_173
; %bb.174:
	s_or_b64 exec, exec, s[10:11]
.LBB78_175:
	s_or_b64 exec, exec, s[8:9]
.LBB78_176:
	s_or_b64 exec, exec, s[6:7]
	v_mov_b32_e32 v38, 0
	ds_read_b64 v[38:39], v38 offset:16
	s_waitcnt lgkmcnt(0)
	v_mul_f64 v[38:39], v[96:97], v[38:39]
.LBB78_177:
	s_or_b64 exec, exec, s[34:35]
	v_cmp_lt_u32_e64 s[2:3], 1, v0
	ds_write_b64 v101, v[36:37]
	s_waitcnt lgkmcnt(0)
	; wave barrier
	s_and_saveexec_b64 s[34:35], s[2:3]
	s_cbranch_execz .LBB78_193
; %bb.178:
	s_andn2_b64 vcc, exec, s[30:31]
	s_cbranch_vccnz .LBB78_180
; %bb.179:
	v_cmp_eq_u32_e32 vcc, 1, v0
	v_cmp_eq_u32_e64 s[4:5], 2, v0
	v_cmp_eq_u32_e64 s[6:7], 3, v0
	v_cndmask_b32_e32 v96, v35, v37, vcc
	v_cndmask_b32_e64 v96, v96, v39, s[4:5]
	v_cndmask_b32_e64 v96, v96, v41, s[6:7]
	v_cmp_eq_u32_e64 s[8:9], 4, v0
	v_cmp_eq_u32_e64 s[10:11], 5, v0
	v_cmp_eq_u32_e64 s[12:13], 6, v0
	v_cndmask_b32_e64 v96, v96, v43, s[8:9]
	v_cndmask_b32_e64 v96, v96, v45, s[10:11]
	v_cndmask_b32_e64 v96, v96, v47, s[12:13]
	v_cmp_eq_u32_e64 s[14:15], 7, v0
	v_cmp_eq_u32_e64 s[16:17], 8, v0
	v_cmp_eq_u32_e64 s[18:19], 9, v0
	v_cndmask_b32_e64 v96, v96, v49, s[14:15]
	v_cndmask_b32_e64 v96, v96, v51, s[16:17]
	v_cndmask_b32_e64 v96, v96, v53, s[18:19]
	v_cmp_eq_u32_e64 s[20:21], 10, v0
	v_cmp_eq_u32_e64 s[22:23], 11, v0
	v_cmp_eq_u32_e64 s[24:25], 12, v0
	v_cndmask_b32_e64 v96, v96, v55, s[20:21]
	v_cndmask_b32_e64 v96, v96, v57, s[22:23]
	v_cndmask_b32_e64 v96, v96, v59, s[24:25]
	v_cmp_eq_u32_e64 s[26:27], 13, v0
	v_cmp_eq_u32_e64 s[28:29], 14, v0
	ds_read_b64 v[98:99], v101
	v_cndmask_b32_e64 v96, v96, v61, s[26:27]
	v_cndmask_b32_e64 v97, v96, v63, s[28:29]
	v_cndmask_b32_e32 v96, v34, v36, vcc
	v_cndmask_b32_e64 v96, v96, v38, s[4:5]
	v_cndmask_b32_e64 v96, v96, v40, s[6:7]
	;; [unrolled: 1-line block ×13, first 2 shown]
	s_waitcnt lgkmcnt(0)
	v_mul_f64 v[96:97], v[96:97], v[98:99]
	s_cbranch_execz .LBB78_181
	s_branch .LBB78_182
.LBB78_180:
                                        ; implicit-def: $vgpr96_vgpr97
.LBB78_181:
	ds_read_b64 v[96:97], v101
.LBB78_182:
	s_and_saveexec_b64 s[6:7], s[0:1]
	s_cbranch_execz .LBB78_192
; %bb.183:
	v_add_u32_e32 v98, -3, v0
	v_add_u32_e32 v99, -2, v0
	v_cmp_lt_u32_e32 vcc, 6, v98
	v_mov_b32_e32 v98, 2
	s_and_saveexec_b64 s[0:1], vcc
	s_cbranch_execz .LBB78_187
; %bb.184:
	v_and_b32_e32 v98, -8, v99
	v_sub_u32_e32 v100, 0, v98
	s_mov_b64 s[4:5], 9
	s_movk_i32 s10, 0x90
	s_mov_b64 s[8:9], 0
.LBB78_185:                             ; =>This Inner Loop Header: Depth=1
	s_lshl_b32 s11, s4, 1
	s_add_i32 s12, s11, -13
	s_add_i32 s13, s11, -14
	s_set_gpr_idx_on s12, gpr_idx(SRC0)
	v_mov_b32_e32 v119, v34
	s_set_gpr_idx_off
	v_mov_b32_e32 v98, s10
	s_add_i32 s14, s11, -11
	s_set_gpr_idx_on s13, gpr_idx(SRC0)
	v_mov_b32_e32 v118, v34
	s_set_gpr_idx_off
	s_add_i32 s15, s11, -12
	ds_read_b128 v[102:105], v98
	ds_read_b128 v[106:109], v98 offset:16
	ds_read_b128 v[110:113], v98 offset:32
	;; [unrolled: 1-line block ×3, first 2 shown]
	s_set_gpr_idx_on s14, gpr_idx(SRC0)
	v_mov_b32_e32 v121, v34
	s_set_gpr_idx_off
	s_add_i32 s16, s11, -9
	s_set_gpr_idx_on s15, gpr_idx(SRC0)
	v_mov_b32_e32 v120, v34
	s_set_gpr_idx_off
	s_add_i32 s17, s11, -10
	;; [unrolled: 4-line block ×4, first 2 shown]
	s_waitcnt lgkmcnt(3)
	v_fmac_f64_e32 v[96:97], v[118:119], v[102:103]
	s_set_gpr_idx_on s18, gpr_idx(SRC0)
	v_mov_b32_e32 v103, v34
	s_set_gpr_idx_off
	s_add_i32 s20, s11, -5
	v_fmac_f64_e32 v[96:97], v[120:121], v[104:105]
	s_set_gpr_idx_on s19, gpr_idx(SRC0)
	v_mov_b32_e32 v102, v34
	s_set_gpr_idx_off
	s_add_i32 s21, s11, -6
	s_waitcnt lgkmcnt(2)
	v_fmac_f64_e32 v[96:97], v[122:123], v[106:107]
	s_set_gpr_idx_on s20, gpr_idx(SRC0)
	v_mov_b32_e32 v105, v34
	s_set_gpr_idx_off
	s_add_i32 s22, s11, -3
	v_fmac_f64_e32 v[96:97], v[102:103], v[108:109]
	s_set_gpr_idx_on s21, gpr_idx(SRC0)
	v_mov_b32_e32 v104, v34
	s_set_gpr_idx_off
	s_add_i32 s23, s11, -4
	s_waitcnt lgkmcnt(1)
	v_fmac_f64_e32 v[96:97], v[104:105], v[110:111]
	s_set_gpr_idx_on s22, gpr_idx(SRC0)
	v_mov_b32_e32 v103, v34
	s_set_gpr_idx_off
	s_add_i32 s24, s11, -1
	s_set_gpr_idx_on s23, gpr_idx(SRC0)
	v_mov_b32_e32 v102, v34
	s_set_gpr_idx_off
	s_add_i32 s25, s11, -2
	v_fmac_f64_e32 v[96:97], v[102:103], v[112:113]
	s_set_gpr_idx_on s24, gpr_idx(SRC0)
	v_mov_b32_e32 v103, v34
	s_set_gpr_idx_off
	s_add_u32 s4, s4, 8
	s_set_gpr_idx_on s25, gpr_idx(SRC0)
	v_mov_b32_e32 v102, v34
	s_set_gpr_idx_off
	v_add_u32_e32 v98, s4, v100
	s_waitcnt lgkmcnt(0)
	v_fmac_f64_e32 v[96:97], v[102:103], v[114:115]
	s_set_gpr_idx_on s11, gpr_idx(SRC0)
	v_mov_b32_e32 v103, v35
	s_set_gpr_idx_off
	s_addc_u32 s5, s5, 0
	s_add_i32 s10, s10, 64
	s_add_i32 s12, s4, -7
	v_cmp_eq_u32_e32 vcc, 9, v98
	s_set_gpr_idx_on s11, gpr_idx(SRC0)
	v_mov_b32_e32 v102, v34
	s_set_gpr_idx_off
	v_mov_b32_e32 v98, s12
	s_or_b64 s[8:9], vcc, s[8:9]
	v_fmac_f64_e32 v[96:97], v[102:103], v[116:117]
	s_andn2_b64 exec, exec, s[8:9]
	s_cbranch_execnz .LBB78_185
; %bb.186:
	s_or_b64 exec, exec, s[8:9]
.LBB78_187:
	s_or_b64 exec, exec, s[0:1]
	v_and_b32_e32 v64, 7, v99
	v_cmp_ne_u32_e32 vcc, 0, v64
	s_and_saveexec_b64 s[8:9], vcc
	s_cbranch_execz .LBB78_191
; %bb.188:
	v_mov_b32_e32 v65, 0x80
	v_lshl_add_u32 v65, v98, 3, v65
	v_mov_b32_e32 v99, 0
	s_mov_b64 s[10:11], 0
.LBB78_189:                             ; =>This Inner Loop Header: Depth=1
	v_cmp_eq_u32_e32 vcc, 1, v98
	v_add_u32_e32 v64, -1, v64
	v_cmp_eq_u32_e64 s[0:1], 2, v98
	v_cndmask_b32_e32 v100, v35, v37, vcc
	v_cndmask_b32_e32 v104, v34, v36, vcc
	v_cndmask_b32_e64 v100, v100, v39, s[0:1]
	v_cmp_eq_u32_e32 vcc, 0, v64
	v_cmp_eq_u32_e64 s[4:5], 3, v98
	v_cndmask_b32_e64 v104, v104, v38, s[0:1]
	s_or_b64 s[10:11], vcc, s[10:11]
	v_cndmask_b32_e64 v100, v100, v41, s[4:5]
	v_cmp_eq_u32_e32 vcc, 4, v98
	v_cndmask_b32_e64 v104, v104, v40, s[4:5]
	v_cmp_eq_u32_e64 s[0:1], 5, v98
	v_cndmask_b32_e32 v100, v100, v43, vcc
	v_cndmask_b32_e32 v104, v104, v42, vcc
	v_cndmask_b32_e64 v100, v100, v45, s[0:1]
	v_cmp_eq_u32_e32 vcc, 6, v98
	v_cndmask_b32_e64 v104, v104, v44, s[0:1]
	v_cmp_eq_u32_e64 s[0:1], 7, v98
	v_cndmask_b32_e32 v100, v100, v47, vcc
	v_cndmask_b32_e32 v104, v104, v46, vcc
	v_cndmask_b32_e64 v100, v100, v49, s[0:1]
	v_cmp_eq_u32_e32 vcc, 8, v98
	v_cndmask_b32_e64 v104, v104, v48, s[0:1]
	v_cmp_eq_u32_e64 s[0:1], 9, v98
	v_cndmask_b32_e32 v100, v100, v51, vcc
	v_cndmask_b32_e32 v104, v104, v50, vcc
	v_cndmask_b32_e64 v100, v100, v53, s[0:1]
	v_cmp_eq_u32_e32 vcc, 10, v98
	v_cndmask_b32_e64 v104, v104, v52, s[0:1]
	v_cmp_eq_u32_e64 s[0:1], 11, v98
	v_cndmask_b32_e32 v100, v100, v55, vcc
	ds_read_b64 v[102:103], v65
	v_cndmask_b32_e64 v100, v100, v57, s[0:1]
	v_cndmask_b32_e32 v104, v104, v54, vcc
	v_cmp_eq_u32_e32 vcc, 12, v98
	v_cndmask_b32_e64 v104, v104, v56, s[0:1]
	v_cmp_eq_u32_e64 s[0:1], 13, v98
	v_cndmask_b32_e32 v100, v100, v59, vcc
	v_cmp_eq_u32_e64 s[4:5], 14, v98
	v_cndmask_b32_e64 v100, v100, v61, s[0:1]
	v_cndmask_b32_e32 v104, v104, v58, vcc
	v_cndmask_b32_e64 v105, v100, v63, s[4:5]
	v_cndmask_b32_e64 v100, v104, v60, s[0:1]
	;; [unrolled: 1-line block ×3, first 2 shown]
	v_add_u32_e32 v65, 8, v65
	v_lshl_add_u64 v[98:99], v[98:99], 0, 1
	s_waitcnt lgkmcnt(0)
	v_fmac_f64_e32 v[96:97], v[104:105], v[102:103]
	s_andn2_b64 exec, exec, s[10:11]
	s_cbranch_execnz .LBB78_189
; %bb.190:
	s_or_b64 exec, exec, s[10:11]
.LBB78_191:
	s_or_b64 exec, exec, s[8:9]
.LBB78_192:
	s_or_b64 exec, exec, s[6:7]
	v_mov_b32_e32 v36, 0
	ds_read_b64 v[36:37], v36 offset:8
	s_waitcnt lgkmcnt(0)
	v_mul_f64 v[36:37], v[96:97], v[36:37]
.LBB78_193:
	s_or_b64 exec, exec, s[34:35]
	v_cmp_ne_u32_e32 vcc, 0, v0
	ds_write_b64 v101, v[34:35]
	s_waitcnt lgkmcnt(0)
	; wave barrier
	s_and_saveexec_b64 s[28:29], vcc
	s_cbranch_execz .LBB78_209
; %bb.194:
	s_andn2_b64 vcc, exec, s[30:31]
	s_cbranch_vccnz .LBB78_196
; %bb.195:
	v_cmp_eq_u32_e32 vcc, 1, v0
	v_cmp_eq_u32_e64 s[0:1], 2, v0
	v_cmp_eq_u32_e64 s[4:5], 3, v0
	v_cndmask_b32_e32 v96, v35, v37, vcc
	v_cndmask_b32_e64 v96, v96, v39, s[0:1]
	v_cndmask_b32_e64 v96, v96, v41, s[4:5]
	v_cmp_eq_u32_e64 s[6:7], 4, v0
	v_cmp_eq_u32_e64 s[8:9], 5, v0
	v_cmp_eq_u32_e64 s[10:11], 6, v0
	v_cndmask_b32_e64 v96, v96, v43, s[6:7]
	v_cndmask_b32_e64 v96, v96, v45, s[8:9]
	v_cndmask_b32_e64 v96, v96, v47, s[10:11]
	v_cmp_eq_u32_e64 s[12:13], 7, v0
	v_cmp_eq_u32_e64 s[14:15], 8, v0
	v_cmp_eq_u32_e64 s[16:17], 9, v0
	v_cndmask_b32_e64 v96, v96, v49, s[12:13]
	;; [unrolled: 6-line block ×3, first 2 shown]
	v_cndmask_b32_e64 v96, v96, v57, s[20:21]
	v_cndmask_b32_e64 v96, v96, v59, s[22:23]
	v_cmp_eq_u32_e64 s[24:25], 13, v0
	v_cmp_eq_u32_e64 s[26:27], 14, v0
	ds_read_b64 v[98:99], v101
	v_cndmask_b32_e64 v96, v96, v61, s[24:25]
	v_cndmask_b32_e64 v97, v96, v63, s[26:27]
	v_cndmask_b32_e32 v96, v34, v36, vcc
	v_cndmask_b32_e64 v96, v96, v38, s[0:1]
	v_cndmask_b32_e64 v96, v96, v40, s[4:5]
	;; [unrolled: 1-line block ×13, first 2 shown]
	s_waitcnt lgkmcnt(0)
	v_mul_f64 v[96:97], v[96:97], v[98:99]
	s_cbranch_execz .LBB78_197
	s_branch .LBB78_198
.LBB78_196:
                                        ; implicit-def: $vgpr96_vgpr97
.LBB78_197:
	ds_read_b64 v[96:97], v101
.LBB78_198:
	s_and_saveexec_b64 s[4:5], s[2:3]
	s_cbranch_execz .LBB78_208
; %bb.199:
	v_add_u32_e32 v98, -2, v0
	v_add_u32_e32 v99, -1, v0
	v_cmp_lt_u32_e32 vcc, 6, v98
	v_mov_b32_e32 v98, 1
	s_and_saveexec_b64 s[0:1], vcc
	s_cbranch_execz .LBB78_203
; %bb.200:
	v_and_b32_e32 v98, -8, v99
	v_sub_u32_e32 v100, 0, v98
	s_mov_b64 s[2:3], 8
	s_movk_i32 s8, 0x88
	s_mov_b64 s[6:7], 0
.LBB78_201:                             ; =>This Inner Loop Header: Depth=1
	s_lshl_b32 s9, s2, 1
	s_add_i32 s10, s9, -13
	v_mov_b32_e32 v116, s8
	s_add_i32 s11, s9, -14
	s_set_gpr_idx_on s10, gpr_idx(SRC0)
	v_mov_b32_e32 v111, v34
	s_set_gpr_idx_off
	s_add_i32 s12, s9, -11
	s_set_gpr_idx_on s11, gpr_idx(SRC0)
	v_mov_b32_e32 v110, v34
	s_set_gpr_idx_off
	ds_read2_b64 v[102:105], v116 offset1:1
	s_add_i32 s13, s9, -12
	s_set_gpr_idx_on s12, gpr_idx(SRC0)
	v_mov_b32_e32 v113, v34
	s_set_gpr_idx_off
	s_add_i32 s14, s9, -9
	s_set_gpr_idx_on s13, gpr_idx(SRC0)
	v_mov_b32_e32 v112, v34
	s_set_gpr_idx_off
	;; [unrolled: 4-line block ×4, first 2 shown]
	ds_read2_b64 v[106:109], v116 offset0:2 offset1:3
	s_add_i32 s17, s9, -8
	s_waitcnt lgkmcnt(1)
	v_fmac_f64_e32 v[96:97], v[110:111], v[102:103]
	s_set_gpr_idx_on s16, gpr_idx(SRC0)
	v_mov_b32_e32 v111, v34
	s_set_gpr_idx_off
	s_add_i32 s18, s9, -5
	v_fmac_f64_e32 v[96:97], v[112:113], v[104:105]
	s_set_gpr_idx_on s17, gpr_idx(SRC0)
	v_mov_b32_e32 v110, v34
	s_set_gpr_idx_off
	s_add_i32 s19, s9, -6
	s_set_gpr_idx_on s18, gpr_idx(SRC0)
	v_mov_b32_e32 v113, v34
	s_set_gpr_idx_off
	s_add_i32 s20, s9, -3
	;; [unrolled: 4-line block ×3, first 2 shown]
	ds_read2_b64 v[102:105], v116 offset0:4 offset1:5
	s_waitcnt lgkmcnt(1)
	v_fmac_f64_e32 v[96:97], v[114:115], v[106:107]
	s_set_gpr_idx_on s20, gpr_idx(SRC0)
	v_mov_b32_e32 v115, v34
	s_set_gpr_idx_off
	s_add_i32 s22, s9, -1
	v_fmac_f64_e32 v[96:97], v[110:111], v[108:109]
	s_set_gpr_idx_on s21, gpr_idx(SRC0)
	v_mov_b32_e32 v114, v34
	s_set_gpr_idx_off
	s_add_i32 s23, s9, -2
	s_set_gpr_idx_on s22, gpr_idx(SRC0)
	v_mov_b32_e32 v111, v34
	s_set_gpr_idx_off
	s_set_gpr_idx_on s23, gpr_idx(SRC0)
	v_mov_b32_e32 v110, v34
	s_set_gpr_idx_off
	ds_read2_b64 v[106:109], v116 offset0:6 offset1:7
	s_add_u32 s2, s2, 8
	s_waitcnt lgkmcnt(1)
	v_fmac_f64_e32 v[96:97], v[112:113], v[102:103]
	s_set_gpr_idx_on s9, gpr_idx(SRC0)
	v_mov_b32_e32 v103, v35
	s_set_gpr_idx_off
	v_add_u32_e32 v98, s2, v100
	v_fmac_f64_e32 v[96:97], v[114:115], v[104:105]
	s_set_gpr_idx_on s9, gpr_idx(SRC0)
	v_mov_b32_e32 v102, v34
	s_set_gpr_idx_off
	s_addc_u32 s3, s3, 0
	s_add_i32 s8, s8, 64
	s_add_i32 s10, s2, -7
	v_cmp_eq_u32_e32 vcc, 8, v98
	s_waitcnt lgkmcnt(0)
	v_fmac_f64_e32 v[96:97], v[110:111], v[106:107]
	v_mov_b32_e32 v98, s10
	s_or_b64 s[6:7], vcc, s[6:7]
	v_fmac_f64_e32 v[96:97], v[102:103], v[108:109]
	s_andn2_b64 exec, exec, s[6:7]
	s_cbranch_execnz .LBB78_201
; %bb.202:
	s_or_b64 exec, exec, s[6:7]
.LBB78_203:
	s_or_b64 exec, exec, s[0:1]
	v_and_b32_e32 v64, 7, v99
	v_cmp_ne_u32_e32 vcc, 0, v64
	s_and_saveexec_b64 s[6:7], vcc
	s_cbranch_execz .LBB78_207
; %bb.204:
	v_mov_b32_e32 v65, 0x80
	v_lshl_add_u32 v65, v98, 3, v65
	v_mov_b32_e32 v99, 0
	s_mov_b64 s[8:9], 0
.LBB78_205:                             ; =>This Inner Loop Header: Depth=1
	v_cmp_eq_u32_e32 vcc, 1, v98
	v_add_u32_e32 v64, -1, v64
	v_cmp_eq_u32_e64 s[0:1], 2, v98
	v_cndmask_b32_e32 v100, v35, v37, vcc
	v_cndmask_b32_e32 v104, v34, v36, vcc
	v_cndmask_b32_e64 v100, v100, v39, s[0:1]
	v_cmp_eq_u32_e32 vcc, 0, v64
	v_cmp_eq_u32_e64 s[2:3], 3, v98
	v_cndmask_b32_e64 v104, v104, v38, s[0:1]
	s_or_b64 s[8:9], vcc, s[8:9]
	v_cndmask_b32_e64 v100, v100, v41, s[2:3]
	v_cmp_eq_u32_e32 vcc, 4, v98
	v_cndmask_b32_e64 v104, v104, v40, s[2:3]
	v_cmp_eq_u32_e64 s[0:1], 5, v98
	v_cndmask_b32_e32 v100, v100, v43, vcc
	v_cndmask_b32_e32 v104, v104, v42, vcc
	v_cndmask_b32_e64 v100, v100, v45, s[0:1]
	v_cmp_eq_u32_e32 vcc, 6, v98
	v_cndmask_b32_e64 v104, v104, v44, s[0:1]
	v_cmp_eq_u32_e64 s[0:1], 7, v98
	v_cndmask_b32_e32 v100, v100, v47, vcc
	v_cndmask_b32_e32 v104, v104, v46, vcc
	;; [unrolled: 6-line block ×3, first 2 shown]
	v_cndmask_b32_e64 v100, v100, v53, s[0:1]
	v_cmp_eq_u32_e32 vcc, 10, v98
	v_cndmask_b32_e64 v104, v104, v52, s[0:1]
	v_cmp_eq_u32_e64 s[0:1], 11, v98
	v_cndmask_b32_e32 v100, v100, v55, vcc
	ds_read_b64 v[102:103], v65
	v_cndmask_b32_e64 v100, v100, v57, s[0:1]
	v_cndmask_b32_e32 v104, v104, v54, vcc
	v_cmp_eq_u32_e32 vcc, 12, v98
	v_cndmask_b32_e64 v104, v104, v56, s[0:1]
	v_cmp_eq_u32_e64 s[0:1], 13, v98
	v_cndmask_b32_e32 v100, v100, v59, vcc
	v_cmp_eq_u32_e64 s[2:3], 14, v98
	v_cndmask_b32_e64 v100, v100, v61, s[0:1]
	v_cndmask_b32_e32 v104, v104, v58, vcc
	v_cndmask_b32_e64 v105, v100, v63, s[2:3]
	v_cndmask_b32_e64 v100, v104, v60, s[0:1]
	;; [unrolled: 1-line block ×3, first 2 shown]
	v_add_u32_e32 v65, 8, v65
	v_lshl_add_u64 v[98:99], v[98:99], 0, 1
	s_waitcnt lgkmcnt(0)
	v_fmac_f64_e32 v[96:97], v[104:105], v[102:103]
	s_andn2_b64 exec, exec, s[8:9]
	s_cbranch_execnz .LBB78_205
; %bb.206:
	s_or_b64 exec, exec, s[8:9]
.LBB78_207:
	s_or_b64 exec, exec, s[6:7]
.LBB78_208:
	s_or_b64 exec, exec, s[4:5]
	v_mov_b32_e32 v34, 0
	ds_read_b64 v[34:35], v34
	s_waitcnt lgkmcnt(0)
	v_mul_f64 v[34:35], v[96:97], v[34:35]
.LBB78_209:
	s_or_b64 exec, exec, s[28:29]
	s_branch .LBB78_353
.LBB78_210:
	v_cmp_eq_u32_e64 s[2:3], 0, v0
	s_waitcnt vmcnt(0) lgkmcnt(0)
	ds_write_b64 v101, v[4:5]
	s_waitcnt lgkmcnt(0)
	; wave barrier
	s_and_saveexec_b64 s[28:29], s[2:3]
	s_cbranch_execz .LBB78_216
; %bb.211:
	s_and_b64 vcc, exec, s[30:31]
	s_cbranch_vccz .LBB78_213
; %bb.212:
	v_cmp_eq_u32_e32 vcc, 1, v0
	v_cmp_eq_u32_e64 s[0:1], 2, v0
	v_cmp_eq_u32_e64 s[4:5], 3, v0
	v_cndmask_b32_e32 v5, v3, v5, vcc
	v_cndmask_b32_e32 v4, v2, v4, vcc
	v_cndmask_b32_e64 v5, v5, v7, s[0:1]
	v_cndmask_b32_e64 v4, v4, v6, s[0:1]
	v_cndmask_b32_e64 v5, v5, v9, s[4:5]
	v_cmp_eq_u32_e64 s[6:7], 4, v0
	v_cndmask_b32_e64 v4, v4, v8, s[4:5]
	v_cmp_eq_u32_e64 s[8:9], 5, v0
	v_cndmask_b32_e64 v5, v5, v11, s[6:7]
	v_cndmask_b32_e64 v4, v4, v10, s[6:7]
	v_cndmask_b32_e64 v5, v5, v13, s[8:9]
	v_cmp_eq_u32_e64 s[10:11], 6, v0
	v_cndmask_b32_e64 v4, v4, v12, s[8:9]
	v_cmp_eq_u32_e64 s[12:13], 7, v0
	;; [unrolled: 6-line block ×4, first 2 shown]
	v_cndmask_b32_e64 v5, v5, v23, s[18:19]
	v_cndmask_b32_e64 v4, v4, v22, s[18:19]
	ds_read_b64 v[32:33], v101
	v_cndmask_b32_e64 v5, v5, v25, s[20:21]
	v_cmp_eq_u32_e64 s[22:23], 12, v0
	v_cndmask_b32_e64 v4, v4, v24, s[20:21]
	v_cmp_eq_u32_e64 s[24:25], 13, v0
	v_cndmask_b32_e64 v5, v5, v27, s[22:23]
	v_cndmask_b32_e64 v4, v4, v26, s[22:23]
	;; [unrolled: 1-line block ×3, first 2 shown]
	v_cmp_eq_u32_e64 s[26:27], 14, v0
	v_cndmask_b32_e64 v4, v4, v28, s[24:25]
	s_nop 0
	v_cndmask_b32_e64 v5, v5, v31, s[26:27]
	v_cndmask_b32_e64 v4, v4, v30, s[26:27]
	s_waitcnt lgkmcnt(0)
	v_mul_f64 v[4:5], v[4:5], v[32:33]
	s_cbranch_execz .LBB78_214
	s_branch .LBB78_215
.LBB78_213:
                                        ; implicit-def: $vgpr4_vgpr5
.LBB78_214:
	ds_read_b64 v[4:5], v101
.LBB78_215:
	v_mov_b32_e32 v32, 0
	ds_read_b64 v[32:33], v32 offset:8
	s_waitcnt lgkmcnt(0)
	v_mul_f64 v[4:5], v[4:5], v[32:33]
.LBB78_216:
	s_or_b64 exec, exec, s[28:29]
	v_cndmask_b32_e64 v34, 0, 1, s[30:31]
	v_cmp_gt_u32_e32 vcc, 2, v0
	v_cmp_ne_u32_e64 s[0:1], 1, v34
	ds_write_b64 v101, v[6:7]
	s_waitcnt lgkmcnt(0)
	; wave barrier
	s_and_saveexec_b64 s[30:31], vcc
	s_cbranch_execz .LBB78_222
; %bb.217:
	s_and_b64 vcc, exec, s[0:1]
	s_cbranch_vccnz .LBB78_219
; %bb.218:
	v_cmp_eq_u32_e32 vcc, 1, v0
	v_cmp_eq_u32_e64 s[4:5], 2, v0
	v_cmp_eq_u32_e64 s[6:7], 3, v0
	v_cndmask_b32_e32 v32, v3, v5, vcc
	v_cndmask_b32_e64 v7, v32, v7, s[4:5]
	v_cndmask_b32_e32 v32, v2, v4, vcc
	v_cndmask_b32_e64 v6, v32, v6, s[4:5]
	v_cndmask_b32_e64 v7, v7, v9, s[6:7]
	v_cmp_eq_u32_e64 s[8:9], 4, v0
	v_cndmask_b32_e64 v6, v6, v8, s[6:7]
	v_cmp_eq_u32_e64 s[10:11], 5, v0
	v_cndmask_b32_e64 v7, v7, v11, s[8:9]
	v_cndmask_b32_e64 v6, v6, v10, s[8:9]
	v_cndmask_b32_e64 v7, v7, v13, s[10:11]
	v_cmp_eq_u32_e64 s[12:13], 6, v0
	v_cndmask_b32_e64 v6, v6, v12, s[10:11]
	v_cmp_eq_u32_e64 s[14:15], 7, v0
	v_cndmask_b32_e64 v7, v7, v15, s[12:13]
	;; [unrolled: 6-line block ×4, first 2 shown]
	v_cndmask_b32_e64 v6, v6, v22, s[20:21]
	ds_read_b64 v[32:33], v101
	v_cndmask_b32_e64 v7, v7, v25, s[22:23]
	v_cmp_eq_u32_e64 s[24:25], 12, v0
	v_cndmask_b32_e64 v6, v6, v24, s[22:23]
	v_cmp_eq_u32_e64 s[26:27], 13, v0
	v_cndmask_b32_e64 v7, v7, v27, s[24:25]
	v_cndmask_b32_e64 v6, v6, v26, s[24:25]
	;; [unrolled: 1-line block ×3, first 2 shown]
	v_cmp_eq_u32_e64 s[28:29], 14, v0
	v_cndmask_b32_e64 v6, v6, v28, s[26:27]
	s_nop 0
	v_cndmask_b32_e64 v7, v7, v31, s[28:29]
	v_cndmask_b32_e64 v6, v6, v30, s[28:29]
	s_waitcnt lgkmcnt(0)
	v_mul_f64 v[6:7], v[6:7], v[32:33]
	s_cbranch_execz .LBB78_220
	s_branch .LBB78_221
.LBB78_219:
                                        ; implicit-def: $vgpr6_vgpr7
.LBB78_220:
	ds_read_b64 v[6:7], v101
.LBB78_221:
	v_mov_b32_e32 v32, 0
	ds_read2_b64 v[32:35], v32 offset0:2 offset1:17
	s_waitcnt lgkmcnt(0)
	v_fma_f64 v[34:35], v[4:5], v[34:35], v[6:7]
	v_cndmask_b32_e64 v7, v7, v35, s[2:3]
	v_cndmask_b32_e64 v6, v6, v34, s[2:3]
	v_mul_f64 v[6:7], v[6:7], v[32:33]
.LBB78_222:
	s_or_b64 exec, exec, s[30:31]
	v_add_u32_e32 v36, 1, v0
	v_cmp_gt_u32_e64 s[4:5], 3, v0
	ds_write_b64 v101, v[8:9]
	s_waitcnt lgkmcnt(0)
	; wave barrier
	s_and_saveexec_b64 s[34:35], s[4:5]
	s_cbranch_execz .LBB78_230
; %bb.223:
	s_and_b64 vcc, exec, s[0:1]
	s_cbranch_vccnz .LBB78_225
; %bb.224:
	v_cmp_eq_u32_e32 vcc, 1, v0
	v_cmp_eq_u32_e64 s[6:7], 2, v0
	v_cmp_eq_u32_e64 s[8:9], 3, v0
	v_cndmask_b32_e32 v32, v3, v5, vcc
	v_cndmask_b32_e64 v32, v32, v7, s[6:7]
	v_cndmask_b32_e64 v32, v32, v9, s[8:9]
	v_cmp_eq_u32_e64 s[10:11], 4, v0
	v_cmp_eq_u32_e64 s[12:13], 5, v0
	v_cmp_eq_u32_e64 s[14:15], 6, v0
	v_cndmask_b32_e64 v32, v32, v11, s[10:11]
	v_cndmask_b32_e64 v32, v32, v13, s[12:13]
	v_cndmask_b32_e64 v32, v32, v15, s[14:15]
	v_cmp_eq_u32_e64 s[16:17], 7, v0
	v_cmp_eq_u32_e64 s[18:19], 8, v0
	v_cmp_eq_u32_e64 s[20:21], 9, v0
	v_cndmask_b32_e64 v32, v32, v17, s[16:17]
	v_cndmask_b32_e64 v32, v32, v19, s[18:19]
	v_cndmask_b32_e64 v32, v32, v21, s[20:21]
	v_cmp_eq_u32_e64 s[22:23], 10, v0
	v_cmp_eq_u32_e64 s[24:25], 11, v0
	v_cmp_eq_u32_e64 s[26:27], 12, v0
	v_cndmask_b32_e64 v32, v32, v23, s[22:23]
	v_cndmask_b32_e64 v32, v32, v25, s[24:25]
	v_cndmask_b32_e64 v32, v32, v27, s[26:27]
	v_cmp_eq_u32_e64 s[28:29], 13, v0
	v_cmp_eq_u32_e64 s[30:31], 14, v0
	ds_read_b64 v[34:35], v101
	v_cndmask_b32_e64 v32, v32, v29, s[28:29]
	v_cndmask_b32_e64 v33, v32, v31, s[30:31]
	v_cndmask_b32_e32 v32, v2, v4, vcc
	v_cndmask_b32_e64 v32, v32, v6, s[6:7]
	v_cndmask_b32_e64 v32, v32, v8, s[8:9]
	v_cndmask_b32_e64 v32, v32, v10, s[10:11]
	v_cndmask_b32_e64 v32, v32, v12, s[12:13]
	v_cndmask_b32_e64 v32, v32, v14, s[14:15]
	v_cndmask_b32_e64 v32, v32, v16, s[16:17]
	v_cndmask_b32_e64 v32, v32, v18, s[18:19]
	v_cndmask_b32_e64 v32, v32, v20, s[20:21]
	v_cndmask_b32_e64 v32, v32, v22, s[22:23]
	v_cndmask_b32_e64 v32, v32, v24, s[24:25]
	v_cndmask_b32_e64 v32, v32, v26, s[26:27]
	v_cndmask_b32_e64 v32, v32, v28, s[28:29]
	v_cndmask_b32_e64 v32, v32, v30, s[30:31]
	s_waitcnt lgkmcnt(0)
	v_mul_f64 v[32:33], v[32:33], v[34:35]
	s_cbranch_execz .LBB78_226
	s_branch .LBB78_227
.LBB78_225:
                                        ; implicit-def: $vgpr32_vgpr33
.LBB78_226:
	ds_read_b64 v[32:33], v101
.LBB78_227:
	v_cmp_ne_u32_e32 vcc, 2, v0
	s_and_saveexec_b64 s[36:37], vcc
	s_cbranch_execz .LBB78_229
; %bb.228:
	v_cmp_eq_u32_e32 vcc, 1, v36
	v_cmp_eq_u32_e64 s[6:7], 2, v36
	v_cmp_eq_u32_e64 s[8:9], 3, v36
	v_cndmask_b32_e32 v34, v3, v5, vcc
	v_cndmask_b32_e64 v34, v34, v7, s[6:7]
	v_cndmask_b32_e64 v9, v34, v9, s[8:9]
	v_cndmask_b32_e32 v34, v2, v4, vcc
	v_cndmask_b32_e64 v34, v34, v6, s[6:7]
	v_cmp_eq_u32_e64 s[10:11], 4, v36
	v_cndmask_b32_e64 v8, v34, v8, s[8:9]
	v_cmp_eq_u32_e64 s[12:13], 5, v36
	v_cndmask_b32_e64 v9, v9, v11, s[10:11]
	v_cndmask_b32_e64 v8, v8, v10, s[10:11]
	v_cndmask_b32_e64 v9, v9, v13, s[12:13]
	v_cmp_eq_u32_e64 s[14:15], 6, v36
	v_cndmask_b32_e64 v8, v8, v12, s[12:13]
	v_cmp_eq_u32_e64 s[16:17], 7, v36
	v_cndmask_b32_e64 v9, v9, v15, s[14:15]
	v_cndmask_b32_e64 v8, v8, v14, s[14:15]
	;; [unrolled: 6-line block ×4, first 2 shown]
	v_cndmask_b32_e64 v9, v9, v25, s[24:25]
	v_cmp_eq_u32_e64 s[26:27], 12, v36
	v_cndmask_b32_e64 v8, v8, v24, s[24:25]
	v_mov_b32_e32 v37, 0
	ds_read_b64 v[34:35], v101 offset:8
	ds_read_b64 v[38:39], v37 offset:144
	v_cndmask_b32_e64 v9, v9, v27, s[26:27]
	v_cmp_eq_u32_e64 s[28:29], 13, v36
	v_cndmask_b32_e64 v8, v8, v26, s[26:27]
	v_cmp_eq_u32_e64 s[30:31], 14, v36
	v_cndmask_b32_e64 v9, v9, v29, s[28:29]
	v_cndmask_b32_e64 v8, v8, v28, s[28:29]
	;; [unrolled: 1-line block ×4, first 2 shown]
	s_waitcnt lgkmcnt(1)
	v_fmac_f64_e32 v[32:33], v[8:9], v[34:35]
	s_waitcnt lgkmcnt(0)
	v_fma_f64 v[8:9], v[6:7], v[38:39], v[32:33]
	v_cndmask_b32_e64 v33, v33, v9, s[2:3]
	v_cndmask_b32_e64 v32, v32, v8, s[2:3]
.LBB78_229:
	s_or_b64 exec, exec, s[36:37]
	v_mov_b32_e32 v8, 0
	ds_read_b64 v[8:9], v8 offset:24
	s_waitcnt lgkmcnt(0)
	v_mul_f64 v[8:9], v[32:33], v[8:9]
.LBB78_230:
	s_or_b64 exec, exec, s[34:35]
	v_cmp_gt_u32_e32 vcc, 4, v0
	ds_write_b64 v101, v[10:11]
	s_waitcnt lgkmcnt(0)
	; wave barrier
	s_and_saveexec_b64 s[34:35], vcc
	s_cbranch_execz .LBB78_240
; %bb.231:
	s_and_b64 vcc, exec, s[0:1]
	s_cbranch_vccnz .LBB78_233
; %bb.232:
	v_cmp_eq_u32_e32 vcc, 1, v0
	v_cmp_eq_u32_e64 s[6:7], 2, v0
	v_cmp_eq_u32_e64 s[8:9], 3, v0
	v_cndmask_b32_e32 v32, v3, v5, vcc
	v_cndmask_b32_e64 v32, v32, v7, s[6:7]
	v_cndmask_b32_e64 v32, v32, v9, s[8:9]
	v_cmp_eq_u32_e64 s[10:11], 4, v0
	v_cmp_eq_u32_e64 s[12:13], 5, v0
	v_cmp_eq_u32_e64 s[14:15], 6, v0
	v_cndmask_b32_e64 v32, v32, v11, s[10:11]
	v_cndmask_b32_e64 v32, v32, v13, s[12:13]
	v_cndmask_b32_e64 v32, v32, v15, s[14:15]
	v_cmp_eq_u32_e64 s[16:17], 7, v0
	v_cmp_eq_u32_e64 s[18:19], 8, v0
	v_cmp_eq_u32_e64 s[20:21], 9, v0
	v_cndmask_b32_e64 v32, v32, v17, s[16:17]
	v_cndmask_b32_e64 v32, v32, v19, s[18:19]
	v_cndmask_b32_e64 v32, v32, v21, s[20:21]
	v_cmp_eq_u32_e64 s[22:23], 10, v0
	v_cmp_eq_u32_e64 s[24:25], 11, v0
	v_cmp_eq_u32_e64 s[26:27], 12, v0
	v_cndmask_b32_e64 v32, v32, v23, s[22:23]
	v_cndmask_b32_e64 v32, v32, v25, s[24:25]
	v_cndmask_b32_e64 v32, v32, v27, s[26:27]
	v_cmp_eq_u32_e64 s[28:29], 13, v0
	v_cmp_eq_u32_e64 s[30:31], 14, v0
	ds_read_b64 v[34:35], v101
	v_cndmask_b32_e64 v32, v32, v29, s[28:29]
	v_cndmask_b32_e64 v33, v32, v31, s[30:31]
	v_cndmask_b32_e32 v32, v2, v4, vcc
	v_cndmask_b32_e64 v32, v32, v6, s[6:7]
	v_cndmask_b32_e64 v32, v32, v8, s[8:9]
	;; [unrolled: 1-line block ×13, first 2 shown]
	s_waitcnt lgkmcnt(0)
	v_mul_f64 v[32:33], v[32:33], v[34:35]
	s_cbranch_execz .LBB78_234
	s_branch .LBB78_235
.LBB78_233:
                                        ; implicit-def: $vgpr32_vgpr33
.LBB78_234:
	ds_read_b64 v[32:33], v101
.LBB78_235:
	v_cmp_ne_u32_e32 vcc, 3, v0
	s_and_saveexec_b64 s[10:11], vcc
	s_cbranch_execz .LBB78_239
; %bb.236:
	v_mov_b32_e32 v34, 0x88
	v_lshl_add_u32 v37, v0, 3, v34
	s_mov_b64 s[12:13], 0
	v_mov_b64_e32 v[34:35], v[0:1]
.LBB78_237:                             ; =>This Inner Loop Header: Depth=1
	v_lshl_add_u64 v[34:35], v[34:35], 0, 1
	v_cmp_eq_u32_e32 vcc, 1, v34
	v_cmp_eq_u32_e64 s[8:9], 2, v34
	v_cmp_lt_u32_e64 s[6:7], 2, v34
	v_cndmask_b32_e32 v40, v3, v5, vcc
	v_cndmask_b32_e64 v40, v40, v7, s[8:9]
	v_cndmask_b32_e32 v41, v2, v4, vcc
	v_cmp_eq_u32_e32 vcc, 3, v34
	s_or_b64 s[12:13], s[6:7], s[12:13]
	v_cndmask_b32_e64 v41, v41, v6, s[8:9]
	v_cndmask_b32_e32 v40, v40, v9, vcc
	v_cmp_eq_u32_e64 s[6:7], 4, v34
	v_cndmask_b32_e32 v41, v41, v8, vcc
	v_cmp_eq_u32_e32 vcc, 5, v34
	v_cndmask_b32_e64 v40, v40, v11, s[6:7]
	v_cndmask_b32_e64 v41, v41, v10, s[6:7]
	v_cndmask_b32_e32 v40, v40, v13, vcc
	v_cmp_eq_u32_e64 s[6:7], 6, v34
	v_cndmask_b32_e32 v41, v41, v12, vcc
	v_cmp_eq_u32_e32 vcc, 7, v34
	v_cndmask_b32_e64 v40, v40, v15, s[6:7]
	;; [unrolled: 6-line block ×4, first 2 shown]
	ds_read_b64 v[38:39], v37
	v_cndmask_b32_e32 v40, v40, v25, vcc
	v_cndmask_b32_e64 v41, v41, v22, s[6:7]
	v_cmp_eq_u32_e64 s[6:7], 12, v34
	v_cndmask_b32_e32 v41, v41, v24, vcc
	v_cmp_eq_u32_e32 vcc, 13, v34
	v_cndmask_b32_e64 v40, v40, v27, s[6:7]
	v_cndmask_b32_e64 v42, v41, v26, s[6:7]
	v_cndmask_b32_e32 v40, v40, v29, vcc
	v_cmp_eq_u32_e64 s[6:7], 14, v34
	v_add_u32_e32 v37, 8, v37
	s_nop 0
	v_cndmask_b32_e64 v41, v40, v31, s[6:7]
	v_cndmask_b32_e32 v40, v42, v28, vcc
	v_cndmask_b32_e64 v40, v40, v30, s[6:7]
	s_waitcnt lgkmcnt(0)
	v_fmac_f64_e32 v[32:33], v[40:41], v[38:39]
	s_andn2_b64 exec, exec, s[12:13]
	s_cbranch_execnz .LBB78_237
; %bb.238:
	s_or_b64 exec, exec, s[12:13]
.LBB78_239:
	s_or_b64 exec, exec, s[10:11]
	v_mov_b32_e32 v10, 0
	ds_read_b64 v[10:11], v10 offset:32
	s_waitcnt lgkmcnt(0)
	v_mul_f64 v[10:11], v[32:33], v[10:11]
.LBB78_240:
	s_or_b64 exec, exec, s[34:35]
	v_cmp_gt_u32_e64 s[6:7], 5, v0
	ds_write_b64 v101, v[12:13]
	s_waitcnt lgkmcnt(0)
	; wave barrier
	s_and_saveexec_b64 s[36:37], s[6:7]
	s_cbranch_execz .LBB78_250
; %bb.241:
	s_and_b64 vcc, exec, s[0:1]
	s_cbranch_vccnz .LBB78_243
; %bb.242:
	v_cmp_eq_u32_e32 vcc, 1, v0
	v_cmp_eq_u32_e64 s[8:9], 2, v0
	v_cmp_eq_u32_e64 s[10:11], 3, v0
	v_cndmask_b32_e32 v32, v3, v5, vcc
	v_cndmask_b32_e64 v32, v32, v7, s[8:9]
	v_cndmask_b32_e64 v32, v32, v9, s[10:11]
	v_cmp_eq_u32_e64 s[12:13], 4, v0
	v_cmp_eq_u32_e64 s[14:15], 5, v0
	v_cmp_eq_u32_e64 s[16:17], 6, v0
	v_cndmask_b32_e64 v32, v32, v11, s[12:13]
	v_cndmask_b32_e64 v32, v32, v13, s[14:15]
	v_cndmask_b32_e64 v32, v32, v15, s[16:17]
	v_cmp_eq_u32_e64 s[18:19], 7, v0
	v_cmp_eq_u32_e64 s[20:21], 8, v0
	v_cmp_eq_u32_e64 s[22:23], 9, v0
	v_cndmask_b32_e64 v32, v32, v17, s[18:19]
	;; [unrolled: 6-line block ×3, first 2 shown]
	v_cndmask_b32_e64 v32, v32, v25, s[26:27]
	v_cndmask_b32_e64 v32, v32, v27, s[28:29]
	v_cmp_eq_u32_e64 s[30:31], 13, v0
	v_cmp_eq_u32_e64 s[34:35], 14, v0
	ds_read_b64 v[34:35], v101
	v_cndmask_b32_e64 v32, v32, v29, s[30:31]
	v_cndmask_b32_e64 v33, v32, v31, s[34:35]
	v_cndmask_b32_e32 v32, v2, v4, vcc
	v_cndmask_b32_e64 v32, v32, v6, s[8:9]
	v_cndmask_b32_e64 v32, v32, v8, s[10:11]
	;; [unrolled: 1-line block ×13, first 2 shown]
	s_waitcnt lgkmcnt(0)
	v_mul_f64 v[32:33], v[32:33], v[34:35]
	s_cbranch_execz .LBB78_244
	s_branch .LBB78_245
.LBB78_243:
                                        ; implicit-def: $vgpr32_vgpr33
.LBB78_244:
	ds_read_b64 v[32:33], v101
.LBB78_245:
	v_cmp_ne_u32_e32 vcc, 4, v0
	s_and_saveexec_b64 s[12:13], vcc
	s_cbranch_execz .LBB78_249
; %bb.246:
	v_mov_b32_e32 v34, 0x88
	v_lshl_add_u32 v37, v0, 3, v34
	s_mov_b64 s[14:15], 0
	v_mov_b64_e32 v[34:35], v[0:1]
.LBB78_247:                             ; =>This Inner Loop Header: Depth=1
	v_lshl_add_u64 v[34:35], v[34:35], 0, 1
	v_cmp_eq_u32_e32 vcc, 1, v34
	v_cmp_eq_u32_e64 s[10:11], 2, v34
	v_cmp_lt_u32_e64 s[8:9], 3, v34
	v_cndmask_b32_e32 v40, v3, v5, vcc
	v_cndmask_b32_e64 v40, v40, v7, s[10:11]
	v_cndmask_b32_e32 v41, v2, v4, vcc
	v_cmp_eq_u32_e32 vcc, 3, v34
	s_or_b64 s[14:15], s[8:9], s[14:15]
	v_cndmask_b32_e64 v41, v41, v6, s[10:11]
	v_cndmask_b32_e32 v40, v40, v9, vcc
	v_cmp_eq_u32_e64 s[8:9], 4, v34
	v_cndmask_b32_e32 v41, v41, v8, vcc
	v_cmp_eq_u32_e32 vcc, 5, v34
	v_cndmask_b32_e64 v40, v40, v11, s[8:9]
	v_cndmask_b32_e64 v41, v41, v10, s[8:9]
	v_cndmask_b32_e32 v40, v40, v13, vcc
	v_cmp_eq_u32_e64 s[8:9], 6, v34
	v_cndmask_b32_e32 v41, v41, v12, vcc
	v_cmp_eq_u32_e32 vcc, 7, v34
	v_cndmask_b32_e64 v40, v40, v15, s[8:9]
	;; [unrolled: 6-line block ×4, first 2 shown]
	ds_read_b64 v[38:39], v37
	v_cndmask_b32_e32 v40, v40, v25, vcc
	v_cndmask_b32_e64 v41, v41, v22, s[8:9]
	v_cmp_eq_u32_e64 s[8:9], 12, v34
	v_cndmask_b32_e32 v41, v41, v24, vcc
	v_cmp_eq_u32_e32 vcc, 13, v34
	v_cndmask_b32_e64 v40, v40, v27, s[8:9]
	v_cndmask_b32_e64 v42, v41, v26, s[8:9]
	v_cndmask_b32_e32 v40, v40, v29, vcc
	v_cmp_eq_u32_e64 s[8:9], 14, v34
	v_add_u32_e32 v37, 8, v37
	s_nop 0
	v_cndmask_b32_e64 v41, v40, v31, s[8:9]
	v_cndmask_b32_e32 v40, v42, v28, vcc
	v_cndmask_b32_e64 v40, v40, v30, s[8:9]
	s_waitcnt lgkmcnt(0)
	v_fmac_f64_e32 v[32:33], v[40:41], v[38:39]
	s_andn2_b64 exec, exec, s[14:15]
	s_cbranch_execnz .LBB78_247
; %bb.248:
	s_or_b64 exec, exec, s[14:15]
.LBB78_249:
	s_or_b64 exec, exec, s[12:13]
	v_mov_b32_e32 v12, 0
	ds_read_b64 v[12:13], v12 offset:40
	s_waitcnt lgkmcnt(0)
	v_mul_f64 v[12:13], v[32:33], v[12:13]
.LBB78_250:
	s_or_b64 exec, exec, s[36:37]
	v_cmp_gt_u32_e32 vcc, 6, v0
	ds_write_b64 v101, v[14:15]
	s_waitcnt lgkmcnt(0)
	; wave barrier
	s_and_saveexec_b64 s[36:37], vcc
	s_cbranch_execz .LBB78_260
; %bb.251:
	s_and_b64 vcc, exec, s[0:1]
	s_cbranch_vccnz .LBB78_253
; %bb.252:
	v_cmp_eq_u32_e32 vcc, 1, v0
	v_cmp_eq_u32_e64 s[8:9], 2, v0
	v_cmp_eq_u32_e64 s[10:11], 3, v0
	v_cndmask_b32_e32 v32, v3, v5, vcc
	v_cndmask_b32_e64 v32, v32, v7, s[8:9]
	v_cndmask_b32_e64 v32, v32, v9, s[10:11]
	v_cmp_eq_u32_e64 s[12:13], 4, v0
	v_cmp_eq_u32_e64 s[14:15], 5, v0
	v_cmp_eq_u32_e64 s[16:17], 6, v0
	v_cndmask_b32_e64 v32, v32, v11, s[12:13]
	v_cndmask_b32_e64 v32, v32, v13, s[14:15]
	v_cndmask_b32_e64 v32, v32, v15, s[16:17]
	v_cmp_eq_u32_e64 s[18:19], 7, v0
	v_cmp_eq_u32_e64 s[20:21], 8, v0
	v_cmp_eq_u32_e64 s[22:23], 9, v0
	v_cndmask_b32_e64 v32, v32, v17, s[18:19]
	;; [unrolled: 6-line block ×3, first 2 shown]
	v_cndmask_b32_e64 v32, v32, v25, s[26:27]
	v_cndmask_b32_e64 v32, v32, v27, s[28:29]
	v_cmp_eq_u32_e64 s[30:31], 13, v0
	v_cmp_eq_u32_e64 s[34:35], 14, v0
	ds_read_b64 v[34:35], v101
	v_cndmask_b32_e64 v32, v32, v29, s[30:31]
	v_cndmask_b32_e64 v33, v32, v31, s[34:35]
	v_cndmask_b32_e32 v32, v2, v4, vcc
	v_cndmask_b32_e64 v32, v32, v6, s[8:9]
	v_cndmask_b32_e64 v32, v32, v8, s[10:11]
	;; [unrolled: 1-line block ×13, first 2 shown]
	s_waitcnt lgkmcnt(0)
	v_mul_f64 v[32:33], v[32:33], v[34:35]
	s_cbranch_execz .LBB78_254
	s_branch .LBB78_255
.LBB78_253:
                                        ; implicit-def: $vgpr32_vgpr33
.LBB78_254:
	ds_read_b64 v[32:33], v101
.LBB78_255:
	v_cmp_ne_u32_e32 vcc, 5, v0
	s_and_saveexec_b64 s[12:13], vcc
	s_cbranch_execz .LBB78_259
; %bb.256:
	v_mov_b32_e32 v34, 0x88
	v_lshl_add_u32 v37, v0, 3, v34
	s_mov_b64 s[14:15], 0
	v_mov_b64_e32 v[34:35], v[0:1]
.LBB78_257:                             ; =>This Inner Loop Header: Depth=1
	v_lshl_add_u64 v[34:35], v[34:35], 0, 1
	v_cmp_eq_u32_e32 vcc, 1, v34
	v_cmp_eq_u32_e64 s[10:11], 2, v34
	v_cmp_lt_u32_e64 s[8:9], 4, v34
	v_cndmask_b32_e32 v40, v3, v5, vcc
	v_cndmask_b32_e64 v40, v40, v7, s[10:11]
	v_cndmask_b32_e32 v41, v2, v4, vcc
	v_cmp_eq_u32_e32 vcc, 3, v34
	s_or_b64 s[14:15], s[8:9], s[14:15]
	v_cndmask_b32_e64 v41, v41, v6, s[10:11]
	v_cndmask_b32_e32 v40, v40, v9, vcc
	v_cmp_eq_u32_e64 s[8:9], 4, v34
	v_cndmask_b32_e32 v41, v41, v8, vcc
	v_cmp_eq_u32_e32 vcc, 5, v34
	v_cndmask_b32_e64 v40, v40, v11, s[8:9]
	v_cndmask_b32_e64 v41, v41, v10, s[8:9]
	v_cndmask_b32_e32 v40, v40, v13, vcc
	v_cmp_eq_u32_e64 s[8:9], 6, v34
	v_cndmask_b32_e32 v41, v41, v12, vcc
	v_cmp_eq_u32_e32 vcc, 7, v34
	v_cndmask_b32_e64 v40, v40, v15, s[8:9]
	;; [unrolled: 6-line block ×4, first 2 shown]
	ds_read_b64 v[38:39], v37
	v_cndmask_b32_e32 v40, v40, v25, vcc
	v_cndmask_b32_e64 v41, v41, v22, s[8:9]
	v_cmp_eq_u32_e64 s[8:9], 12, v34
	v_cndmask_b32_e32 v41, v41, v24, vcc
	v_cmp_eq_u32_e32 vcc, 13, v34
	v_cndmask_b32_e64 v40, v40, v27, s[8:9]
	v_cndmask_b32_e64 v42, v41, v26, s[8:9]
	v_cndmask_b32_e32 v40, v40, v29, vcc
	v_cmp_eq_u32_e64 s[8:9], 14, v34
	v_add_u32_e32 v37, 8, v37
	s_nop 0
	v_cndmask_b32_e64 v41, v40, v31, s[8:9]
	v_cndmask_b32_e32 v40, v42, v28, vcc
	v_cndmask_b32_e64 v40, v40, v30, s[8:9]
	s_waitcnt lgkmcnt(0)
	v_fmac_f64_e32 v[32:33], v[40:41], v[38:39]
	s_andn2_b64 exec, exec, s[14:15]
	s_cbranch_execnz .LBB78_257
; %bb.258:
	s_or_b64 exec, exec, s[14:15]
.LBB78_259:
	s_or_b64 exec, exec, s[12:13]
	v_mov_b32_e32 v14, 0
	ds_read_b64 v[14:15], v14 offset:48
	s_waitcnt lgkmcnt(0)
	v_mul_f64 v[14:15], v[32:33], v[14:15]
.LBB78_260:
	s_or_b64 exec, exec, s[36:37]
	v_cmp_gt_u32_e64 s[8:9], 7, v0
	ds_write_b64 v101, v[16:17]
	s_waitcnt lgkmcnt(0)
	; wave barrier
	s_and_saveexec_b64 s[38:39], s[8:9]
	s_cbranch_execz .LBB78_270
; %bb.261:
	s_and_b64 vcc, exec, s[0:1]
	s_cbranch_vccnz .LBB78_263
; %bb.262:
	v_cmp_eq_u32_e32 vcc, 1, v0
	v_cmp_eq_u32_e64 s[10:11], 2, v0
	v_cmp_eq_u32_e64 s[12:13], 3, v0
	v_cndmask_b32_e32 v32, v3, v5, vcc
	v_cndmask_b32_e64 v32, v32, v7, s[10:11]
	v_cndmask_b32_e64 v32, v32, v9, s[12:13]
	v_cmp_eq_u32_e64 s[14:15], 4, v0
	v_cmp_eq_u32_e64 s[16:17], 5, v0
	v_cmp_eq_u32_e64 s[18:19], 6, v0
	v_cndmask_b32_e64 v32, v32, v11, s[14:15]
	v_cndmask_b32_e64 v32, v32, v13, s[16:17]
	v_cndmask_b32_e64 v32, v32, v15, s[18:19]
	v_cmp_eq_u32_e64 s[20:21], 7, v0
	v_cmp_eq_u32_e64 s[22:23], 8, v0
	v_cmp_eq_u32_e64 s[24:25], 9, v0
	v_cndmask_b32_e64 v32, v32, v17, s[20:21]
	;; [unrolled: 6-line block ×3, first 2 shown]
	v_cndmask_b32_e64 v32, v32, v25, s[28:29]
	v_cndmask_b32_e64 v32, v32, v27, s[30:31]
	v_cmp_eq_u32_e64 s[34:35], 13, v0
	v_cmp_eq_u32_e64 s[36:37], 14, v0
	ds_read_b64 v[34:35], v101
	v_cndmask_b32_e64 v32, v32, v29, s[34:35]
	v_cndmask_b32_e64 v33, v32, v31, s[36:37]
	v_cndmask_b32_e32 v32, v2, v4, vcc
	v_cndmask_b32_e64 v32, v32, v6, s[10:11]
	v_cndmask_b32_e64 v32, v32, v8, s[12:13]
	;; [unrolled: 1-line block ×13, first 2 shown]
	s_waitcnt lgkmcnt(0)
	v_mul_f64 v[32:33], v[32:33], v[34:35]
	s_cbranch_execz .LBB78_264
	s_branch .LBB78_265
.LBB78_263:
                                        ; implicit-def: $vgpr32_vgpr33
.LBB78_264:
	ds_read_b64 v[32:33], v101
.LBB78_265:
	v_cmp_ne_u32_e32 vcc, 6, v0
	s_and_saveexec_b64 s[14:15], vcc
	s_cbranch_execz .LBB78_269
; %bb.266:
	v_mov_b32_e32 v34, 0x88
	v_lshl_add_u32 v37, v0, 3, v34
	s_mov_b64 s[16:17], 0
	v_mov_b64_e32 v[34:35], v[0:1]
.LBB78_267:                             ; =>This Inner Loop Header: Depth=1
	v_lshl_add_u64 v[34:35], v[34:35], 0, 1
	v_cmp_eq_u32_e32 vcc, 1, v34
	v_cmp_eq_u32_e64 s[12:13], 2, v34
	v_cmp_lt_u32_e64 s[10:11], 5, v34
	v_cndmask_b32_e32 v40, v3, v5, vcc
	v_cndmask_b32_e64 v40, v40, v7, s[12:13]
	v_cndmask_b32_e32 v41, v2, v4, vcc
	v_cmp_eq_u32_e32 vcc, 3, v34
	s_or_b64 s[16:17], s[10:11], s[16:17]
	v_cndmask_b32_e64 v41, v41, v6, s[12:13]
	v_cndmask_b32_e32 v40, v40, v9, vcc
	v_cmp_eq_u32_e64 s[10:11], 4, v34
	v_cndmask_b32_e32 v41, v41, v8, vcc
	v_cmp_eq_u32_e32 vcc, 5, v34
	v_cndmask_b32_e64 v40, v40, v11, s[10:11]
	v_cndmask_b32_e64 v41, v41, v10, s[10:11]
	v_cndmask_b32_e32 v40, v40, v13, vcc
	v_cmp_eq_u32_e64 s[10:11], 6, v34
	v_cndmask_b32_e32 v41, v41, v12, vcc
	v_cmp_eq_u32_e32 vcc, 7, v34
	v_cndmask_b32_e64 v40, v40, v15, s[10:11]
	;; [unrolled: 6-line block ×4, first 2 shown]
	ds_read_b64 v[38:39], v37
	v_cndmask_b32_e32 v40, v40, v25, vcc
	v_cndmask_b32_e64 v41, v41, v22, s[10:11]
	v_cmp_eq_u32_e64 s[10:11], 12, v34
	v_cndmask_b32_e32 v41, v41, v24, vcc
	v_cmp_eq_u32_e32 vcc, 13, v34
	v_cndmask_b32_e64 v40, v40, v27, s[10:11]
	v_cndmask_b32_e64 v42, v41, v26, s[10:11]
	v_cndmask_b32_e32 v40, v40, v29, vcc
	v_cmp_eq_u32_e64 s[10:11], 14, v34
	v_add_u32_e32 v37, 8, v37
	s_nop 0
	v_cndmask_b32_e64 v41, v40, v31, s[10:11]
	v_cndmask_b32_e32 v40, v42, v28, vcc
	v_cndmask_b32_e64 v40, v40, v30, s[10:11]
	s_waitcnt lgkmcnt(0)
	v_fmac_f64_e32 v[32:33], v[40:41], v[38:39]
	s_andn2_b64 exec, exec, s[16:17]
	s_cbranch_execnz .LBB78_267
; %bb.268:
	s_or_b64 exec, exec, s[16:17]
.LBB78_269:
	s_or_b64 exec, exec, s[14:15]
	v_mov_b32_e32 v16, 0
	ds_read_b64 v[16:17], v16 offset:56
	s_waitcnt lgkmcnt(0)
	v_mul_f64 v[16:17], v[32:33], v[16:17]
.LBB78_270:
	s_or_b64 exec, exec, s[38:39]
	v_cmp_gt_u32_e32 vcc, 8, v0
	ds_write_b64 v101, v[18:19]
	s_waitcnt lgkmcnt(0)
	; wave barrier
	s_and_saveexec_b64 s[38:39], vcc
	s_cbranch_execz .LBB78_280
; %bb.271:
	s_and_b64 vcc, exec, s[0:1]
	s_cbranch_vccnz .LBB78_273
; %bb.272:
	v_cmp_eq_u32_e32 vcc, 1, v0
	v_cmp_eq_u32_e64 s[10:11], 2, v0
	v_cmp_eq_u32_e64 s[12:13], 3, v0
	v_cndmask_b32_e32 v32, v3, v5, vcc
	v_cndmask_b32_e64 v32, v32, v7, s[10:11]
	v_cndmask_b32_e64 v32, v32, v9, s[12:13]
	v_cmp_eq_u32_e64 s[14:15], 4, v0
	v_cmp_eq_u32_e64 s[16:17], 5, v0
	v_cmp_eq_u32_e64 s[18:19], 6, v0
	v_cndmask_b32_e64 v32, v32, v11, s[14:15]
	v_cndmask_b32_e64 v32, v32, v13, s[16:17]
	v_cndmask_b32_e64 v32, v32, v15, s[18:19]
	v_cmp_eq_u32_e64 s[20:21], 7, v0
	v_cmp_eq_u32_e64 s[22:23], 8, v0
	v_cmp_eq_u32_e64 s[24:25], 9, v0
	v_cndmask_b32_e64 v32, v32, v17, s[20:21]
	;; [unrolled: 6-line block ×3, first 2 shown]
	v_cndmask_b32_e64 v32, v32, v25, s[28:29]
	v_cndmask_b32_e64 v32, v32, v27, s[30:31]
	v_cmp_eq_u32_e64 s[34:35], 13, v0
	v_cmp_eq_u32_e64 s[36:37], 14, v0
	ds_read_b64 v[34:35], v101
	v_cndmask_b32_e64 v32, v32, v29, s[34:35]
	v_cndmask_b32_e64 v33, v32, v31, s[36:37]
	v_cndmask_b32_e32 v32, v2, v4, vcc
	v_cndmask_b32_e64 v32, v32, v6, s[10:11]
	v_cndmask_b32_e64 v32, v32, v8, s[12:13]
	;; [unrolled: 1-line block ×13, first 2 shown]
	s_waitcnt lgkmcnt(0)
	v_mul_f64 v[32:33], v[32:33], v[34:35]
	s_cbranch_execz .LBB78_274
	s_branch .LBB78_275
.LBB78_273:
                                        ; implicit-def: $vgpr32_vgpr33
.LBB78_274:
	ds_read_b64 v[32:33], v101
.LBB78_275:
	v_cmp_ne_u32_e32 vcc, 7, v0
	s_and_saveexec_b64 s[14:15], vcc
	s_cbranch_execz .LBB78_279
; %bb.276:
	v_mov_b32_e32 v34, 0x88
	v_lshl_add_u32 v37, v0, 3, v34
	s_mov_b64 s[16:17], 0
	v_mov_b64_e32 v[34:35], v[0:1]
.LBB78_277:                             ; =>This Inner Loop Header: Depth=1
	v_lshl_add_u64 v[34:35], v[34:35], 0, 1
	v_cmp_eq_u32_e32 vcc, 1, v34
	v_cmp_eq_u32_e64 s[12:13], 2, v34
	v_cmp_lt_u32_e64 s[10:11], 6, v34
	v_cndmask_b32_e32 v40, v3, v5, vcc
	v_cndmask_b32_e64 v40, v40, v7, s[12:13]
	v_cndmask_b32_e32 v41, v2, v4, vcc
	v_cmp_eq_u32_e32 vcc, 3, v34
	s_or_b64 s[16:17], s[10:11], s[16:17]
	v_cndmask_b32_e64 v41, v41, v6, s[12:13]
	v_cndmask_b32_e32 v40, v40, v9, vcc
	v_cmp_eq_u32_e64 s[10:11], 4, v34
	v_cndmask_b32_e32 v41, v41, v8, vcc
	v_cmp_eq_u32_e32 vcc, 5, v34
	v_cndmask_b32_e64 v40, v40, v11, s[10:11]
	v_cndmask_b32_e64 v41, v41, v10, s[10:11]
	v_cndmask_b32_e32 v40, v40, v13, vcc
	v_cmp_eq_u32_e64 s[10:11], 6, v34
	v_cndmask_b32_e32 v41, v41, v12, vcc
	v_cmp_eq_u32_e32 vcc, 7, v34
	v_cndmask_b32_e64 v40, v40, v15, s[10:11]
	;; [unrolled: 6-line block ×4, first 2 shown]
	ds_read_b64 v[38:39], v37
	v_cndmask_b32_e32 v40, v40, v25, vcc
	v_cndmask_b32_e64 v41, v41, v22, s[10:11]
	v_cmp_eq_u32_e64 s[10:11], 12, v34
	v_cndmask_b32_e32 v41, v41, v24, vcc
	v_cmp_eq_u32_e32 vcc, 13, v34
	v_cndmask_b32_e64 v40, v40, v27, s[10:11]
	v_cndmask_b32_e64 v42, v41, v26, s[10:11]
	v_cndmask_b32_e32 v40, v40, v29, vcc
	v_cmp_eq_u32_e64 s[10:11], 14, v34
	v_add_u32_e32 v37, 8, v37
	s_nop 0
	v_cndmask_b32_e64 v41, v40, v31, s[10:11]
	v_cndmask_b32_e32 v40, v42, v28, vcc
	v_cndmask_b32_e64 v40, v40, v30, s[10:11]
	s_waitcnt lgkmcnt(0)
	v_fmac_f64_e32 v[32:33], v[40:41], v[38:39]
	s_andn2_b64 exec, exec, s[16:17]
	s_cbranch_execnz .LBB78_277
; %bb.278:
	s_or_b64 exec, exec, s[16:17]
.LBB78_279:
	s_or_b64 exec, exec, s[14:15]
	v_mov_b32_e32 v18, 0
	ds_read_b64 v[18:19], v18 offset:64
	s_waitcnt lgkmcnt(0)
	v_mul_f64 v[18:19], v[32:33], v[18:19]
.LBB78_280:
	s_or_b64 exec, exec, s[38:39]
	v_cmp_gt_u32_e32 vcc, 9, v0
	ds_write_b64 v101, v[20:21]
	s_waitcnt lgkmcnt(0)
	; wave barrier
	s_and_saveexec_b64 s[38:39], vcc
	s_cbranch_execz .LBB78_302
; %bb.281:
	s_and_b64 vcc, exec, s[0:1]
	s_cbranch_vccnz .LBB78_283
; %bb.282:
	v_cmp_eq_u32_e32 vcc, 1, v0
	v_cmp_eq_u32_e64 s[10:11], 2, v0
	v_cmp_eq_u32_e64 s[12:13], 3, v0
	v_cndmask_b32_e32 v32, v3, v5, vcc
	v_cndmask_b32_e64 v32, v32, v7, s[10:11]
	v_cndmask_b32_e64 v32, v32, v9, s[12:13]
	v_cmp_eq_u32_e64 s[14:15], 4, v0
	v_cmp_eq_u32_e64 s[16:17], 5, v0
	v_cmp_eq_u32_e64 s[18:19], 6, v0
	v_cndmask_b32_e64 v32, v32, v11, s[14:15]
	v_cndmask_b32_e64 v32, v32, v13, s[16:17]
	v_cndmask_b32_e64 v32, v32, v15, s[18:19]
	v_cmp_eq_u32_e64 s[20:21], 7, v0
	v_cmp_eq_u32_e64 s[22:23], 8, v0
	v_cmp_eq_u32_e64 s[24:25], 9, v0
	v_cndmask_b32_e64 v32, v32, v17, s[20:21]
	;; [unrolled: 6-line block ×3, first 2 shown]
	v_cndmask_b32_e64 v32, v32, v25, s[28:29]
	v_cndmask_b32_e64 v32, v32, v27, s[30:31]
	v_cmp_eq_u32_e64 s[34:35], 13, v0
	v_cmp_eq_u32_e64 s[36:37], 14, v0
	ds_read_b64 v[34:35], v101
	v_cndmask_b32_e64 v32, v32, v29, s[34:35]
	v_cndmask_b32_e64 v33, v32, v31, s[36:37]
	v_cndmask_b32_e32 v32, v2, v4, vcc
	v_cndmask_b32_e64 v32, v32, v6, s[10:11]
	v_cndmask_b32_e64 v32, v32, v8, s[12:13]
	;; [unrolled: 1-line block ×13, first 2 shown]
	s_waitcnt lgkmcnt(0)
	v_mul_f64 v[32:33], v[32:33], v[34:35]
	s_cbranch_execz .LBB78_284
	s_branch .LBB78_285
.LBB78_283:
                                        ; implicit-def: $vgpr32_vgpr33
.LBB78_284:
	ds_read_b64 v[32:33], v101
.LBB78_285:
	v_cmp_ne_u32_e32 vcc, 8, v0
	s_and_saveexec_b64 s[40:41], vcc
	s_cbranch_execz .LBB78_301
; %bb.286:
	v_cmp_eq_u32_e32 vcc, 1, v36
	v_cmp_eq_u32_e64 s[10:11], 2, v36
	v_cmp_eq_u32_e64 s[12:13], 3, v36
	v_cndmask_b32_e32 v34, v3, v5, vcc
	v_cndmask_b32_e64 v34, v34, v7, s[10:11]
	v_cndmask_b32_e64 v34, v34, v9, s[12:13]
	v_cmp_eq_u32_e64 s[14:15], 4, v36
	v_cmp_eq_u32_e64 s[16:17], 5, v36
	v_cmp_eq_u32_e64 s[18:19], 6, v36
	v_cndmask_b32_e64 v34, v34, v11, s[14:15]
	v_cndmask_b32_e64 v34, v34, v13, s[16:17]
	v_cndmask_b32_e64 v34, v34, v15, s[18:19]
	v_cmp_eq_u32_e64 s[20:21], 7, v36
	v_cmp_eq_u32_e64 s[22:23], 8, v36
	v_cmp_eq_u32_e64 s[24:25], 9, v36
	v_cndmask_b32_e64 v34, v34, v17, s[20:21]
	;; [unrolled: 6-line block ×3, first 2 shown]
	v_cndmask_b32_e64 v34, v34, v25, s[28:29]
	v_cndmask_b32_e64 v34, v34, v27, s[30:31]
	v_cmp_eq_u32_e64 s[34:35], 13, v36
	v_cmp_eq_u32_e64 s[36:37], 14, v36
	ds_read_b64 v[36:37], v101 offset:8
	v_cndmask_b32_e64 v34, v34, v29, s[34:35]
	v_cndmask_b32_e64 v35, v34, v31, s[36:37]
	v_cndmask_b32_e32 v34, v2, v4, vcc
	v_cndmask_b32_e64 v34, v34, v6, s[10:11]
	v_cndmask_b32_e64 v34, v34, v8, s[12:13]
	;; [unrolled: 1-line block ×13, first 2 shown]
	s_waitcnt lgkmcnt(0)
	v_fmac_f64_e32 v[32:33], v[34:35], v[36:37]
	s_and_saveexec_b64 s[36:37], s[8:9]
	s_cbranch_execz .LBB78_300
; %bb.287:
	v_add_u32_e32 v34, 2, v0
	v_cmp_eq_u32_e32 vcc, 1, v34
	v_cmp_eq_u32_e64 s[8:9], 2, v34
	v_cmp_eq_u32_e64 s[10:11], 3, v34
	v_cndmask_b32_e32 v35, v3, v5, vcc
	v_cmp_eq_u32_e64 s[12:13], 4, v34
	v_cmp_eq_u32_e64 s[14:15], 5, v34
	v_cmp_eq_u32_e64 s[16:17], 6, v34
	v_cmp_eq_u32_e64 s[18:19], 7, v34
	v_cmp_eq_u32_e64 s[20:21], 8, v34
	v_cmp_eq_u32_e64 s[22:23], 9, v34
	v_cmp_eq_u32_e64 s[24:25], 10, v34
	v_cmp_eq_u32_e64 s[26:27], 11, v34
	v_cmp_eq_u32_e64 s[28:29], 12, v34
	v_cmp_eq_u32_e64 s[30:31], 13, v34
	v_cmp_eq_u32_e64 s[34:35], 14, v34
	v_cndmask_b32_e32 v34, v2, v4, vcc
	v_cndmask_b32_e64 v35, v35, v7, s[8:9]
	v_cndmask_b32_e64 v34, v34, v6, s[8:9]
	;; [unrolled: 1-line block ×18, first 2 shown]
	ds_read_b64 v[36:37], v101 offset:16
	v_cndmask_b32_e64 v35, v35, v25, s[26:27]
	v_cndmask_b32_e64 v34, v34, v24, s[26:27]
	v_cndmask_b32_e64 v35, v35, v27, s[28:29]
	v_cndmask_b32_e64 v34, v34, v26, s[28:29]
	v_cndmask_b32_e64 v35, v35, v29, s[30:31]
	v_cndmask_b32_e64 v34, v34, v28, s[30:31]
	v_cndmask_b32_e64 v35, v35, v31, s[34:35]
	v_cndmask_b32_e64 v34, v34, v30, s[34:35]
	s_waitcnt lgkmcnt(0)
	v_fmac_f64_e32 v[32:33], v[34:35], v[36:37]
	v_cmp_ne_u32_e32 vcc, 6, v0
	s_and_saveexec_b64 s[42:43], vcc
	s_cbranch_execz .LBB78_299
; %bb.288:
	v_add_u32_e32 v34, 3, v0
	v_cmp_eq_u32_e32 vcc, 1, v34
	v_cmp_eq_u32_e64 s[8:9], 2, v34
	v_cmp_eq_u32_e64 s[10:11], 3, v34
	v_cndmask_b32_e32 v35, v3, v5, vcc
	v_cmp_eq_u32_e64 s[12:13], 4, v34
	v_cmp_eq_u32_e64 s[14:15], 5, v34
	;; [unrolled: 1-line block ×11, first 2 shown]
	v_cndmask_b32_e32 v34, v2, v4, vcc
	v_cndmask_b32_e64 v35, v35, v7, s[8:9]
	v_cndmask_b32_e64 v34, v34, v6, s[8:9]
	;; [unrolled: 1-line block ×18, first 2 shown]
	ds_read_b64 v[36:37], v101 offset:24
	v_cndmask_b32_e64 v35, v35, v25, s[26:27]
	v_cndmask_b32_e64 v34, v34, v24, s[26:27]
	;; [unrolled: 1-line block ×8, first 2 shown]
	s_waitcnt lgkmcnt(0)
	v_fmac_f64_e32 v[32:33], v[34:35], v[36:37]
	s_and_saveexec_b64 s[34:35], s[6:7]
	s_cbranch_execz .LBB78_298
; %bb.289:
	v_add_u32_e32 v34, 4, v0
	v_cmp_eq_u32_e32 vcc, 1, v34
	v_cmp_eq_u32_e64 s[6:7], 2, v34
	v_cmp_eq_u32_e64 s[8:9], 3, v34
	v_cndmask_b32_e32 v35, v3, v5, vcc
	v_cmp_eq_u32_e64 s[10:11], 4, v34
	v_cmp_eq_u32_e64 s[12:13], 5, v34
	v_cmp_eq_u32_e64 s[14:15], 6, v34
	v_cmp_eq_u32_e64 s[16:17], 7, v34
	v_cmp_eq_u32_e64 s[18:19], 8, v34
	v_cmp_eq_u32_e64 s[20:21], 9, v34
	v_cmp_eq_u32_e64 s[22:23], 10, v34
	v_cmp_eq_u32_e64 s[24:25], 11, v34
	v_cmp_eq_u32_e64 s[26:27], 12, v34
	v_cmp_eq_u32_e64 s[28:29], 13, v34
	v_cmp_eq_u32_e64 s[30:31], 14, v34
	v_cndmask_b32_e32 v34, v2, v4, vcc
	v_cndmask_b32_e64 v35, v35, v7, s[6:7]
	v_cndmask_b32_e64 v34, v34, v6, s[6:7]
	;; [unrolled: 1-line block ×18, first 2 shown]
	ds_read_b64 v[36:37], v101 offset:32
	v_cndmask_b32_e64 v35, v35, v25, s[24:25]
	v_cndmask_b32_e64 v34, v34, v24, s[24:25]
	;; [unrolled: 1-line block ×8, first 2 shown]
	s_waitcnt lgkmcnt(0)
	v_fmac_f64_e32 v[32:33], v[34:35], v[36:37]
	v_cmp_ne_u32_e32 vcc, 4, v0
	s_and_saveexec_b64 s[44:45], vcc
	s_cbranch_execz .LBB78_297
; %bb.290:
	v_add_u32_e32 v34, 5, v0
	v_cmp_eq_u32_e32 vcc, 1, v34
	v_cmp_eq_u32_e64 s[6:7], 2, v34
	v_cmp_eq_u32_e64 s[8:9], 3, v34
	v_cndmask_b32_e32 v35, v3, v5, vcc
	v_cmp_eq_u32_e64 s[10:11], 4, v34
	v_cmp_eq_u32_e64 s[12:13], 5, v34
	;; [unrolled: 1-line block ×11, first 2 shown]
	v_cndmask_b32_e32 v34, v2, v4, vcc
	v_cndmask_b32_e64 v35, v35, v7, s[6:7]
	v_cndmask_b32_e64 v34, v34, v6, s[6:7]
	v_cndmask_b32_e64 v35, v35, v9, s[8:9]
	v_cndmask_b32_e64 v34, v34, v8, s[8:9]
	v_cndmask_b32_e64 v35, v35, v11, s[10:11]
	v_cndmask_b32_e64 v34, v34, v10, s[10:11]
	v_cndmask_b32_e64 v35, v35, v13, s[12:13]
	v_cndmask_b32_e64 v34, v34, v12, s[12:13]
	v_cndmask_b32_e64 v35, v35, v15, s[14:15]
	v_cndmask_b32_e64 v34, v34, v14, s[14:15]
	v_cndmask_b32_e64 v35, v35, v17, s[16:17]
	v_cndmask_b32_e64 v34, v34, v16, s[16:17]
	v_cndmask_b32_e64 v35, v35, v19, s[18:19]
	v_cndmask_b32_e64 v34, v34, v18, s[18:19]
	v_cndmask_b32_e64 v35, v35, v21, s[20:21]
	v_cndmask_b32_e64 v34, v34, v20, s[20:21]
	v_cndmask_b32_e64 v35, v35, v23, s[22:23]
	v_cndmask_b32_e64 v34, v34, v22, s[22:23]
	ds_read_b64 v[36:37], v101 offset:40
	v_cndmask_b32_e64 v35, v35, v25, s[24:25]
	v_cndmask_b32_e64 v34, v34, v24, s[24:25]
	;; [unrolled: 1-line block ×8, first 2 shown]
	s_waitcnt lgkmcnt(0)
	v_fmac_f64_e32 v[32:33], v[34:35], v[36:37]
	s_and_saveexec_b64 s[30:31], s[4:5]
	s_cbranch_execz .LBB78_296
; %bb.291:
	v_add_u32_e32 v34, 6, v0
	v_cmp_eq_u32_e32 vcc, 1, v34
	v_cmp_eq_u32_e64 s[4:5], 2, v34
	v_cmp_eq_u32_e64 s[6:7], 3, v34
	v_cndmask_b32_e32 v35, v3, v5, vcc
	v_cmp_eq_u32_e64 s[8:9], 4, v34
	v_cmp_eq_u32_e64 s[10:11], 5, v34
	;; [unrolled: 1-line block ×11, first 2 shown]
	v_cndmask_b32_e32 v34, v2, v4, vcc
	v_cndmask_b32_e64 v35, v35, v7, s[4:5]
	v_cndmask_b32_e64 v34, v34, v6, s[4:5]
	;; [unrolled: 1-line block ×18, first 2 shown]
	ds_read_b64 v[36:37], v101 offset:48
	v_cndmask_b32_e64 v35, v35, v25, s[22:23]
	v_cndmask_b32_e64 v34, v34, v24, s[22:23]
	;; [unrolled: 1-line block ×8, first 2 shown]
	s_waitcnt lgkmcnt(0)
	v_fmac_f64_e32 v[32:33], v[34:35], v[36:37]
	v_cmp_ne_u32_e32 vcc, 2, v0
	s_and_saveexec_b64 s[46:47], vcc
	s_cbranch_execz .LBB78_295
; %bb.292:
	v_add_u32_e32 v34, 7, v0
	v_cmp_eq_u32_e32 vcc, 1, v34
	v_cmp_eq_u32_e64 s[4:5], 2, v34
	v_cmp_eq_u32_e64 s[6:7], 3, v34
	v_cndmask_b32_e32 v35, v3, v5, vcc
	v_cmp_eq_u32_e64 s[8:9], 4, v34
	v_cmp_eq_u32_e64 s[10:11], 5, v34
	;; [unrolled: 1-line block ×11, first 2 shown]
	v_cndmask_b32_e32 v34, v2, v4, vcc
	v_cndmask_b32_e64 v35, v35, v7, s[4:5]
	v_cndmask_b32_e64 v34, v34, v6, s[4:5]
	;; [unrolled: 1-line block ×18, first 2 shown]
	ds_read_b64 v[34:35], v101 offset:56
	v_cndmask_b32_e64 v21, v21, v25, s[22:23]
	v_cndmask_b32_e64 v20, v20, v24, s[22:23]
	;; [unrolled: 1-line block ×8, first 2 shown]
	s_waitcnt lgkmcnt(0)
	v_fmac_f64_e32 v[32:33], v[20:21], v[34:35]
	s_and_saveexec_b64 s[4:5], s[2:3]
	s_cbranch_execz .LBB78_294
; %bb.293:
	ds_read_b64 v[20:21], v101 offset:64
	s_waitcnt lgkmcnt(0)
	v_fmac_f64_e32 v[32:33], v[18:19], v[20:21]
.LBB78_294:
	s_or_b64 exec, exec, s[4:5]
.LBB78_295:
	s_or_b64 exec, exec, s[46:47]
.LBB78_296:
	s_or_b64 exec, exec, s[30:31]
.LBB78_297:
	s_or_b64 exec, exec, s[44:45]
.LBB78_298:
	s_or_b64 exec, exec, s[34:35]
.LBB78_299:
	s_or_b64 exec, exec, s[42:43]
.LBB78_300:
	s_or_b64 exec, exec, s[36:37]
.LBB78_301:
	s_or_b64 exec, exec, s[40:41]
	v_mov_b32_e32 v20, 0
	ds_read_b64 v[20:21], v20 offset:72
	s_waitcnt lgkmcnt(0)
	v_mul_f64 v[20:21], v[32:33], v[20:21]
.LBB78_302:
	s_or_b64 exec, exec, s[38:39]
	v_cmp_gt_u32_e32 vcc, 10, v0
	ds_write_b64 v101, v[22:23]
	s_waitcnt lgkmcnt(0)
	; wave barrier
	s_and_saveexec_b64 s[28:29], vcc
	s_cbranch_execz .LBB78_312
; %bb.303:
	s_and_b64 vcc, exec, s[0:1]
	s_cbranch_vccnz .LBB78_305
; %bb.304:
	v_cmp_eq_u32_e32 vcc, 1, v0
	v_cmp_eq_u32_e64 s[2:3], 2, v0
	v_cmp_eq_u32_e64 s[4:5], 3, v0
	v_cndmask_b32_e32 v32, v3, v5, vcc
	v_cndmask_b32_e64 v32, v32, v7, s[2:3]
	v_cndmask_b32_e64 v32, v32, v9, s[4:5]
	v_cmp_eq_u32_e64 s[6:7], 4, v0
	v_cmp_eq_u32_e64 s[8:9], 5, v0
	v_cmp_eq_u32_e64 s[10:11], 6, v0
	v_cndmask_b32_e64 v32, v32, v11, s[6:7]
	v_cndmask_b32_e64 v32, v32, v13, s[8:9]
	v_cndmask_b32_e64 v32, v32, v15, s[10:11]
	v_cmp_eq_u32_e64 s[12:13], 7, v0
	v_cmp_eq_u32_e64 s[14:15], 8, v0
	v_cmp_eq_u32_e64 s[16:17], 9, v0
	v_cndmask_b32_e64 v32, v32, v17, s[12:13]
	;; [unrolled: 6-line block ×3, first 2 shown]
	v_cndmask_b32_e64 v32, v32, v25, s[20:21]
	v_cndmask_b32_e64 v32, v32, v27, s[22:23]
	v_cmp_eq_u32_e64 s[24:25], 13, v0
	v_cmp_eq_u32_e64 s[26:27], 14, v0
	ds_read_b64 v[34:35], v101
	v_cndmask_b32_e64 v32, v32, v29, s[24:25]
	v_cndmask_b32_e64 v33, v32, v31, s[26:27]
	v_cndmask_b32_e32 v32, v2, v4, vcc
	v_cndmask_b32_e64 v32, v32, v6, s[2:3]
	v_cndmask_b32_e64 v32, v32, v8, s[4:5]
	;; [unrolled: 1-line block ×13, first 2 shown]
	s_waitcnt lgkmcnt(0)
	v_mul_f64 v[32:33], v[32:33], v[34:35]
	s_cbranch_execz .LBB78_306
	s_branch .LBB78_307
.LBB78_305:
                                        ; implicit-def: $vgpr32_vgpr33
.LBB78_306:
	ds_read_b64 v[32:33], v101
.LBB78_307:
	v_cmp_ne_u32_e32 vcc, 9, v0
	s_and_saveexec_b64 s[6:7], vcc
	s_cbranch_execz .LBB78_311
; %bb.308:
	v_mov_b32_e32 v34, 0x88
	v_lshl_add_u32 v36, v0, 3, v34
	s_mov_b64 s[8:9], 0
	v_mov_b64_e32 v[34:35], v[0:1]
.LBB78_309:                             ; =>This Inner Loop Header: Depth=1
	v_lshl_add_u64 v[34:35], v[34:35], 0, 1
	v_cmp_eq_u32_e32 vcc, 1, v34
	v_cmp_eq_u32_e64 s[4:5], 2, v34
	v_cmp_lt_u32_e64 s[2:3], 8, v34
	v_cndmask_b32_e32 v37, v3, v5, vcc
	v_cndmask_b32_e64 v37, v37, v7, s[4:5]
	v_cndmask_b32_e32 v40, v2, v4, vcc
	v_cmp_eq_u32_e32 vcc, 3, v34
	s_or_b64 s[8:9], s[2:3], s[8:9]
	v_cndmask_b32_e64 v40, v40, v6, s[4:5]
	v_cndmask_b32_e32 v37, v37, v9, vcc
	v_cmp_eq_u32_e64 s[2:3], 4, v34
	v_cndmask_b32_e32 v40, v40, v8, vcc
	v_cmp_eq_u32_e32 vcc, 5, v34
	v_cndmask_b32_e64 v37, v37, v11, s[2:3]
	v_cndmask_b32_e64 v40, v40, v10, s[2:3]
	v_cndmask_b32_e32 v37, v37, v13, vcc
	v_cmp_eq_u32_e64 s[2:3], 6, v34
	v_cndmask_b32_e32 v40, v40, v12, vcc
	v_cmp_eq_u32_e32 vcc, 7, v34
	v_cndmask_b32_e64 v37, v37, v15, s[2:3]
	;; [unrolled: 6-line block ×4, first 2 shown]
	ds_read_b64 v[38:39], v36
	v_cndmask_b32_e32 v37, v37, v25, vcc
	v_cndmask_b32_e64 v40, v40, v22, s[2:3]
	v_cmp_eq_u32_e64 s[2:3], 12, v34
	v_cndmask_b32_e32 v40, v40, v24, vcc
	v_cmp_eq_u32_e32 vcc, 13, v34
	v_cndmask_b32_e64 v37, v37, v27, s[2:3]
	v_cndmask_b32_e64 v40, v40, v26, s[2:3]
	v_cndmask_b32_e32 v37, v37, v29, vcc
	v_cmp_eq_u32_e64 s[2:3], 14, v34
	v_add_u32_e32 v36, 8, v36
	s_nop 0
	v_cndmask_b32_e64 v41, v37, v31, s[2:3]
	v_cndmask_b32_e32 v37, v40, v28, vcc
	v_cndmask_b32_e64 v40, v37, v30, s[2:3]
	s_waitcnt lgkmcnt(0)
	v_fmac_f64_e32 v[32:33], v[40:41], v[38:39]
	s_andn2_b64 exec, exec, s[8:9]
	s_cbranch_execnz .LBB78_309
; %bb.310:
	s_or_b64 exec, exec, s[8:9]
.LBB78_311:
	s_or_b64 exec, exec, s[6:7]
	v_mov_b32_e32 v22, 0
	ds_read_b64 v[22:23], v22 offset:80
	s_waitcnt lgkmcnt(0)
	v_mul_f64 v[22:23], v[32:33], v[22:23]
.LBB78_312:
	s_or_b64 exec, exec, s[28:29]
	v_cmp_gt_u32_e32 vcc, 11, v0
	ds_write_b64 v101, v[24:25]
	s_waitcnt lgkmcnt(0)
	; wave barrier
	s_and_saveexec_b64 s[28:29], vcc
	s_cbranch_execz .LBB78_322
; %bb.313:
	s_and_b64 vcc, exec, s[0:1]
	s_cbranch_vccnz .LBB78_315
; %bb.314:
	v_cmp_eq_u32_e32 vcc, 1, v0
	v_cmp_eq_u32_e64 s[2:3], 2, v0
	v_cmp_eq_u32_e64 s[4:5], 3, v0
	v_cndmask_b32_e32 v32, v3, v5, vcc
	v_cndmask_b32_e64 v32, v32, v7, s[2:3]
	v_cndmask_b32_e64 v32, v32, v9, s[4:5]
	v_cmp_eq_u32_e64 s[6:7], 4, v0
	v_cmp_eq_u32_e64 s[8:9], 5, v0
	v_cmp_eq_u32_e64 s[10:11], 6, v0
	v_cndmask_b32_e64 v32, v32, v11, s[6:7]
	v_cndmask_b32_e64 v32, v32, v13, s[8:9]
	v_cndmask_b32_e64 v32, v32, v15, s[10:11]
	v_cmp_eq_u32_e64 s[12:13], 7, v0
	v_cmp_eq_u32_e64 s[14:15], 8, v0
	v_cmp_eq_u32_e64 s[16:17], 9, v0
	v_cndmask_b32_e64 v32, v32, v17, s[12:13]
	;; [unrolled: 6-line block ×3, first 2 shown]
	v_cndmask_b32_e64 v32, v32, v25, s[20:21]
	v_cndmask_b32_e64 v32, v32, v27, s[22:23]
	v_cmp_eq_u32_e64 s[24:25], 13, v0
	v_cmp_eq_u32_e64 s[26:27], 14, v0
	ds_read_b64 v[34:35], v101
	v_cndmask_b32_e64 v32, v32, v29, s[24:25]
	v_cndmask_b32_e64 v33, v32, v31, s[26:27]
	v_cndmask_b32_e32 v32, v2, v4, vcc
	v_cndmask_b32_e64 v32, v32, v6, s[2:3]
	v_cndmask_b32_e64 v32, v32, v8, s[4:5]
	;; [unrolled: 1-line block ×13, first 2 shown]
	s_waitcnt lgkmcnt(0)
	v_mul_f64 v[32:33], v[32:33], v[34:35]
	s_cbranch_execz .LBB78_316
	s_branch .LBB78_317
.LBB78_315:
                                        ; implicit-def: $vgpr32_vgpr33
.LBB78_316:
	ds_read_b64 v[32:33], v101
.LBB78_317:
	v_cmp_ne_u32_e32 vcc, 10, v0
	s_and_saveexec_b64 s[6:7], vcc
	s_cbranch_execz .LBB78_321
; %bb.318:
	v_mov_b32_e32 v34, 0x88
	v_lshl_add_u32 v36, v0, 3, v34
	s_mov_b64 s[8:9], 0
	v_mov_b64_e32 v[34:35], v[0:1]
.LBB78_319:                             ; =>This Inner Loop Header: Depth=1
	v_lshl_add_u64 v[34:35], v[34:35], 0, 1
	v_cmp_eq_u32_e32 vcc, 1, v34
	v_cmp_eq_u32_e64 s[4:5], 2, v34
	v_cmp_lt_u32_e64 s[2:3], 9, v34
	v_cndmask_b32_e32 v37, v3, v5, vcc
	v_cndmask_b32_e64 v37, v37, v7, s[4:5]
	v_cndmask_b32_e32 v40, v2, v4, vcc
	v_cmp_eq_u32_e32 vcc, 3, v34
	s_or_b64 s[8:9], s[2:3], s[8:9]
	v_cndmask_b32_e64 v40, v40, v6, s[4:5]
	v_cndmask_b32_e32 v37, v37, v9, vcc
	v_cmp_eq_u32_e64 s[2:3], 4, v34
	v_cndmask_b32_e32 v40, v40, v8, vcc
	v_cmp_eq_u32_e32 vcc, 5, v34
	v_cndmask_b32_e64 v37, v37, v11, s[2:3]
	v_cndmask_b32_e64 v40, v40, v10, s[2:3]
	v_cndmask_b32_e32 v37, v37, v13, vcc
	v_cmp_eq_u32_e64 s[2:3], 6, v34
	v_cndmask_b32_e32 v40, v40, v12, vcc
	v_cmp_eq_u32_e32 vcc, 7, v34
	v_cndmask_b32_e64 v37, v37, v15, s[2:3]
	;; [unrolled: 6-line block ×4, first 2 shown]
	ds_read_b64 v[38:39], v36
	v_cndmask_b32_e32 v37, v37, v25, vcc
	v_cndmask_b32_e64 v40, v40, v22, s[2:3]
	v_cmp_eq_u32_e64 s[2:3], 12, v34
	v_cndmask_b32_e32 v40, v40, v24, vcc
	v_cmp_eq_u32_e32 vcc, 13, v34
	v_cndmask_b32_e64 v37, v37, v27, s[2:3]
	v_cndmask_b32_e64 v40, v40, v26, s[2:3]
	v_cndmask_b32_e32 v37, v37, v29, vcc
	v_cmp_eq_u32_e64 s[2:3], 14, v34
	v_add_u32_e32 v36, 8, v36
	s_nop 0
	v_cndmask_b32_e64 v41, v37, v31, s[2:3]
	v_cndmask_b32_e32 v37, v40, v28, vcc
	v_cndmask_b32_e64 v40, v37, v30, s[2:3]
	s_waitcnt lgkmcnt(0)
	v_fmac_f64_e32 v[32:33], v[40:41], v[38:39]
	s_andn2_b64 exec, exec, s[8:9]
	s_cbranch_execnz .LBB78_319
; %bb.320:
	s_or_b64 exec, exec, s[8:9]
.LBB78_321:
	s_or_b64 exec, exec, s[6:7]
	v_mov_b32_e32 v24, 0
	ds_read_b64 v[24:25], v24 offset:88
	s_waitcnt lgkmcnt(0)
	v_mul_f64 v[24:25], v[32:33], v[24:25]
.LBB78_322:
	s_or_b64 exec, exec, s[28:29]
	v_cmp_gt_u32_e32 vcc, 12, v0
	ds_write_b64 v101, v[26:27]
	s_waitcnt lgkmcnt(0)
	; wave barrier
	s_and_saveexec_b64 s[28:29], vcc
	s_cbranch_execz .LBB78_332
; %bb.323:
	s_and_b64 vcc, exec, s[0:1]
	s_cbranch_vccnz .LBB78_325
; %bb.324:
	v_cmp_eq_u32_e32 vcc, 1, v0
	v_cmp_eq_u32_e64 s[2:3], 2, v0
	v_cmp_eq_u32_e64 s[4:5], 3, v0
	v_cndmask_b32_e32 v32, v3, v5, vcc
	v_cndmask_b32_e64 v32, v32, v7, s[2:3]
	v_cndmask_b32_e64 v32, v32, v9, s[4:5]
	v_cmp_eq_u32_e64 s[6:7], 4, v0
	v_cmp_eq_u32_e64 s[8:9], 5, v0
	v_cmp_eq_u32_e64 s[10:11], 6, v0
	v_cndmask_b32_e64 v32, v32, v11, s[6:7]
	v_cndmask_b32_e64 v32, v32, v13, s[8:9]
	v_cndmask_b32_e64 v32, v32, v15, s[10:11]
	v_cmp_eq_u32_e64 s[12:13], 7, v0
	v_cmp_eq_u32_e64 s[14:15], 8, v0
	v_cmp_eq_u32_e64 s[16:17], 9, v0
	v_cndmask_b32_e64 v32, v32, v17, s[12:13]
	;; [unrolled: 6-line block ×3, first 2 shown]
	v_cndmask_b32_e64 v32, v32, v25, s[20:21]
	v_cndmask_b32_e64 v32, v32, v27, s[22:23]
	v_cmp_eq_u32_e64 s[24:25], 13, v0
	v_cmp_eq_u32_e64 s[26:27], 14, v0
	ds_read_b64 v[34:35], v101
	v_cndmask_b32_e64 v32, v32, v29, s[24:25]
	v_cndmask_b32_e64 v33, v32, v31, s[26:27]
	v_cndmask_b32_e32 v32, v2, v4, vcc
	v_cndmask_b32_e64 v32, v32, v6, s[2:3]
	v_cndmask_b32_e64 v32, v32, v8, s[4:5]
	;; [unrolled: 1-line block ×13, first 2 shown]
	s_waitcnt lgkmcnt(0)
	v_mul_f64 v[32:33], v[32:33], v[34:35]
	s_cbranch_execz .LBB78_326
	s_branch .LBB78_327
.LBB78_325:
                                        ; implicit-def: $vgpr32_vgpr33
.LBB78_326:
	ds_read_b64 v[32:33], v101
.LBB78_327:
	v_cmp_ne_u32_e32 vcc, 11, v0
	s_and_saveexec_b64 s[6:7], vcc
	s_cbranch_execz .LBB78_331
; %bb.328:
	v_mov_b32_e32 v34, 0x88
	v_lshl_add_u32 v36, v0, 3, v34
	s_mov_b64 s[8:9], 0
	v_mov_b64_e32 v[34:35], v[0:1]
.LBB78_329:                             ; =>This Inner Loop Header: Depth=1
	v_lshl_add_u64 v[34:35], v[34:35], 0, 1
	v_cmp_eq_u32_e32 vcc, 1, v34
	v_cmp_eq_u32_e64 s[4:5], 2, v34
	v_cmp_lt_u32_e64 s[2:3], 10, v34
	v_cndmask_b32_e32 v37, v3, v5, vcc
	v_cndmask_b32_e64 v37, v37, v7, s[4:5]
	v_cndmask_b32_e32 v40, v2, v4, vcc
	v_cmp_eq_u32_e32 vcc, 3, v34
	s_or_b64 s[8:9], s[2:3], s[8:9]
	v_cndmask_b32_e64 v40, v40, v6, s[4:5]
	v_cndmask_b32_e32 v37, v37, v9, vcc
	v_cmp_eq_u32_e64 s[2:3], 4, v34
	v_cndmask_b32_e32 v40, v40, v8, vcc
	v_cmp_eq_u32_e32 vcc, 5, v34
	v_cndmask_b32_e64 v37, v37, v11, s[2:3]
	v_cndmask_b32_e64 v40, v40, v10, s[2:3]
	v_cndmask_b32_e32 v37, v37, v13, vcc
	v_cmp_eq_u32_e64 s[2:3], 6, v34
	v_cndmask_b32_e32 v40, v40, v12, vcc
	v_cmp_eq_u32_e32 vcc, 7, v34
	v_cndmask_b32_e64 v37, v37, v15, s[2:3]
	;; [unrolled: 6-line block ×4, first 2 shown]
	ds_read_b64 v[38:39], v36
	v_cndmask_b32_e32 v37, v37, v25, vcc
	v_cndmask_b32_e64 v40, v40, v22, s[2:3]
	v_cmp_eq_u32_e64 s[2:3], 12, v34
	v_cndmask_b32_e32 v40, v40, v24, vcc
	v_cmp_eq_u32_e32 vcc, 13, v34
	v_cndmask_b32_e64 v37, v37, v27, s[2:3]
	v_cndmask_b32_e64 v40, v40, v26, s[2:3]
	v_cndmask_b32_e32 v37, v37, v29, vcc
	v_cmp_eq_u32_e64 s[2:3], 14, v34
	v_add_u32_e32 v36, 8, v36
	s_nop 0
	v_cndmask_b32_e64 v41, v37, v31, s[2:3]
	v_cndmask_b32_e32 v37, v40, v28, vcc
	v_cndmask_b32_e64 v40, v37, v30, s[2:3]
	s_waitcnt lgkmcnt(0)
	v_fmac_f64_e32 v[32:33], v[40:41], v[38:39]
	s_andn2_b64 exec, exec, s[8:9]
	s_cbranch_execnz .LBB78_329
; %bb.330:
	s_or_b64 exec, exec, s[8:9]
.LBB78_331:
	s_or_b64 exec, exec, s[6:7]
	v_mov_b32_e32 v26, 0
	ds_read_b64 v[26:27], v26 offset:96
	s_waitcnt lgkmcnt(0)
	v_mul_f64 v[26:27], v[32:33], v[26:27]
.LBB78_332:
	s_or_b64 exec, exec, s[28:29]
	v_cmp_gt_u32_e64 s[2:3], 13, v0
	ds_write_b64 v101, v[28:29]
	s_waitcnt lgkmcnt(0)
	; wave barrier
	s_and_saveexec_b64 s[30:31], s[2:3]
	s_cbranch_execz .LBB78_342
; %bb.333:
	s_and_b64 vcc, exec, s[0:1]
	s_cbranch_vccnz .LBB78_335
; %bb.334:
	v_cmp_eq_u32_e32 vcc, 1, v0
	v_cmp_eq_u32_e64 s[4:5], 2, v0
	v_cmp_eq_u32_e64 s[6:7], 3, v0
	v_cndmask_b32_e32 v32, v3, v5, vcc
	v_cndmask_b32_e64 v32, v32, v7, s[4:5]
	v_cndmask_b32_e64 v32, v32, v9, s[6:7]
	v_cmp_eq_u32_e64 s[8:9], 4, v0
	v_cmp_eq_u32_e64 s[10:11], 5, v0
	v_cmp_eq_u32_e64 s[12:13], 6, v0
	v_cndmask_b32_e64 v32, v32, v11, s[8:9]
	v_cndmask_b32_e64 v32, v32, v13, s[10:11]
	v_cndmask_b32_e64 v32, v32, v15, s[12:13]
	v_cmp_eq_u32_e64 s[14:15], 7, v0
	v_cmp_eq_u32_e64 s[16:17], 8, v0
	v_cmp_eq_u32_e64 s[18:19], 9, v0
	v_cndmask_b32_e64 v32, v32, v17, s[14:15]
	;; [unrolled: 6-line block ×3, first 2 shown]
	v_cndmask_b32_e64 v32, v32, v25, s[22:23]
	v_cndmask_b32_e64 v32, v32, v27, s[24:25]
	v_cmp_eq_u32_e64 s[26:27], 13, v0
	v_cmp_eq_u32_e64 s[28:29], 14, v0
	ds_read_b64 v[34:35], v101
	v_cndmask_b32_e64 v32, v32, v29, s[26:27]
	v_cndmask_b32_e64 v33, v32, v31, s[28:29]
	v_cndmask_b32_e32 v32, v2, v4, vcc
	v_cndmask_b32_e64 v32, v32, v6, s[4:5]
	v_cndmask_b32_e64 v32, v32, v8, s[6:7]
	v_cndmask_b32_e64 v32, v32, v10, s[8:9]
	v_cndmask_b32_e64 v32, v32, v12, s[10:11]
	v_cndmask_b32_e64 v32, v32, v14, s[12:13]
	v_cndmask_b32_e64 v32, v32, v16, s[14:15]
	v_cndmask_b32_e64 v32, v32, v18, s[16:17]
	v_cndmask_b32_e64 v32, v32, v20, s[18:19]
	v_cndmask_b32_e64 v32, v32, v22, s[20:21]
	v_cndmask_b32_e64 v32, v32, v24, s[22:23]
	v_cndmask_b32_e64 v32, v32, v26, s[24:25]
	v_cndmask_b32_e64 v32, v32, v28, s[26:27]
	v_cndmask_b32_e64 v32, v32, v30, s[28:29]
	s_waitcnt lgkmcnt(0)
	v_mul_f64 v[32:33], v[32:33], v[34:35]
	s_cbranch_execz .LBB78_336
	s_branch .LBB78_337
.LBB78_335:
                                        ; implicit-def: $vgpr32_vgpr33
.LBB78_336:
	ds_read_b64 v[32:33], v101
.LBB78_337:
	v_cmp_ne_u32_e32 vcc, 12, v0
	s_and_saveexec_b64 s[8:9], vcc
	s_cbranch_execz .LBB78_341
; %bb.338:
	v_mov_b32_e32 v34, 0x88
	v_lshl_add_u32 v36, v0, 3, v34
	s_mov_b64 s[10:11], 0
	v_mov_b64_e32 v[34:35], v[0:1]
.LBB78_339:                             ; =>This Inner Loop Header: Depth=1
	v_lshl_add_u64 v[34:35], v[34:35], 0, 1
	v_cmp_eq_u32_e32 vcc, 1, v34
	v_cmp_eq_u32_e64 s[6:7], 2, v34
	v_cmp_lt_u32_e64 s[4:5], 11, v34
	v_cndmask_b32_e32 v37, v3, v5, vcc
	v_cndmask_b32_e64 v37, v37, v7, s[6:7]
	v_cndmask_b32_e32 v40, v2, v4, vcc
	v_cmp_eq_u32_e32 vcc, 3, v34
	s_or_b64 s[10:11], s[4:5], s[10:11]
	v_cndmask_b32_e64 v40, v40, v6, s[6:7]
	v_cndmask_b32_e32 v37, v37, v9, vcc
	v_cmp_eq_u32_e64 s[4:5], 4, v34
	v_cndmask_b32_e32 v40, v40, v8, vcc
	v_cmp_eq_u32_e32 vcc, 5, v34
	v_cndmask_b32_e64 v37, v37, v11, s[4:5]
	v_cndmask_b32_e64 v40, v40, v10, s[4:5]
	v_cndmask_b32_e32 v37, v37, v13, vcc
	v_cmp_eq_u32_e64 s[4:5], 6, v34
	v_cndmask_b32_e32 v40, v40, v12, vcc
	v_cmp_eq_u32_e32 vcc, 7, v34
	v_cndmask_b32_e64 v37, v37, v15, s[4:5]
	;; [unrolled: 6-line block ×4, first 2 shown]
	ds_read_b64 v[38:39], v36
	v_cndmask_b32_e32 v37, v37, v25, vcc
	v_cndmask_b32_e64 v40, v40, v22, s[4:5]
	v_cmp_eq_u32_e64 s[4:5], 12, v34
	v_cndmask_b32_e32 v40, v40, v24, vcc
	v_cmp_eq_u32_e32 vcc, 13, v34
	v_cndmask_b32_e64 v37, v37, v27, s[4:5]
	v_cndmask_b32_e64 v40, v40, v26, s[4:5]
	v_cndmask_b32_e32 v37, v37, v29, vcc
	v_cmp_eq_u32_e64 s[4:5], 14, v34
	v_add_u32_e32 v36, 8, v36
	s_nop 0
	v_cndmask_b32_e64 v41, v37, v31, s[4:5]
	v_cndmask_b32_e32 v37, v40, v28, vcc
	v_cndmask_b32_e64 v40, v37, v30, s[4:5]
	s_waitcnt lgkmcnt(0)
	v_fmac_f64_e32 v[32:33], v[40:41], v[38:39]
	s_andn2_b64 exec, exec, s[10:11]
	s_cbranch_execnz .LBB78_339
; %bb.340:
	s_or_b64 exec, exec, s[10:11]
.LBB78_341:
	s_or_b64 exec, exec, s[8:9]
	v_mov_b32_e32 v28, 0
	ds_read_b64 v[28:29], v28 offset:104
	s_waitcnt lgkmcnt(0)
	v_mul_f64 v[28:29], v[32:33], v[28:29]
.LBB78_342:
	s_or_b64 exec, exec, s[30:31]
	v_cmp_ne_u32_e32 vcc, 14, v0
	ds_write_b64 v101, v[30:31]
	s_waitcnt lgkmcnt(0)
	; wave barrier
	s_and_saveexec_b64 s[28:29], vcc
	s_cbranch_execz .LBB78_352
; %bb.343:
	s_and_b64 vcc, exec, s[0:1]
	s_cbranch_vccnz .LBB78_345
; %bb.344:
	v_cmp_eq_u32_e32 vcc, 1, v0
	v_cmp_eq_u32_e64 s[0:1], 2, v0
	v_cmp_eq_u32_e64 s[4:5], 3, v0
	v_cndmask_b32_e32 v32, v3, v5, vcc
	v_cndmask_b32_e64 v32, v32, v7, s[0:1]
	v_cndmask_b32_e64 v32, v32, v9, s[4:5]
	v_cmp_eq_u32_e64 s[6:7], 4, v0
	v_cmp_eq_u32_e64 s[8:9], 5, v0
	v_cmp_eq_u32_e64 s[10:11], 6, v0
	v_cndmask_b32_e64 v32, v32, v11, s[6:7]
	v_cndmask_b32_e64 v32, v32, v13, s[8:9]
	v_cndmask_b32_e64 v32, v32, v15, s[10:11]
	v_cmp_eq_u32_e64 s[12:13], 7, v0
	v_cmp_eq_u32_e64 s[14:15], 8, v0
	v_cmp_eq_u32_e64 s[16:17], 9, v0
	v_cndmask_b32_e64 v32, v32, v17, s[12:13]
	;; [unrolled: 6-line block ×3, first 2 shown]
	v_cndmask_b32_e64 v32, v32, v25, s[20:21]
	v_cndmask_b32_e64 v32, v32, v27, s[22:23]
	v_cmp_eq_u32_e64 s[24:25], 13, v0
	v_cmp_eq_u32_e64 s[26:27], 14, v0
	ds_read_b64 v[34:35], v101
	v_cndmask_b32_e64 v32, v32, v29, s[24:25]
	v_cndmask_b32_e64 v33, v32, v31, s[26:27]
	v_cndmask_b32_e32 v32, v2, v4, vcc
	v_cndmask_b32_e64 v32, v32, v6, s[0:1]
	v_cndmask_b32_e64 v32, v32, v8, s[4:5]
	;; [unrolled: 1-line block ×13, first 2 shown]
	s_waitcnt lgkmcnt(0)
	v_mul_f64 v[32:33], v[32:33], v[34:35]
	s_cbranch_execz .LBB78_346
	s_branch .LBB78_347
.LBB78_345:
                                        ; implicit-def: $vgpr32_vgpr33
.LBB78_346:
	ds_read_b64 v[32:33], v101
.LBB78_347:
	s_and_saveexec_b64 s[4:5], s[2:3]
	s_cbranch_execz .LBB78_351
; %bb.348:
	v_mov_b32_e32 v34, 0x88
	v_lshl_add_u32 v34, v0, 3, v34
	s_mov_b64 s[6:7], 0
.LBB78_349:                             ; =>This Inner Loop Header: Depth=1
	v_lshl_add_u64 v[0:1], v[0:1], 0, 1
	v_cmp_eq_u32_e32 vcc, 1, v0
	v_cmp_eq_u32_e64 s[2:3], 2, v0
	v_cmp_lt_u32_e64 s[0:1], 12, v0
	v_cndmask_b32_e32 v35, v3, v5, vcc
	v_cndmask_b32_e64 v35, v35, v7, s[2:3]
	v_cndmask_b32_e32 v38, v2, v4, vcc
	v_cmp_eq_u32_e32 vcc, 3, v0
	s_or_b64 s[6:7], s[0:1], s[6:7]
	v_cndmask_b32_e64 v38, v38, v6, s[2:3]
	v_cndmask_b32_e32 v35, v35, v9, vcc
	v_cmp_eq_u32_e64 s[0:1], 4, v0
	v_cndmask_b32_e32 v38, v38, v8, vcc
	v_cmp_eq_u32_e32 vcc, 5, v0
	v_cndmask_b32_e64 v35, v35, v11, s[0:1]
	v_cndmask_b32_e64 v38, v38, v10, s[0:1]
	v_cndmask_b32_e32 v35, v35, v13, vcc
	v_cmp_eq_u32_e64 s[0:1], 6, v0
	v_cndmask_b32_e32 v38, v38, v12, vcc
	v_cmp_eq_u32_e32 vcc, 7, v0
	v_cndmask_b32_e64 v35, v35, v15, s[0:1]
	;; [unrolled: 6-line block ×4, first 2 shown]
	ds_read_b64 v[36:37], v34
	v_cndmask_b32_e32 v35, v35, v25, vcc
	v_cndmask_b32_e64 v38, v38, v22, s[0:1]
	v_cmp_eq_u32_e64 s[0:1], 12, v0
	v_cndmask_b32_e32 v38, v38, v24, vcc
	v_cmp_eq_u32_e32 vcc, 13, v0
	v_cndmask_b32_e64 v35, v35, v27, s[0:1]
	v_cndmask_b32_e64 v38, v38, v26, s[0:1]
	v_cndmask_b32_e32 v35, v35, v29, vcc
	v_cmp_eq_u32_e64 s[0:1], 14, v0
	v_add_u32_e32 v34, 8, v34
	s_nop 0
	v_cndmask_b32_e64 v39, v35, v31, s[0:1]
	v_cndmask_b32_e32 v35, v38, v28, vcc
	v_cndmask_b32_e64 v38, v35, v30, s[0:1]
	s_waitcnt lgkmcnt(0)
	v_fmac_f64_e32 v[32:33], v[38:39], v[36:37]
	s_andn2_b64 exec, exec, s[6:7]
	s_cbranch_execnz .LBB78_349
; %bb.350:
	s_or_b64 exec, exec, s[6:7]
.LBB78_351:
	s_or_b64 exec, exec, s[4:5]
	v_mov_b32_e32 v0, 0
	ds_read_b64 v[0:1], v0 offset:112
	s_waitcnt lgkmcnt(0)
	v_mul_f64 v[30:31], v[32:33], v[0:1]
.LBB78_352:
	s_or_b64 exec, exec, s[28:29]
	v_mov_b64_e32 v[64:65], v[32:33]
	v_mov_b64_e32 v[62:63], v[30:31]
	;; [unrolled: 1-line block ×16, first 2 shown]
.LBB78_353:
	flat_store_dwordx2 v[66:67], v[34:35]
	flat_store_dwordx2 v[68:69], v[36:37]
	;; [unrolled: 1-line block ×15, first 2 shown]
.LBB78_354:
	s_endpgm
	.section	.rodata,"a",@progbits
	.p2align	6, 0x0
	.amdhsa_kernel _ZN9rocsolver6v33100L18trti2_kernel_smallILi15EdPKPdEEv13rocblas_fill_17rocblas_diagonal_T1_iil
		.amdhsa_group_segment_fixed_size 248
		.amdhsa_private_segment_fixed_size 0
		.amdhsa_kernarg_size 32
		.amdhsa_user_sgpr_count 2
		.amdhsa_user_sgpr_dispatch_ptr 0
		.amdhsa_user_sgpr_queue_ptr 0
		.amdhsa_user_sgpr_kernarg_segment_ptr 1
		.amdhsa_user_sgpr_dispatch_id 0
		.amdhsa_user_sgpr_kernarg_preload_length 0
		.amdhsa_user_sgpr_kernarg_preload_offset 0
		.amdhsa_user_sgpr_private_segment_size 0
		.amdhsa_uses_dynamic_stack 0
		.amdhsa_enable_private_segment 0
		.amdhsa_system_sgpr_workgroup_id_x 1
		.amdhsa_system_sgpr_workgroup_id_y 0
		.amdhsa_system_sgpr_workgroup_id_z 0
		.amdhsa_system_sgpr_workgroup_info 0
		.amdhsa_system_vgpr_workitem_id 0
		.amdhsa_next_free_vgpr 124
		.amdhsa_next_free_sgpr 48
		.amdhsa_accum_offset 124
		.amdhsa_reserve_vcc 1
		.amdhsa_float_round_mode_32 0
		.amdhsa_float_round_mode_16_64 0
		.amdhsa_float_denorm_mode_32 3
		.amdhsa_float_denorm_mode_16_64 3
		.amdhsa_dx10_clamp 1
		.amdhsa_ieee_mode 1
		.amdhsa_fp16_overflow 0
		.amdhsa_tg_split 0
		.amdhsa_exception_fp_ieee_invalid_op 0
		.amdhsa_exception_fp_denorm_src 0
		.amdhsa_exception_fp_ieee_div_zero 0
		.amdhsa_exception_fp_ieee_overflow 0
		.amdhsa_exception_fp_ieee_underflow 0
		.amdhsa_exception_fp_ieee_inexact 0
		.amdhsa_exception_int_div_zero 0
	.end_amdhsa_kernel
	.section	.text._ZN9rocsolver6v33100L18trti2_kernel_smallILi15EdPKPdEEv13rocblas_fill_17rocblas_diagonal_T1_iil,"axG",@progbits,_ZN9rocsolver6v33100L18trti2_kernel_smallILi15EdPKPdEEv13rocblas_fill_17rocblas_diagonal_T1_iil,comdat
.Lfunc_end78:
	.size	_ZN9rocsolver6v33100L18trti2_kernel_smallILi15EdPKPdEEv13rocblas_fill_17rocblas_diagonal_T1_iil, .Lfunc_end78-_ZN9rocsolver6v33100L18trti2_kernel_smallILi15EdPKPdEEv13rocblas_fill_17rocblas_diagonal_T1_iil
                                        ; -- End function
	.set _ZN9rocsolver6v33100L18trti2_kernel_smallILi15EdPKPdEEv13rocblas_fill_17rocblas_diagonal_T1_iil.num_vgpr, 124
	.set _ZN9rocsolver6v33100L18trti2_kernel_smallILi15EdPKPdEEv13rocblas_fill_17rocblas_diagonal_T1_iil.num_agpr, 0
	.set _ZN9rocsolver6v33100L18trti2_kernel_smallILi15EdPKPdEEv13rocblas_fill_17rocblas_diagonal_T1_iil.numbered_sgpr, 48
	.set _ZN9rocsolver6v33100L18trti2_kernel_smallILi15EdPKPdEEv13rocblas_fill_17rocblas_diagonal_T1_iil.num_named_barrier, 0
	.set _ZN9rocsolver6v33100L18trti2_kernel_smallILi15EdPKPdEEv13rocblas_fill_17rocblas_diagonal_T1_iil.private_seg_size, 0
	.set _ZN9rocsolver6v33100L18trti2_kernel_smallILi15EdPKPdEEv13rocblas_fill_17rocblas_diagonal_T1_iil.uses_vcc, 1
	.set _ZN9rocsolver6v33100L18trti2_kernel_smallILi15EdPKPdEEv13rocblas_fill_17rocblas_diagonal_T1_iil.uses_flat_scratch, 0
	.set _ZN9rocsolver6v33100L18trti2_kernel_smallILi15EdPKPdEEv13rocblas_fill_17rocblas_diagonal_T1_iil.has_dyn_sized_stack, 0
	.set _ZN9rocsolver6v33100L18trti2_kernel_smallILi15EdPKPdEEv13rocblas_fill_17rocblas_diagonal_T1_iil.has_recursion, 0
	.set _ZN9rocsolver6v33100L18trti2_kernel_smallILi15EdPKPdEEv13rocblas_fill_17rocblas_diagonal_T1_iil.has_indirect_call, 0
	.section	.AMDGPU.csdata,"",@progbits
; Kernel info:
; codeLenInByte = 29444
; TotalNumSgprs: 54
; NumVgprs: 124
; NumAgprs: 0
; TotalNumVgprs: 124
; ScratchSize: 0
; MemoryBound: 0
; FloatMode: 240
; IeeeMode: 1
; LDSByteSize: 248 bytes/workgroup (compile time only)
; SGPRBlocks: 6
; VGPRBlocks: 15
; NumSGPRsForWavesPerEU: 54
; NumVGPRsForWavesPerEU: 124
; AccumOffset: 124
; Occupancy: 4
; WaveLimiterHint : 1
; COMPUTE_PGM_RSRC2:SCRATCH_EN: 0
; COMPUTE_PGM_RSRC2:USER_SGPR: 2
; COMPUTE_PGM_RSRC2:TRAP_HANDLER: 0
; COMPUTE_PGM_RSRC2:TGID_X_EN: 1
; COMPUTE_PGM_RSRC2:TGID_Y_EN: 0
; COMPUTE_PGM_RSRC2:TGID_Z_EN: 0
; COMPUTE_PGM_RSRC2:TIDIG_COMP_CNT: 0
; COMPUTE_PGM_RSRC3_GFX90A:ACCUM_OFFSET: 30
; COMPUTE_PGM_RSRC3_GFX90A:TG_SPLIT: 0
	.section	.text._ZN9rocsolver6v33100L18trti2_kernel_smallILi16EdPKPdEEv13rocblas_fill_17rocblas_diagonal_T1_iil,"axG",@progbits,_ZN9rocsolver6v33100L18trti2_kernel_smallILi16EdPKPdEEv13rocblas_fill_17rocblas_diagonal_T1_iil,comdat
	.globl	_ZN9rocsolver6v33100L18trti2_kernel_smallILi16EdPKPdEEv13rocblas_fill_17rocblas_diagonal_T1_iil ; -- Begin function _ZN9rocsolver6v33100L18trti2_kernel_smallILi16EdPKPdEEv13rocblas_fill_17rocblas_diagonal_T1_iil
	.p2align	8
	.type	_ZN9rocsolver6v33100L18trti2_kernel_smallILi16EdPKPdEEv13rocblas_fill_17rocblas_diagonal_T1_iil,@function
_ZN9rocsolver6v33100L18trti2_kernel_smallILi16EdPKPdEEv13rocblas_fill_17rocblas_diagonal_T1_iil: ; @_ZN9rocsolver6v33100L18trti2_kernel_smallILi16EdPKPdEEv13rocblas_fill_17rocblas_diagonal_T1_iil
; %bb.0:
	v_cmp_gt_u32_e32 vcc, 16, v0
	s_and_saveexec_b64 s[4:5], vcc
	s_cbranch_execz .LBB79_380
; %bb.1:
	s_load_dwordx2 s[4:5], s[0:1], 0x10
	s_load_dwordx4 s[36:39], s[0:1], 0x0
	s_ashr_i32 s3, s2, 31
	s_lshl_b64 s[0:1], s[2:3], 3
	v_mov_b32_e32 v1, 0
	s_waitcnt lgkmcnt(0)
	s_ashr_i32 s3, s4, 31
	s_add_u32 s0, s38, s0
	s_addc_u32 s1, s39, s1
	s_load_dwordx2 s[0:1], s[0:1], 0x0
	s_mov_b32 s2, s4
	s_lshl_b64 s[2:3], s[2:3], 3
	v_lshlrev_b32_e32 v34, 3, v0
	v_mov_b32_e32 v35, v1
	s_waitcnt lgkmcnt(0)
	s_add_u32 s0, s0, s2
	s_addc_u32 s1, s1, s3
	v_lshl_add_u64 v[66:67], s[0:1], 0, v[34:35]
	s_ashr_i32 s3, s5, 31
	s_mov_b32 s2, s5
	v_lshl_add_u64 v[68:69], s[2:3], 3, v[66:67]
	s_add_i32 s2, s5, s5
	v_add_u32_e32 v2, s2, v0
	v_add_u32_e32 v10, s5, v2
	v_ashrrev_i32_e32 v11, 31, v10
	v_lshl_add_u64 v[72:73], v[10:11], 3, s[0:1]
	v_add_u32_e32 v10, s5, v10
	v_ashrrev_i32_e32 v11, 31, v10
	v_lshl_add_u64 v[74:75], v[10:11], 3, s[0:1]
	v_add_u32_e32 v10, s5, v10
	v_ashrrev_i32_e32 v11, 31, v10
	v_lshl_add_u64 v[76:77], v[10:11], 3, s[0:1]
	v_add_u32_e32 v10, s5, v10
	v_add_u32_e32 v18, s5, v10
	v_ashrrev_i32_e32 v19, 31, v18
	v_lshl_add_u64 v[80:81], v[18:19], 3, s[0:1]
	v_add_u32_e32 v18, s5, v18
	v_ashrrev_i32_e32 v19, 31, v18
	v_lshl_add_u64 v[82:83], v[18:19], 3, s[0:1]
	v_add_u32_e32 v18, s5, v18
	v_ashrrev_i32_e32 v19, 31, v18
	v_lshl_add_u64 v[84:85], v[18:19], 3, s[0:1]
	v_add_u32_e32 v18, s5, v18
	v_add_u32_e32 v26, s5, v18
	v_ashrrev_i32_e32 v27, 31, v26
	v_lshl_add_u64 v[88:89], v[26:27], 3, s[0:1]
	v_add_u32_e32 v26, s5, v26
	v_ashrrev_i32_e32 v27, 31, v26
	v_lshl_add_u64 v[90:91], v[26:27], 3, s[0:1]
	v_add_u32_e32 v26, s5, v26
	v_ashrrev_i32_e32 v27, 31, v26
	v_lshl_add_u64 v[92:93], v[26:27], 3, s[0:1]
	v_add_u32_e32 v26, s5, v26
	v_ashrrev_i32_e32 v27, 31, v26
	v_lshl_add_u64 v[94:95], v[26:27], 3, s[0:1]
	v_add_u32_e32 v26, s5, v26
	v_ashrrev_i32_e32 v3, 31, v2
	v_ashrrev_i32_e32 v11, 31, v10
	;; [unrolled: 1-line block ×4, first 2 shown]
	v_lshl_add_u64 v[70:71], v[2:3], 3, s[0:1]
	flat_load_dwordx2 v[2:3], v[66:67]
	flat_load_dwordx2 v[4:5], v[68:69]
	flat_load_dwordx2 v[6:7], v[70:71]
	flat_load_dwordx2 v[8:9], v[72:73]
	v_lshl_add_u64 v[78:79], v[10:11], 3, s[0:1]
	flat_load_dwordx2 v[10:11], v[74:75]
	flat_load_dwordx2 v[12:13], v[76:77]
	flat_load_dwordx2 v[14:15], v[78:79]
	flat_load_dwordx2 v[16:17], v[80:81]
	;; [unrolled: 5-line block ×4, first 2 shown]
	s_cmpk_lg_i32 s37, 0x84
	s_cselect_b64 s[34:35], -1, 0
	s_cmpk_eq_i32 s37, 0x84
	v_mov_b64_e32 v[36:37], -1.0
	s_cbranch_scc1 .LBB79_3
; %bb.2:
	v_cmp_eq_u32_e64 s[0:1], 1, v0
	v_cmp_eq_u32_e64 s[2:3], 2, v0
	;; [unrolled: 1-line block ×3, first 2 shown]
	s_waitcnt vmcnt(0) lgkmcnt(0)
	v_cndmask_b32_e64 v35, v3, v5, s[0:1]
	v_cndmask_b32_e64 v35, v35, v7, s[2:3]
	v_cndmask_b32_e64 v35, v35, v9, s[4:5]
	v_cmp_eq_u32_e64 s[6:7], 4, v0
	v_cmp_eq_u32_e64 s[8:9], 5, v0
	v_cmp_eq_u32_e64 s[10:11], 6, v0
	v_cndmask_b32_e64 v35, v35, v11, s[6:7]
	v_cndmask_b32_e64 v35, v35, v13, s[8:9]
	v_cndmask_b32_e64 v35, v35, v15, s[10:11]
	v_cmp_eq_u32_e64 s[12:13], 7, v0
	v_cmp_eq_u32_e64 s[14:15], 8, v0
	v_cmp_eq_u32_e64 s[16:17], 9, v0
	;; [unrolled: 6-line block ×4, first 2 shown]
	v_cndmask_b32_e64 v35, v35, v29, s[24:25]
	v_cndmask_b32_e64 v35, v35, v31, s[26:27]
	;; [unrolled: 1-line block ×18, first 2 shown]
	v_div_scale_f64 v[38:39], s[30:31], v[36:37], v[36:37], 1.0
	v_rcp_f64_e32 v[40:41], v[38:39]
	s_nop 0
	v_fma_f64 v[42:43], -v[38:39], v[40:41], 1.0
	v_fmac_f64_e32 v[40:41], v[40:41], v[42:43]
	v_fma_f64 v[42:43], -v[38:39], v[40:41], 1.0
	v_fmac_f64_e32 v[40:41], v[40:41], v[42:43]
	v_div_scale_f64 v[42:43], vcc, 1.0, v[36:37], 1.0
	v_mul_f64 v[44:45], v[42:43], v[40:41]
	v_fma_f64 v[38:39], -v[38:39], v[44:45], v[42:43]
	s_nop 1
	v_div_fmas_f64 v[38:39], v[38:39], v[40:41], v[44:45]
	v_div_fixup_f64 v[36:37], v[38:39], v[36:37], 1.0
	v_cmp_eq_u32_e32 vcc, 0, v0
	v_cndmask_b32_e64 v33, v33, v37, s[28:29]
	v_cndmask_b32_e64 v32, v32, v36, s[28:29]
	;; [unrolled: 1-line block ×30, first 2 shown]
	v_cndmask_b32_e32 v3, v3, v37, vcc
	v_cndmask_b32_e32 v2, v2, v36, vcc
	v_xor_b32_e32 v37, 0x80000000, v37
.LBB79_3:
	s_cmpk_eq_i32 s36, 0x79
	v_add_u32_e32 v103, 0x80, v34
	ds_write_b64 v34, v[36:37]
	s_cbranch_scc1 .LBB79_7
; %bb.4:
	s_waitcnt vmcnt(0) lgkmcnt(0)
	v_mov_b64_e32 v[64:65], v[32:33]
	v_cmp_eq_u32_e64 s[0:1], 15, v0
	v_mov_b64_e32 v[62:63], v[30:31]
	v_mov_b64_e32 v[60:61], v[28:29]
	;; [unrolled: 1-line block ×15, first 2 shown]
	ds_write_b64 v103, v[30:31]
	s_waitcnt lgkmcnt(0)
	; wave barrier
	s_and_saveexec_b64 s[30:31], s[0:1]
	s_cbranch_execz .LBB79_11
; %bb.5:
	s_and_b64 vcc, exec, s[34:35]
	s_cbranch_vccz .LBB79_8
; %bb.6:
	v_cmp_eq_u32_e32 vcc, 1, v0
	v_cmp_eq_u32_e64 s[2:3], 2, v0
	v_cmp_eq_u32_e64 s[4:5], 3, v0
	v_cndmask_b32_e32 v34, v3, v5, vcc
	v_cndmask_b32_e64 v34, v34, v7, s[2:3]
	v_cndmask_b32_e64 v34, v34, v9, s[4:5]
	v_cmp_eq_u32_e64 s[6:7], 4, v0
	v_cmp_eq_u32_e64 s[8:9], 5, v0
	v_cmp_eq_u32_e64 s[10:11], 6, v0
	v_cndmask_b32_e64 v34, v34, v11, s[6:7]
	v_cndmask_b32_e64 v34, v34, v13, s[8:9]
	v_cndmask_b32_e64 v34, v34, v15, s[10:11]
	v_cmp_eq_u32_e64 s[12:13], 7, v0
	v_cmp_eq_u32_e64 s[14:15], 8, v0
	v_cmp_eq_u32_e64 s[16:17], 9, v0
	v_cndmask_b32_e64 v34, v34, v17, s[12:13]
	;; [unrolled: 6-line block ×4, first 2 shown]
	v_cndmask_b32_e64 v34, v34, v31, s[26:27]
	v_cndmask_b32_e64 v35, v34, v33, s[28:29]
	v_cndmask_b32_e32 v34, v2, v4, vcc
	v_cndmask_b32_e64 v34, v34, v6, s[2:3]
	v_cndmask_b32_e64 v34, v34, v8, s[4:5]
	;; [unrolled: 1-line block ×10, first 2 shown]
	ds_read_b64 v[36:37], v103
	v_cndmask_b32_e64 v34, v34, v26, s[22:23]
	v_cndmask_b32_e64 v34, v34, v28, s[24:25]
	;; [unrolled: 1-line block ×4, first 2 shown]
	s_waitcnt lgkmcnt(0)
	v_mul_f64 v[98:99], v[34:35], v[36:37]
	s_cbranch_execz .LBB79_9
	s_branch .LBB79_10
.LBB79_7:
                                        ; implicit-def: $vgpr34_vgpr35_vgpr36_vgpr37_vgpr38_vgpr39_vgpr40_vgpr41_vgpr42_vgpr43_vgpr44_vgpr45_vgpr46_vgpr47_vgpr48_vgpr49_vgpr50_vgpr51_vgpr52_vgpr53_vgpr54_vgpr55_vgpr56_vgpr57_vgpr58_vgpr59_vgpr60_vgpr61_vgpr62_vgpr63_vgpr64_vgpr65
	s_cbranch_execnz .LBB79_226
	s_branch .LBB79_379
.LBB79_8:
                                        ; implicit-def: $vgpr98_vgpr99
.LBB79_9:
	ds_read_b64 v[98:99], v103
.LBB79_10:
	v_mov_b32_e32 v34, 0
	ds_read_b64 v[100:101], v34 offset:112
	v_mov_b64_e32 v[64:65], v[32:33]
	v_mov_b64_e32 v[62:63], v[30:31]
	v_mov_b64_e32 v[60:61], v[28:29]
	v_mov_b64_e32 v[58:59], v[26:27]
	v_mov_b64_e32 v[56:57], v[24:25]
	v_mov_b64_e32 v[54:55], v[22:23]
	v_mov_b64_e32 v[52:53], v[20:21]
	v_mov_b64_e32 v[50:51], v[18:19]
	v_mov_b64_e32 v[48:49], v[16:17]
	v_mov_b64_e32 v[46:47], v[14:15]
	v_mov_b64_e32 v[44:45], v[12:13]
	v_mov_b64_e32 v[42:43], v[10:11]
	v_mov_b64_e32 v[40:41], v[8:9]
	v_mov_b64_e32 v[38:39], v[6:7]
	v_mov_b64_e32 v[36:37], v[4:5]
	v_mov_b64_e32 v[34:35], v[2:3]
	s_waitcnt lgkmcnt(0)
	v_mul_f64 v[62:63], v[98:99], v[100:101]
.LBB79_11:
	s_or_b64 exec, exec, s[30:31]
	v_cmp_lt_u32_e64 s[2:3], 13, v0
	ds_write_b64 v103, v[60:61]
	s_waitcnt lgkmcnt(0)
	; wave barrier
	s_and_saveexec_b64 s[36:37], s[2:3]
	s_cbranch_execz .LBB79_17
; %bb.12:
	s_andn2_b64 vcc, exec, s[34:35]
	s_cbranch_vccnz .LBB79_14
; %bb.13:
	v_cmp_eq_u32_e32 vcc, 1, v0
	v_cmp_eq_u32_e64 s[4:5], 2, v0
	v_cmp_eq_u32_e64 s[6:7], 3, v0
	v_cndmask_b32_e32 v98, v35, v37, vcc
	v_cndmask_b32_e64 v98, v98, v39, s[4:5]
	v_cndmask_b32_e64 v98, v98, v41, s[6:7]
	v_cmp_eq_u32_e64 s[8:9], 4, v0
	v_cmp_eq_u32_e64 s[10:11], 5, v0
	v_cmp_eq_u32_e64 s[12:13], 6, v0
	v_cndmask_b32_e64 v98, v98, v43, s[8:9]
	v_cndmask_b32_e64 v98, v98, v45, s[10:11]
	v_cndmask_b32_e64 v98, v98, v47, s[12:13]
	v_cmp_eq_u32_e64 s[14:15], 7, v0
	v_cmp_eq_u32_e64 s[16:17], 8, v0
	v_cmp_eq_u32_e64 s[18:19], 9, v0
	v_cndmask_b32_e64 v98, v98, v49, s[14:15]
	;; [unrolled: 6-line block ×4, first 2 shown]
	v_cndmask_b32_e32 v98, v34, v36, vcc
	v_cndmask_b32_e64 v98, v98, v38, s[4:5]
	v_cndmask_b32_e64 v98, v98, v40, s[6:7]
	;; [unrolled: 1-line block ×10, first 2 shown]
	ds_read_b64 v[98:99], v103
	v_cndmask_b32_e64 v100, v100, v58, s[24:25]
	v_cndmask_b32_e64 v60, v100, v60, s[26:27]
	;; [unrolled: 1-line block ×6, first 2 shown]
	s_waitcnt lgkmcnt(0)
	v_mul_f64 v[60:61], v[60:61], v[98:99]
	s_cbranch_execz .LBB79_15
	s_branch .LBB79_16
.LBB79_14:
                                        ; implicit-def: $vgpr60_vgpr61
.LBB79_15:
	ds_read_b64 v[60:61], v103
.LBB79_16:
	v_mov_b32_e32 v98, 0
	ds_read2_b64 v[98:101], v98 offset0:13 offset1:30
	s_waitcnt lgkmcnt(0)
	v_fma_f64 v[100:101], v[62:63], v[100:101], v[60:61]
	v_cndmask_b32_e64 v61, v61, v101, s[0:1]
	v_cndmask_b32_e64 v60, v60, v100, s[0:1]
	v_mul_f64 v[60:61], v[60:61], v[98:99]
.LBB79_17:
	s_or_b64 exec, exec, s[36:37]
	v_cmp_lt_u32_e64 s[0:1], 12, v0
	ds_write_b64 v103, v[58:59]
	s_waitcnt lgkmcnt(0)
	; wave barrier
	s_and_saveexec_b64 s[36:37], s[0:1]
	s_cbranch_execz .LBB79_33
; %bb.18:
	s_andn2_b64 vcc, exec, s[34:35]
	s_cbranch_vccnz .LBB79_20
; %bb.19:
	v_cmp_eq_u32_e32 vcc, 1, v0
	v_cmp_eq_u32_e64 s[4:5], 2, v0
	v_cmp_eq_u32_e64 s[6:7], 3, v0
	v_cndmask_b32_e32 v98, v35, v37, vcc
	v_cndmask_b32_e64 v98, v98, v39, s[4:5]
	v_cndmask_b32_e64 v98, v98, v41, s[6:7]
	v_cmp_eq_u32_e64 s[8:9], 4, v0
	v_cmp_eq_u32_e64 s[10:11], 5, v0
	v_cmp_eq_u32_e64 s[12:13], 6, v0
	v_cndmask_b32_e64 v98, v98, v43, s[8:9]
	v_cndmask_b32_e64 v98, v98, v45, s[10:11]
	v_cndmask_b32_e64 v98, v98, v47, s[12:13]
	v_cmp_eq_u32_e64 s[14:15], 7, v0
	v_cmp_eq_u32_e64 s[16:17], 8, v0
	v_cmp_eq_u32_e64 s[18:19], 9, v0
	v_cndmask_b32_e64 v98, v98, v49, s[14:15]
	;; [unrolled: 6-line block ×4, first 2 shown]
	v_cndmask_b32_e64 v98, v98, v63, s[28:29]
	v_cndmask_b32_e64 v99, v98, v65, s[30:31]
	v_cndmask_b32_e32 v98, v34, v36, vcc
	v_cndmask_b32_e64 v98, v98, v38, s[4:5]
	v_cndmask_b32_e64 v98, v98, v40, s[6:7]
	;; [unrolled: 1-line block ×10, first 2 shown]
	ds_read_b64 v[100:101], v103
	v_cndmask_b32_e64 v98, v98, v58, s[24:25]
	v_cndmask_b32_e64 v98, v98, v60, s[26:27]
	v_cndmask_b32_e64 v98, v98, v62, s[28:29]
	v_cndmask_b32_e64 v98, v98, v64, s[30:31]
	s_waitcnt lgkmcnt(0)
	v_mul_f64 v[98:99], v[98:99], v[100:101]
	s_cbranch_execz .LBB79_21
	s_branch .LBB79_22
.LBB79_20:
                                        ; implicit-def: $vgpr98_vgpr99
.LBB79_21:
	ds_read_b64 v[98:99], v103
.LBB79_22:
	s_and_saveexec_b64 s[6:7], s[2:3]
	s_cbranch_execz .LBB79_32
; %bb.23:
	v_add_u32_e32 v100, -14, v0
	v_add_u32_e32 v101, -13, v0
	v_cmp_lt_u32_e32 vcc, 6, v100
	v_mov_b32_e32 v100, 13
	s_and_saveexec_b64 s[2:3], vcc
	s_cbranch_execz .LBB79_27
; %bb.24:
	v_and_b32_e32 v100, -8, v101
	v_sub_u32_e32 v102, 0, v100
	s_mov_b64 s[4:5], 20
	s_movk_i32 s10, 0xe8
	s_mov_b64 s[8:9], 0
.LBB79_25:                              ; =>This Inner Loop Header: Depth=1
	s_lshl_b32 s11, s4, 1
	s_add_i32 s12, s11, -13
	v_mov_b32_e32 v118, s10
	s_add_i32 s13, s11, -14
	s_set_gpr_idx_on s12, gpr_idx(SRC0)
	v_mov_b32_e32 v113, v34
	s_set_gpr_idx_off
	s_add_i32 s14, s11, -11
	s_set_gpr_idx_on s13, gpr_idx(SRC0)
	v_mov_b32_e32 v112, v34
	s_set_gpr_idx_off
	ds_read2_b64 v[104:107], v118 offset1:1
	s_add_i32 s15, s11, -12
	s_set_gpr_idx_on s14, gpr_idx(SRC0)
	v_mov_b32_e32 v115, v34
	s_set_gpr_idx_off
	s_add_i32 s16, s11, -9
	s_set_gpr_idx_on s15, gpr_idx(SRC0)
	v_mov_b32_e32 v114, v34
	s_set_gpr_idx_off
	;; [unrolled: 4-line block ×4, first 2 shown]
	ds_read2_b64 v[108:111], v118 offset0:2 offset1:3
	s_add_i32 s19, s11, -8
	s_waitcnt lgkmcnt(1)
	v_fmac_f64_e32 v[98:99], v[112:113], v[104:105]
	s_set_gpr_idx_on s18, gpr_idx(SRC0)
	v_mov_b32_e32 v113, v34
	s_set_gpr_idx_off
	s_add_i32 s20, s11, -5
	v_fmac_f64_e32 v[98:99], v[114:115], v[106:107]
	s_set_gpr_idx_on s19, gpr_idx(SRC0)
	v_mov_b32_e32 v112, v34
	s_set_gpr_idx_off
	s_add_i32 s21, s11, -6
	s_set_gpr_idx_on s20, gpr_idx(SRC0)
	v_mov_b32_e32 v115, v34
	s_set_gpr_idx_off
	s_add_i32 s22, s11, -3
	;; [unrolled: 4-line block ×3, first 2 shown]
	ds_read2_b64 v[104:107], v118 offset0:4 offset1:5
	s_waitcnt lgkmcnt(1)
	v_fmac_f64_e32 v[98:99], v[116:117], v[108:109]
	s_set_gpr_idx_on s22, gpr_idx(SRC0)
	v_mov_b32_e32 v117, v34
	s_set_gpr_idx_off
	s_add_i32 s24, s11, -1
	v_fmac_f64_e32 v[98:99], v[112:113], v[110:111]
	s_set_gpr_idx_on s23, gpr_idx(SRC0)
	v_mov_b32_e32 v116, v34
	s_set_gpr_idx_off
	s_add_i32 s25, s11, -2
	s_set_gpr_idx_on s24, gpr_idx(SRC0)
	v_mov_b32_e32 v113, v34
	s_set_gpr_idx_off
	s_set_gpr_idx_on s25, gpr_idx(SRC0)
	v_mov_b32_e32 v112, v34
	s_set_gpr_idx_off
	ds_read2_b64 v[108:111], v118 offset0:6 offset1:7
	s_add_u32 s4, s4, 8
	s_waitcnt lgkmcnt(1)
	v_fmac_f64_e32 v[98:99], v[114:115], v[104:105]
	s_set_gpr_idx_on s11, gpr_idx(SRC0)
	v_mov_b32_e32 v105, v35
	s_set_gpr_idx_off
	v_add_u32_e32 v100, s4, v102
	v_fmac_f64_e32 v[98:99], v[116:117], v[106:107]
	s_set_gpr_idx_on s11, gpr_idx(SRC0)
	v_mov_b32_e32 v104, v34
	s_set_gpr_idx_off
	s_addc_u32 s5, s5, 0
	s_add_i32 s10, s10, 64
	s_add_i32 s12, s4, -7
	v_cmp_eq_u32_e32 vcc, 20, v100
	s_waitcnt lgkmcnt(0)
	v_fmac_f64_e32 v[98:99], v[112:113], v[108:109]
	v_mov_b32_e32 v100, s12
	s_or_b64 s[8:9], vcc, s[8:9]
	v_fmac_f64_e32 v[98:99], v[104:105], v[110:111]
	s_andn2_b64 exec, exec, s[8:9]
	s_cbranch_execnz .LBB79_25
; %bb.26:
	s_or_b64 exec, exec, s[8:9]
.LBB79_27:
	s_or_b64 exec, exec, s[2:3]
	v_and_b32_e32 v102, 7, v101
	v_cmp_ne_u32_e32 vcc, 0, v102
	s_and_saveexec_b64 s[8:9], vcc
	s_cbranch_execz .LBB79_31
; %bb.28:
	v_mov_b32_e32 v101, 0x80
	v_lshl_add_u32 v104, v100, 3, v101
	v_mov_b32_e32 v101, 0
	s_mov_b64 s[10:11], 0
.LBB79_29:                              ; =>This Inner Loop Header: Depth=1
	v_cmp_eq_u32_e32 vcc, 1, v100
	v_add_u32_e32 v102, -1, v102
	v_cmp_eq_u32_e64 s[2:3], 2, v100
	v_cndmask_b32_e32 v105, v35, v37, vcc
	v_cndmask_b32_e32 v108, v34, v36, vcc
	v_cndmask_b32_e64 v105, v105, v39, s[2:3]
	v_cmp_eq_u32_e32 vcc, 0, v102
	v_cmp_eq_u32_e64 s[4:5], 3, v100
	v_cndmask_b32_e64 v108, v108, v38, s[2:3]
	s_or_b64 s[10:11], vcc, s[10:11]
	v_cndmask_b32_e64 v105, v105, v41, s[4:5]
	v_cmp_eq_u32_e32 vcc, 4, v100
	v_cndmask_b32_e64 v108, v108, v40, s[4:5]
	v_cmp_eq_u32_e64 s[2:3], 5, v100
	v_cndmask_b32_e32 v105, v105, v43, vcc
	v_cndmask_b32_e32 v108, v108, v42, vcc
	v_cndmask_b32_e64 v105, v105, v45, s[2:3]
	v_cmp_eq_u32_e32 vcc, 6, v100
	v_cndmask_b32_e64 v108, v108, v44, s[2:3]
	v_cmp_eq_u32_e64 s[2:3], 7, v100
	v_cndmask_b32_e32 v105, v105, v47, vcc
	v_cndmask_b32_e32 v108, v108, v46, vcc
	;; [unrolled: 6-line block ×4, first 2 shown]
	v_cndmask_b32_e64 v105, v105, v57, s[2:3]
	v_cmp_eq_u32_e32 vcc, 12, v100
	ds_read_b64 v[106:107], v104
	v_cndmask_b32_e64 v108, v108, v56, s[2:3]
	v_cndmask_b32_e32 v105, v105, v59, vcc
	v_cmp_eq_u32_e64 s[2:3], 13, v100
	v_cndmask_b32_e32 v108, v108, v58, vcc
	v_cmp_eq_u32_e32 vcc, 14, v100
	v_cndmask_b32_e64 v105, v105, v61, s[2:3]
	v_cmp_eq_u32_e64 s[4:5], 15, v100
	v_cndmask_b32_e32 v105, v105, v63, vcc
	v_cndmask_b32_e64 v108, v108, v60, s[2:3]
	v_cndmask_b32_e64 v109, v105, v65, s[4:5]
	v_cndmask_b32_e32 v105, v108, v62, vcc
	v_cndmask_b32_e64 v108, v105, v64, s[4:5]
	v_add_u32_e32 v104, 8, v104
	v_lshl_add_u64 v[100:101], v[100:101], 0, 1
	s_waitcnt lgkmcnt(0)
	v_fmac_f64_e32 v[98:99], v[108:109], v[106:107]
	s_andn2_b64 exec, exec, s[10:11]
	s_cbranch_execnz .LBB79_29
; %bb.30:
	s_or_b64 exec, exec, s[10:11]
.LBB79_31:
	s_or_b64 exec, exec, s[8:9]
.LBB79_32:
	s_or_b64 exec, exec, s[6:7]
	v_mov_b32_e32 v58, 0
	ds_read_b64 v[58:59], v58 offset:96
	s_waitcnt lgkmcnt(0)
	v_mul_f64 v[58:59], v[98:99], v[58:59]
.LBB79_33:
	s_or_b64 exec, exec, s[36:37]
	v_cmp_lt_u32_e64 s[2:3], 11, v0
	ds_write_b64 v103, v[56:57]
	s_waitcnt lgkmcnt(0)
	; wave barrier
	s_and_saveexec_b64 s[36:37], s[2:3]
	s_cbranch_execz .LBB79_49
; %bb.34:
	s_andn2_b64 vcc, exec, s[34:35]
	s_cbranch_vccnz .LBB79_36
; %bb.35:
	v_cmp_eq_u32_e32 vcc, 1, v0
	v_cmp_eq_u32_e64 s[4:5], 2, v0
	v_cmp_eq_u32_e64 s[6:7], 3, v0
	v_cndmask_b32_e32 v98, v35, v37, vcc
	v_cndmask_b32_e64 v98, v98, v39, s[4:5]
	v_cndmask_b32_e64 v98, v98, v41, s[6:7]
	v_cmp_eq_u32_e64 s[8:9], 4, v0
	v_cmp_eq_u32_e64 s[10:11], 5, v0
	v_cmp_eq_u32_e64 s[12:13], 6, v0
	v_cndmask_b32_e64 v98, v98, v43, s[8:9]
	v_cndmask_b32_e64 v98, v98, v45, s[10:11]
	v_cndmask_b32_e64 v98, v98, v47, s[12:13]
	v_cmp_eq_u32_e64 s[14:15], 7, v0
	v_cmp_eq_u32_e64 s[16:17], 8, v0
	v_cmp_eq_u32_e64 s[18:19], 9, v0
	v_cndmask_b32_e64 v98, v98, v49, s[14:15]
	;; [unrolled: 6-line block ×4, first 2 shown]
	v_cndmask_b32_e64 v98, v98, v63, s[28:29]
	v_cndmask_b32_e64 v99, v98, v65, s[30:31]
	v_cndmask_b32_e32 v98, v34, v36, vcc
	v_cndmask_b32_e64 v98, v98, v38, s[4:5]
	v_cndmask_b32_e64 v98, v98, v40, s[6:7]
	;; [unrolled: 1-line block ×10, first 2 shown]
	ds_read_b64 v[100:101], v103
	v_cndmask_b32_e64 v98, v98, v58, s[24:25]
	v_cndmask_b32_e64 v98, v98, v60, s[26:27]
	;; [unrolled: 1-line block ×4, first 2 shown]
	s_waitcnt lgkmcnt(0)
	v_mul_f64 v[98:99], v[98:99], v[100:101]
	s_cbranch_execz .LBB79_37
	s_branch .LBB79_38
.LBB79_36:
                                        ; implicit-def: $vgpr98_vgpr99
.LBB79_37:
	ds_read_b64 v[98:99], v103
.LBB79_38:
	s_and_saveexec_b64 s[6:7], s[0:1]
	s_cbranch_execz .LBB79_48
; %bb.39:
	v_add_u32_e32 v100, -13, v0
	v_add_u32_e32 v101, -12, v0
	v_cmp_lt_u32_e32 vcc, 6, v100
	v_mov_b32_e32 v100, 12
	s_and_saveexec_b64 s[0:1], vcc
	s_cbranch_execz .LBB79_43
; %bb.40:
	v_and_b32_e32 v100, -8, v101
	v_sub_u32_e32 v102, 0, v100
	s_mov_b64 s[4:5], 19
	s_movk_i32 s10, 0xe0
	s_mov_b64 s[8:9], 0
.LBB79_41:                              ; =>This Inner Loop Header: Depth=1
	s_lshl_b32 s11, s4, 1
	s_add_i32 s12, s11, -13
	s_add_i32 s13, s11, -14
	s_set_gpr_idx_on s12, gpr_idx(SRC0)
	v_mov_b32_e32 v121, v34
	s_set_gpr_idx_off
	v_mov_b32_e32 v100, s10
	s_add_i32 s14, s11, -11
	s_set_gpr_idx_on s13, gpr_idx(SRC0)
	v_mov_b32_e32 v120, v34
	s_set_gpr_idx_off
	s_add_i32 s15, s11, -12
	ds_read_b128 v[104:107], v100
	ds_read_b128 v[108:111], v100 offset:16
	ds_read_b128 v[112:115], v100 offset:32
	;; [unrolled: 1-line block ×3, first 2 shown]
	s_set_gpr_idx_on s14, gpr_idx(SRC0)
	v_mov_b32_e32 v123, v34
	s_set_gpr_idx_off
	s_add_i32 s16, s11, -9
	s_set_gpr_idx_on s15, gpr_idx(SRC0)
	v_mov_b32_e32 v122, v34
	s_set_gpr_idx_off
	s_add_i32 s17, s11, -10
	;; [unrolled: 4-line block ×4, first 2 shown]
	s_waitcnt lgkmcnt(3)
	v_fmac_f64_e32 v[98:99], v[120:121], v[104:105]
	s_set_gpr_idx_on s18, gpr_idx(SRC0)
	v_mov_b32_e32 v105, v34
	s_set_gpr_idx_off
	s_add_i32 s20, s11, -5
	v_fmac_f64_e32 v[98:99], v[122:123], v[106:107]
	s_set_gpr_idx_on s19, gpr_idx(SRC0)
	v_mov_b32_e32 v104, v34
	s_set_gpr_idx_off
	s_add_i32 s21, s11, -6
	s_waitcnt lgkmcnt(2)
	v_fmac_f64_e32 v[98:99], v[124:125], v[108:109]
	s_set_gpr_idx_on s20, gpr_idx(SRC0)
	v_mov_b32_e32 v107, v34
	s_set_gpr_idx_off
	s_add_i32 s22, s11, -3
	v_fmac_f64_e32 v[98:99], v[104:105], v[110:111]
	s_set_gpr_idx_on s21, gpr_idx(SRC0)
	v_mov_b32_e32 v106, v34
	s_set_gpr_idx_off
	s_add_i32 s23, s11, -4
	s_waitcnt lgkmcnt(1)
	v_fmac_f64_e32 v[98:99], v[106:107], v[112:113]
	s_set_gpr_idx_on s22, gpr_idx(SRC0)
	v_mov_b32_e32 v105, v34
	s_set_gpr_idx_off
	s_add_i32 s24, s11, -1
	s_set_gpr_idx_on s23, gpr_idx(SRC0)
	v_mov_b32_e32 v104, v34
	s_set_gpr_idx_off
	s_add_i32 s25, s11, -2
	v_fmac_f64_e32 v[98:99], v[104:105], v[114:115]
	s_set_gpr_idx_on s24, gpr_idx(SRC0)
	v_mov_b32_e32 v105, v34
	s_set_gpr_idx_off
	s_add_u32 s4, s4, 8
	s_set_gpr_idx_on s25, gpr_idx(SRC0)
	v_mov_b32_e32 v104, v34
	s_set_gpr_idx_off
	v_add_u32_e32 v100, s4, v102
	s_waitcnt lgkmcnt(0)
	v_fmac_f64_e32 v[98:99], v[104:105], v[116:117]
	s_set_gpr_idx_on s11, gpr_idx(SRC0)
	v_mov_b32_e32 v105, v35
	s_set_gpr_idx_off
	s_addc_u32 s5, s5, 0
	s_add_i32 s10, s10, 64
	s_add_i32 s12, s4, -7
	v_cmp_eq_u32_e32 vcc, 19, v100
	s_set_gpr_idx_on s11, gpr_idx(SRC0)
	v_mov_b32_e32 v104, v34
	s_set_gpr_idx_off
	v_mov_b32_e32 v100, s12
	s_or_b64 s[8:9], vcc, s[8:9]
	v_fmac_f64_e32 v[98:99], v[104:105], v[118:119]
	s_andn2_b64 exec, exec, s[8:9]
	s_cbranch_execnz .LBB79_41
; %bb.42:
	s_or_b64 exec, exec, s[8:9]
.LBB79_43:
	s_or_b64 exec, exec, s[0:1]
	v_and_b32_e32 v102, 7, v101
	v_cmp_ne_u32_e32 vcc, 0, v102
	s_and_saveexec_b64 s[8:9], vcc
	s_cbranch_execz .LBB79_47
; %bb.44:
	v_mov_b32_e32 v101, 0x80
	v_lshl_add_u32 v104, v100, 3, v101
	v_mov_b32_e32 v101, 0
	s_mov_b64 s[10:11], 0
.LBB79_45:                              ; =>This Inner Loop Header: Depth=1
	v_cmp_eq_u32_e32 vcc, 1, v100
	v_add_u32_e32 v102, -1, v102
	v_cmp_eq_u32_e64 s[0:1], 2, v100
	v_cndmask_b32_e32 v105, v35, v37, vcc
	v_cndmask_b32_e32 v108, v34, v36, vcc
	v_cndmask_b32_e64 v105, v105, v39, s[0:1]
	v_cmp_eq_u32_e32 vcc, 0, v102
	v_cmp_eq_u32_e64 s[4:5], 3, v100
	v_cndmask_b32_e64 v108, v108, v38, s[0:1]
	s_or_b64 s[10:11], vcc, s[10:11]
	v_cndmask_b32_e64 v105, v105, v41, s[4:5]
	v_cmp_eq_u32_e32 vcc, 4, v100
	v_cndmask_b32_e64 v108, v108, v40, s[4:5]
	v_cmp_eq_u32_e64 s[0:1], 5, v100
	v_cndmask_b32_e32 v105, v105, v43, vcc
	v_cndmask_b32_e32 v108, v108, v42, vcc
	v_cndmask_b32_e64 v105, v105, v45, s[0:1]
	v_cmp_eq_u32_e32 vcc, 6, v100
	v_cndmask_b32_e64 v108, v108, v44, s[0:1]
	v_cmp_eq_u32_e64 s[0:1], 7, v100
	v_cndmask_b32_e32 v105, v105, v47, vcc
	v_cndmask_b32_e32 v108, v108, v46, vcc
	;; [unrolled: 6-line block ×4, first 2 shown]
	v_cndmask_b32_e64 v105, v105, v57, s[0:1]
	v_cmp_eq_u32_e32 vcc, 12, v100
	ds_read_b64 v[106:107], v104
	v_cndmask_b32_e64 v108, v108, v56, s[0:1]
	v_cndmask_b32_e32 v105, v105, v59, vcc
	v_cmp_eq_u32_e64 s[0:1], 13, v100
	v_cndmask_b32_e32 v108, v108, v58, vcc
	v_cmp_eq_u32_e32 vcc, 14, v100
	v_cndmask_b32_e64 v105, v105, v61, s[0:1]
	v_cmp_eq_u32_e64 s[4:5], 15, v100
	v_cndmask_b32_e32 v105, v105, v63, vcc
	v_cndmask_b32_e64 v108, v108, v60, s[0:1]
	v_cndmask_b32_e64 v109, v105, v65, s[4:5]
	v_cndmask_b32_e32 v105, v108, v62, vcc
	v_cndmask_b32_e64 v108, v105, v64, s[4:5]
	v_add_u32_e32 v104, 8, v104
	v_lshl_add_u64 v[100:101], v[100:101], 0, 1
	s_waitcnt lgkmcnt(0)
	v_fmac_f64_e32 v[98:99], v[108:109], v[106:107]
	s_andn2_b64 exec, exec, s[10:11]
	s_cbranch_execnz .LBB79_45
; %bb.46:
	s_or_b64 exec, exec, s[10:11]
.LBB79_47:
	s_or_b64 exec, exec, s[8:9]
.LBB79_48:
	s_or_b64 exec, exec, s[6:7]
	v_mov_b32_e32 v56, 0
	ds_read_b64 v[56:57], v56 offset:88
	s_waitcnt lgkmcnt(0)
	v_mul_f64 v[56:57], v[98:99], v[56:57]
.LBB79_49:
	s_or_b64 exec, exec, s[36:37]
	v_cmp_lt_u32_e64 s[0:1], 10, v0
	ds_write_b64 v103, v[54:55]
	s_waitcnt lgkmcnt(0)
	; wave barrier
	s_and_saveexec_b64 s[36:37], s[0:1]
	s_cbranch_execz .LBB79_65
; %bb.50:
	s_andn2_b64 vcc, exec, s[34:35]
	s_cbranch_vccnz .LBB79_52
; %bb.51:
	v_cmp_eq_u32_e32 vcc, 1, v0
	v_cmp_eq_u32_e64 s[4:5], 2, v0
	v_cmp_eq_u32_e64 s[6:7], 3, v0
	v_cndmask_b32_e32 v98, v35, v37, vcc
	v_cndmask_b32_e64 v98, v98, v39, s[4:5]
	v_cndmask_b32_e64 v98, v98, v41, s[6:7]
	v_cmp_eq_u32_e64 s[8:9], 4, v0
	v_cmp_eq_u32_e64 s[10:11], 5, v0
	v_cmp_eq_u32_e64 s[12:13], 6, v0
	v_cndmask_b32_e64 v98, v98, v43, s[8:9]
	v_cndmask_b32_e64 v98, v98, v45, s[10:11]
	v_cndmask_b32_e64 v98, v98, v47, s[12:13]
	v_cmp_eq_u32_e64 s[14:15], 7, v0
	v_cmp_eq_u32_e64 s[16:17], 8, v0
	v_cmp_eq_u32_e64 s[18:19], 9, v0
	v_cndmask_b32_e64 v98, v98, v49, s[14:15]
	;; [unrolled: 6-line block ×4, first 2 shown]
	v_cndmask_b32_e64 v98, v98, v63, s[28:29]
	v_cndmask_b32_e64 v99, v98, v65, s[30:31]
	v_cndmask_b32_e32 v98, v34, v36, vcc
	v_cndmask_b32_e64 v98, v98, v38, s[4:5]
	v_cndmask_b32_e64 v98, v98, v40, s[6:7]
	;; [unrolled: 1-line block ×10, first 2 shown]
	ds_read_b64 v[100:101], v103
	v_cndmask_b32_e64 v98, v98, v58, s[24:25]
	v_cndmask_b32_e64 v98, v98, v60, s[26:27]
	;; [unrolled: 1-line block ×4, first 2 shown]
	s_waitcnt lgkmcnt(0)
	v_mul_f64 v[98:99], v[98:99], v[100:101]
	s_cbranch_execz .LBB79_53
	s_branch .LBB79_54
.LBB79_52:
                                        ; implicit-def: $vgpr98_vgpr99
.LBB79_53:
	ds_read_b64 v[98:99], v103
.LBB79_54:
	s_and_saveexec_b64 s[6:7], s[2:3]
	s_cbranch_execz .LBB79_64
; %bb.55:
	v_add_u32_e32 v100, -12, v0
	v_add_u32_e32 v101, -11, v0
	v_cmp_lt_u32_e32 vcc, 6, v100
	v_mov_b32_e32 v100, 11
	s_and_saveexec_b64 s[2:3], vcc
	s_cbranch_execz .LBB79_59
; %bb.56:
	v_and_b32_e32 v100, -8, v101
	v_sub_u32_e32 v102, 0, v100
	s_mov_b64 s[4:5], 18
	s_movk_i32 s10, 0xd8
	s_mov_b64 s[8:9], 0
.LBB79_57:                              ; =>This Inner Loop Header: Depth=1
	s_lshl_b32 s11, s4, 1
	s_add_i32 s12, s11, -13
	v_mov_b32_e32 v118, s10
	s_add_i32 s13, s11, -14
	s_set_gpr_idx_on s12, gpr_idx(SRC0)
	v_mov_b32_e32 v113, v34
	s_set_gpr_idx_off
	s_add_i32 s14, s11, -11
	s_set_gpr_idx_on s13, gpr_idx(SRC0)
	v_mov_b32_e32 v112, v34
	s_set_gpr_idx_off
	ds_read2_b64 v[104:107], v118 offset1:1
	s_add_i32 s15, s11, -12
	s_set_gpr_idx_on s14, gpr_idx(SRC0)
	v_mov_b32_e32 v115, v34
	s_set_gpr_idx_off
	s_add_i32 s16, s11, -9
	s_set_gpr_idx_on s15, gpr_idx(SRC0)
	v_mov_b32_e32 v114, v34
	s_set_gpr_idx_off
	s_add_i32 s17, s11, -10
	s_set_gpr_idx_on s16, gpr_idx(SRC0)
	v_mov_b32_e32 v117, v34
	s_set_gpr_idx_off
	s_add_i32 s18, s11, -7
	s_set_gpr_idx_on s17, gpr_idx(SRC0)
	v_mov_b32_e32 v116, v34
	s_set_gpr_idx_off
	ds_read2_b64 v[108:111], v118 offset0:2 offset1:3
	s_add_i32 s19, s11, -8
	s_waitcnt lgkmcnt(1)
	v_fmac_f64_e32 v[98:99], v[112:113], v[104:105]
	s_set_gpr_idx_on s18, gpr_idx(SRC0)
	v_mov_b32_e32 v113, v34
	s_set_gpr_idx_off
	s_add_i32 s20, s11, -5
	v_fmac_f64_e32 v[98:99], v[114:115], v[106:107]
	s_set_gpr_idx_on s19, gpr_idx(SRC0)
	v_mov_b32_e32 v112, v34
	s_set_gpr_idx_off
	s_add_i32 s21, s11, -6
	s_set_gpr_idx_on s20, gpr_idx(SRC0)
	v_mov_b32_e32 v115, v34
	s_set_gpr_idx_off
	s_add_i32 s22, s11, -3
	;; [unrolled: 4-line block ×3, first 2 shown]
	ds_read2_b64 v[104:107], v118 offset0:4 offset1:5
	s_waitcnt lgkmcnt(1)
	v_fmac_f64_e32 v[98:99], v[116:117], v[108:109]
	s_set_gpr_idx_on s22, gpr_idx(SRC0)
	v_mov_b32_e32 v117, v34
	s_set_gpr_idx_off
	s_add_i32 s24, s11, -1
	v_fmac_f64_e32 v[98:99], v[112:113], v[110:111]
	s_set_gpr_idx_on s23, gpr_idx(SRC0)
	v_mov_b32_e32 v116, v34
	s_set_gpr_idx_off
	s_add_i32 s25, s11, -2
	s_set_gpr_idx_on s24, gpr_idx(SRC0)
	v_mov_b32_e32 v113, v34
	s_set_gpr_idx_off
	s_set_gpr_idx_on s25, gpr_idx(SRC0)
	v_mov_b32_e32 v112, v34
	s_set_gpr_idx_off
	ds_read2_b64 v[108:111], v118 offset0:6 offset1:7
	s_add_u32 s4, s4, 8
	s_waitcnt lgkmcnt(1)
	v_fmac_f64_e32 v[98:99], v[114:115], v[104:105]
	s_set_gpr_idx_on s11, gpr_idx(SRC0)
	v_mov_b32_e32 v105, v35
	s_set_gpr_idx_off
	v_add_u32_e32 v100, s4, v102
	v_fmac_f64_e32 v[98:99], v[116:117], v[106:107]
	s_set_gpr_idx_on s11, gpr_idx(SRC0)
	v_mov_b32_e32 v104, v34
	s_set_gpr_idx_off
	s_addc_u32 s5, s5, 0
	s_add_i32 s10, s10, 64
	s_add_i32 s12, s4, -7
	v_cmp_eq_u32_e32 vcc, 18, v100
	s_waitcnt lgkmcnt(0)
	v_fmac_f64_e32 v[98:99], v[112:113], v[108:109]
	v_mov_b32_e32 v100, s12
	s_or_b64 s[8:9], vcc, s[8:9]
	v_fmac_f64_e32 v[98:99], v[104:105], v[110:111]
	s_andn2_b64 exec, exec, s[8:9]
	s_cbranch_execnz .LBB79_57
; %bb.58:
	s_or_b64 exec, exec, s[8:9]
.LBB79_59:
	s_or_b64 exec, exec, s[2:3]
	v_and_b32_e32 v102, 7, v101
	v_cmp_ne_u32_e32 vcc, 0, v102
	s_and_saveexec_b64 s[8:9], vcc
	s_cbranch_execz .LBB79_63
; %bb.60:
	v_mov_b32_e32 v101, 0x80
	v_lshl_add_u32 v104, v100, 3, v101
	v_mov_b32_e32 v101, 0
	s_mov_b64 s[10:11], 0
.LBB79_61:                              ; =>This Inner Loop Header: Depth=1
	v_cmp_eq_u32_e32 vcc, 1, v100
	v_add_u32_e32 v102, -1, v102
	v_cmp_eq_u32_e64 s[2:3], 2, v100
	v_cndmask_b32_e32 v105, v35, v37, vcc
	v_cndmask_b32_e32 v108, v34, v36, vcc
	v_cndmask_b32_e64 v105, v105, v39, s[2:3]
	v_cmp_eq_u32_e32 vcc, 0, v102
	v_cmp_eq_u32_e64 s[4:5], 3, v100
	v_cndmask_b32_e64 v108, v108, v38, s[2:3]
	s_or_b64 s[10:11], vcc, s[10:11]
	v_cndmask_b32_e64 v105, v105, v41, s[4:5]
	v_cmp_eq_u32_e32 vcc, 4, v100
	v_cndmask_b32_e64 v108, v108, v40, s[4:5]
	v_cmp_eq_u32_e64 s[2:3], 5, v100
	v_cndmask_b32_e32 v105, v105, v43, vcc
	v_cndmask_b32_e32 v108, v108, v42, vcc
	v_cndmask_b32_e64 v105, v105, v45, s[2:3]
	v_cmp_eq_u32_e32 vcc, 6, v100
	v_cndmask_b32_e64 v108, v108, v44, s[2:3]
	v_cmp_eq_u32_e64 s[2:3], 7, v100
	v_cndmask_b32_e32 v105, v105, v47, vcc
	v_cndmask_b32_e32 v108, v108, v46, vcc
	;; [unrolled: 6-line block ×4, first 2 shown]
	v_cndmask_b32_e64 v105, v105, v57, s[2:3]
	v_cmp_eq_u32_e32 vcc, 12, v100
	ds_read_b64 v[106:107], v104
	v_cndmask_b32_e64 v108, v108, v56, s[2:3]
	v_cndmask_b32_e32 v105, v105, v59, vcc
	v_cmp_eq_u32_e64 s[2:3], 13, v100
	v_cndmask_b32_e32 v108, v108, v58, vcc
	v_cmp_eq_u32_e32 vcc, 14, v100
	v_cndmask_b32_e64 v105, v105, v61, s[2:3]
	v_cmp_eq_u32_e64 s[4:5], 15, v100
	v_cndmask_b32_e32 v105, v105, v63, vcc
	v_cndmask_b32_e64 v108, v108, v60, s[2:3]
	v_cndmask_b32_e64 v109, v105, v65, s[4:5]
	v_cndmask_b32_e32 v105, v108, v62, vcc
	v_cndmask_b32_e64 v108, v105, v64, s[4:5]
	v_add_u32_e32 v104, 8, v104
	v_lshl_add_u64 v[100:101], v[100:101], 0, 1
	s_waitcnt lgkmcnt(0)
	v_fmac_f64_e32 v[98:99], v[108:109], v[106:107]
	s_andn2_b64 exec, exec, s[10:11]
	s_cbranch_execnz .LBB79_61
; %bb.62:
	s_or_b64 exec, exec, s[10:11]
.LBB79_63:
	s_or_b64 exec, exec, s[8:9]
.LBB79_64:
	s_or_b64 exec, exec, s[6:7]
	v_mov_b32_e32 v54, 0
	ds_read_b64 v[54:55], v54 offset:80
	s_waitcnt lgkmcnt(0)
	v_mul_f64 v[54:55], v[98:99], v[54:55]
.LBB79_65:
	s_or_b64 exec, exec, s[36:37]
	v_cmp_lt_u32_e64 s[2:3], 9, v0
	ds_write_b64 v103, v[52:53]
	s_waitcnt lgkmcnt(0)
	; wave barrier
	s_and_saveexec_b64 s[36:37], s[2:3]
	s_cbranch_execz .LBB79_81
; %bb.66:
	s_andn2_b64 vcc, exec, s[34:35]
	s_cbranch_vccnz .LBB79_68
; %bb.67:
	v_cmp_eq_u32_e32 vcc, 1, v0
	v_cmp_eq_u32_e64 s[4:5], 2, v0
	v_cmp_eq_u32_e64 s[6:7], 3, v0
	v_cndmask_b32_e32 v98, v35, v37, vcc
	v_cndmask_b32_e64 v98, v98, v39, s[4:5]
	v_cndmask_b32_e64 v98, v98, v41, s[6:7]
	v_cmp_eq_u32_e64 s[8:9], 4, v0
	v_cmp_eq_u32_e64 s[10:11], 5, v0
	v_cmp_eq_u32_e64 s[12:13], 6, v0
	v_cndmask_b32_e64 v98, v98, v43, s[8:9]
	v_cndmask_b32_e64 v98, v98, v45, s[10:11]
	v_cndmask_b32_e64 v98, v98, v47, s[12:13]
	v_cmp_eq_u32_e64 s[14:15], 7, v0
	v_cmp_eq_u32_e64 s[16:17], 8, v0
	v_cmp_eq_u32_e64 s[18:19], 9, v0
	v_cndmask_b32_e64 v98, v98, v49, s[14:15]
	;; [unrolled: 6-line block ×4, first 2 shown]
	v_cndmask_b32_e64 v98, v98, v63, s[28:29]
	v_cndmask_b32_e64 v99, v98, v65, s[30:31]
	v_cndmask_b32_e32 v98, v34, v36, vcc
	v_cndmask_b32_e64 v98, v98, v38, s[4:5]
	v_cndmask_b32_e64 v98, v98, v40, s[6:7]
	;; [unrolled: 1-line block ×10, first 2 shown]
	ds_read_b64 v[100:101], v103
	v_cndmask_b32_e64 v98, v98, v58, s[24:25]
	v_cndmask_b32_e64 v98, v98, v60, s[26:27]
	;; [unrolled: 1-line block ×4, first 2 shown]
	s_waitcnt lgkmcnt(0)
	v_mul_f64 v[98:99], v[98:99], v[100:101]
	s_cbranch_execz .LBB79_69
	s_branch .LBB79_70
.LBB79_68:
                                        ; implicit-def: $vgpr98_vgpr99
.LBB79_69:
	ds_read_b64 v[98:99], v103
.LBB79_70:
	s_and_saveexec_b64 s[6:7], s[0:1]
	s_cbranch_execz .LBB79_80
; %bb.71:
	v_add_u32_e32 v100, -11, v0
	v_add_u32_e32 v101, -10, v0
	v_cmp_lt_u32_e32 vcc, 6, v100
	v_mov_b32_e32 v100, 10
	s_and_saveexec_b64 s[0:1], vcc
	s_cbranch_execz .LBB79_75
; %bb.72:
	v_and_b32_e32 v100, -8, v101
	v_sub_u32_e32 v102, 0, v100
	s_mov_b64 s[4:5], 17
	s_movk_i32 s10, 0xd0
	s_mov_b64 s[8:9], 0
.LBB79_73:                              ; =>This Inner Loop Header: Depth=1
	s_lshl_b32 s11, s4, 1
	s_add_i32 s12, s11, -13
	s_add_i32 s13, s11, -14
	s_set_gpr_idx_on s12, gpr_idx(SRC0)
	v_mov_b32_e32 v121, v34
	s_set_gpr_idx_off
	v_mov_b32_e32 v100, s10
	s_add_i32 s14, s11, -11
	s_set_gpr_idx_on s13, gpr_idx(SRC0)
	v_mov_b32_e32 v120, v34
	s_set_gpr_idx_off
	s_add_i32 s15, s11, -12
	ds_read_b128 v[104:107], v100
	ds_read_b128 v[108:111], v100 offset:16
	ds_read_b128 v[112:115], v100 offset:32
	;; [unrolled: 1-line block ×3, first 2 shown]
	s_set_gpr_idx_on s14, gpr_idx(SRC0)
	v_mov_b32_e32 v123, v34
	s_set_gpr_idx_off
	s_add_i32 s16, s11, -9
	s_set_gpr_idx_on s15, gpr_idx(SRC0)
	v_mov_b32_e32 v122, v34
	s_set_gpr_idx_off
	s_add_i32 s17, s11, -10
	;; [unrolled: 4-line block ×4, first 2 shown]
	s_waitcnt lgkmcnt(3)
	v_fmac_f64_e32 v[98:99], v[120:121], v[104:105]
	s_set_gpr_idx_on s18, gpr_idx(SRC0)
	v_mov_b32_e32 v105, v34
	s_set_gpr_idx_off
	s_add_i32 s20, s11, -5
	v_fmac_f64_e32 v[98:99], v[122:123], v[106:107]
	s_set_gpr_idx_on s19, gpr_idx(SRC0)
	v_mov_b32_e32 v104, v34
	s_set_gpr_idx_off
	s_add_i32 s21, s11, -6
	s_waitcnt lgkmcnt(2)
	v_fmac_f64_e32 v[98:99], v[124:125], v[108:109]
	s_set_gpr_idx_on s20, gpr_idx(SRC0)
	v_mov_b32_e32 v107, v34
	s_set_gpr_idx_off
	s_add_i32 s22, s11, -3
	v_fmac_f64_e32 v[98:99], v[104:105], v[110:111]
	s_set_gpr_idx_on s21, gpr_idx(SRC0)
	v_mov_b32_e32 v106, v34
	s_set_gpr_idx_off
	s_add_i32 s23, s11, -4
	s_waitcnt lgkmcnt(1)
	v_fmac_f64_e32 v[98:99], v[106:107], v[112:113]
	s_set_gpr_idx_on s22, gpr_idx(SRC0)
	v_mov_b32_e32 v105, v34
	s_set_gpr_idx_off
	s_add_i32 s24, s11, -1
	s_set_gpr_idx_on s23, gpr_idx(SRC0)
	v_mov_b32_e32 v104, v34
	s_set_gpr_idx_off
	s_add_i32 s25, s11, -2
	v_fmac_f64_e32 v[98:99], v[104:105], v[114:115]
	s_set_gpr_idx_on s24, gpr_idx(SRC0)
	v_mov_b32_e32 v105, v34
	s_set_gpr_idx_off
	s_add_u32 s4, s4, 8
	s_set_gpr_idx_on s25, gpr_idx(SRC0)
	v_mov_b32_e32 v104, v34
	s_set_gpr_idx_off
	v_add_u32_e32 v100, s4, v102
	s_waitcnt lgkmcnt(0)
	v_fmac_f64_e32 v[98:99], v[104:105], v[116:117]
	s_set_gpr_idx_on s11, gpr_idx(SRC0)
	v_mov_b32_e32 v105, v35
	s_set_gpr_idx_off
	s_addc_u32 s5, s5, 0
	s_add_i32 s10, s10, 64
	s_add_i32 s12, s4, -7
	v_cmp_eq_u32_e32 vcc, 17, v100
	s_set_gpr_idx_on s11, gpr_idx(SRC0)
	v_mov_b32_e32 v104, v34
	s_set_gpr_idx_off
	v_mov_b32_e32 v100, s12
	s_or_b64 s[8:9], vcc, s[8:9]
	v_fmac_f64_e32 v[98:99], v[104:105], v[118:119]
	s_andn2_b64 exec, exec, s[8:9]
	s_cbranch_execnz .LBB79_73
; %bb.74:
	s_or_b64 exec, exec, s[8:9]
.LBB79_75:
	s_or_b64 exec, exec, s[0:1]
	v_and_b32_e32 v102, 7, v101
	v_cmp_ne_u32_e32 vcc, 0, v102
	s_and_saveexec_b64 s[8:9], vcc
	s_cbranch_execz .LBB79_79
; %bb.76:
	v_mov_b32_e32 v101, 0x80
	v_lshl_add_u32 v104, v100, 3, v101
	v_mov_b32_e32 v101, 0
	s_mov_b64 s[10:11], 0
.LBB79_77:                              ; =>This Inner Loop Header: Depth=1
	v_cmp_eq_u32_e32 vcc, 1, v100
	v_add_u32_e32 v102, -1, v102
	v_cmp_eq_u32_e64 s[0:1], 2, v100
	v_cndmask_b32_e32 v105, v35, v37, vcc
	v_cndmask_b32_e32 v108, v34, v36, vcc
	v_cndmask_b32_e64 v105, v105, v39, s[0:1]
	v_cmp_eq_u32_e32 vcc, 0, v102
	v_cmp_eq_u32_e64 s[4:5], 3, v100
	v_cndmask_b32_e64 v108, v108, v38, s[0:1]
	s_or_b64 s[10:11], vcc, s[10:11]
	v_cndmask_b32_e64 v105, v105, v41, s[4:5]
	v_cmp_eq_u32_e32 vcc, 4, v100
	v_cndmask_b32_e64 v108, v108, v40, s[4:5]
	v_cmp_eq_u32_e64 s[0:1], 5, v100
	v_cndmask_b32_e32 v105, v105, v43, vcc
	v_cndmask_b32_e32 v108, v108, v42, vcc
	v_cndmask_b32_e64 v105, v105, v45, s[0:1]
	v_cmp_eq_u32_e32 vcc, 6, v100
	v_cndmask_b32_e64 v108, v108, v44, s[0:1]
	v_cmp_eq_u32_e64 s[0:1], 7, v100
	v_cndmask_b32_e32 v105, v105, v47, vcc
	v_cndmask_b32_e32 v108, v108, v46, vcc
	;; [unrolled: 6-line block ×4, first 2 shown]
	v_cndmask_b32_e64 v105, v105, v57, s[0:1]
	v_cmp_eq_u32_e32 vcc, 12, v100
	ds_read_b64 v[106:107], v104
	v_cndmask_b32_e64 v108, v108, v56, s[0:1]
	v_cndmask_b32_e32 v105, v105, v59, vcc
	v_cmp_eq_u32_e64 s[0:1], 13, v100
	v_cndmask_b32_e32 v108, v108, v58, vcc
	v_cmp_eq_u32_e32 vcc, 14, v100
	v_cndmask_b32_e64 v105, v105, v61, s[0:1]
	v_cmp_eq_u32_e64 s[4:5], 15, v100
	v_cndmask_b32_e32 v105, v105, v63, vcc
	v_cndmask_b32_e64 v108, v108, v60, s[0:1]
	v_cndmask_b32_e64 v109, v105, v65, s[4:5]
	v_cndmask_b32_e32 v105, v108, v62, vcc
	v_cndmask_b32_e64 v108, v105, v64, s[4:5]
	v_add_u32_e32 v104, 8, v104
	v_lshl_add_u64 v[100:101], v[100:101], 0, 1
	s_waitcnt lgkmcnt(0)
	v_fmac_f64_e32 v[98:99], v[108:109], v[106:107]
	s_andn2_b64 exec, exec, s[10:11]
	s_cbranch_execnz .LBB79_77
; %bb.78:
	s_or_b64 exec, exec, s[10:11]
.LBB79_79:
	s_or_b64 exec, exec, s[8:9]
.LBB79_80:
	s_or_b64 exec, exec, s[6:7]
	v_mov_b32_e32 v52, 0
	ds_read_b64 v[52:53], v52 offset:72
	s_waitcnt lgkmcnt(0)
	v_mul_f64 v[52:53], v[98:99], v[52:53]
.LBB79_81:
	s_or_b64 exec, exec, s[36:37]
	v_cmp_lt_u32_e64 s[0:1], 8, v0
	ds_write_b64 v103, v[50:51]
	s_waitcnt lgkmcnt(0)
	; wave barrier
	s_and_saveexec_b64 s[36:37], s[0:1]
	s_cbranch_execz .LBB79_97
; %bb.82:
	s_andn2_b64 vcc, exec, s[34:35]
	s_cbranch_vccnz .LBB79_84
; %bb.83:
	v_cmp_eq_u32_e32 vcc, 1, v0
	v_cmp_eq_u32_e64 s[4:5], 2, v0
	v_cmp_eq_u32_e64 s[6:7], 3, v0
	v_cndmask_b32_e32 v98, v35, v37, vcc
	v_cndmask_b32_e64 v98, v98, v39, s[4:5]
	v_cndmask_b32_e64 v98, v98, v41, s[6:7]
	v_cmp_eq_u32_e64 s[8:9], 4, v0
	v_cmp_eq_u32_e64 s[10:11], 5, v0
	v_cmp_eq_u32_e64 s[12:13], 6, v0
	v_cndmask_b32_e64 v98, v98, v43, s[8:9]
	v_cndmask_b32_e64 v98, v98, v45, s[10:11]
	v_cndmask_b32_e64 v98, v98, v47, s[12:13]
	v_cmp_eq_u32_e64 s[14:15], 7, v0
	v_cmp_eq_u32_e64 s[16:17], 8, v0
	v_cmp_eq_u32_e64 s[18:19], 9, v0
	v_cndmask_b32_e64 v98, v98, v49, s[14:15]
	;; [unrolled: 6-line block ×4, first 2 shown]
	v_cndmask_b32_e64 v98, v98, v63, s[28:29]
	v_cndmask_b32_e64 v99, v98, v65, s[30:31]
	v_cndmask_b32_e32 v98, v34, v36, vcc
	v_cndmask_b32_e64 v98, v98, v38, s[4:5]
	v_cndmask_b32_e64 v98, v98, v40, s[6:7]
	;; [unrolled: 1-line block ×10, first 2 shown]
	ds_read_b64 v[100:101], v103
	v_cndmask_b32_e64 v98, v98, v58, s[24:25]
	v_cndmask_b32_e64 v98, v98, v60, s[26:27]
	;; [unrolled: 1-line block ×4, first 2 shown]
	s_waitcnt lgkmcnt(0)
	v_mul_f64 v[98:99], v[98:99], v[100:101]
	s_cbranch_execz .LBB79_85
	s_branch .LBB79_86
.LBB79_84:
                                        ; implicit-def: $vgpr98_vgpr99
.LBB79_85:
	ds_read_b64 v[98:99], v103
.LBB79_86:
	s_and_saveexec_b64 s[6:7], s[2:3]
	s_cbranch_execz .LBB79_96
; %bb.87:
	v_add_u32_e32 v100, -10, v0
	v_add_u32_e32 v101, -9, v0
	v_cmp_lt_u32_e32 vcc, 6, v100
	v_mov_b32_e32 v100, 9
	s_and_saveexec_b64 s[2:3], vcc
	s_cbranch_execz .LBB79_91
; %bb.88:
	v_and_b32_e32 v100, -8, v101
	v_sub_u32_e32 v102, 0, v100
	s_mov_b64 s[4:5], 16
	s_movk_i32 s10, 0xc8
	s_mov_b64 s[8:9], 0
.LBB79_89:                              ; =>This Inner Loop Header: Depth=1
	s_lshl_b32 s11, s4, 1
	s_add_i32 s12, s11, -13
	v_mov_b32_e32 v118, s10
	s_add_i32 s13, s11, -14
	s_set_gpr_idx_on s12, gpr_idx(SRC0)
	v_mov_b32_e32 v113, v34
	s_set_gpr_idx_off
	s_add_i32 s14, s11, -11
	s_set_gpr_idx_on s13, gpr_idx(SRC0)
	v_mov_b32_e32 v112, v34
	s_set_gpr_idx_off
	ds_read2_b64 v[104:107], v118 offset1:1
	s_add_i32 s15, s11, -12
	s_set_gpr_idx_on s14, gpr_idx(SRC0)
	v_mov_b32_e32 v115, v34
	s_set_gpr_idx_off
	s_add_i32 s16, s11, -9
	s_set_gpr_idx_on s15, gpr_idx(SRC0)
	v_mov_b32_e32 v114, v34
	s_set_gpr_idx_off
	;; [unrolled: 4-line block ×4, first 2 shown]
	ds_read2_b64 v[108:111], v118 offset0:2 offset1:3
	s_add_i32 s19, s11, -8
	s_waitcnt lgkmcnt(1)
	v_fmac_f64_e32 v[98:99], v[112:113], v[104:105]
	s_set_gpr_idx_on s18, gpr_idx(SRC0)
	v_mov_b32_e32 v113, v34
	s_set_gpr_idx_off
	s_add_i32 s20, s11, -5
	v_fmac_f64_e32 v[98:99], v[114:115], v[106:107]
	s_set_gpr_idx_on s19, gpr_idx(SRC0)
	v_mov_b32_e32 v112, v34
	s_set_gpr_idx_off
	s_add_i32 s21, s11, -6
	s_set_gpr_idx_on s20, gpr_idx(SRC0)
	v_mov_b32_e32 v115, v34
	s_set_gpr_idx_off
	s_add_i32 s22, s11, -3
	;; [unrolled: 4-line block ×3, first 2 shown]
	ds_read2_b64 v[104:107], v118 offset0:4 offset1:5
	s_waitcnt lgkmcnt(1)
	v_fmac_f64_e32 v[98:99], v[116:117], v[108:109]
	s_set_gpr_idx_on s22, gpr_idx(SRC0)
	v_mov_b32_e32 v117, v34
	s_set_gpr_idx_off
	s_add_i32 s24, s11, -1
	v_fmac_f64_e32 v[98:99], v[112:113], v[110:111]
	s_set_gpr_idx_on s23, gpr_idx(SRC0)
	v_mov_b32_e32 v116, v34
	s_set_gpr_idx_off
	s_add_i32 s25, s11, -2
	s_set_gpr_idx_on s24, gpr_idx(SRC0)
	v_mov_b32_e32 v113, v34
	s_set_gpr_idx_off
	s_set_gpr_idx_on s25, gpr_idx(SRC0)
	v_mov_b32_e32 v112, v34
	s_set_gpr_idx_off
	ds_read2_b64 v[108:111], v118 offset0:6 offset1:7
	s_add_u32 s4, s4, 8
	s_waitcnt lgkmcnt(1)
	v_fmac_f64_e32 v[98:99], v[114:115], v[104:105]
	s_set_gpr_idx_on s11, gpr_idx(SRC0)
	v_mov_b32_e32 v105, v35
	s_set_gpr_idx_off
	v_add_u32_e32 v100, s4, v102
	v_fmac_f64_e32 v[98:99], v[116:117], v[106:107]
	s_set_gpr_idx_on s11, gpr_idx(SRC0)
	v_mov_b32_e32 v104, v34
	s_set_gpr_idx_off
	s_addc_u32 s5, s5, 0
	s_add_i32 s10, s10, 64
	s_add_i32 s12, s4, -7
	v_cmp_eq_u32_e32 vcc, 16, v100
	s_waitcnt lgkmcnt(0)
	v_fmac_f64_e32 v[98:99], v[112:113], v[108:109]
	v_mov_b32_e32 v100, s12
	s_or_b64 s[8:9], vcc, s[8:9]
	v_fmac_f64_e32 v[98:99], v[104:105], v[110:111]
	s_andn2_b64 exec, exec, s[8:9]
	s_cbranch_execnz .LBB79_89
; %bb.90:
	s_or_b64 exec, exec, s[8:9]
.LBB79_91:
	s_or_b64 exec, exec, s[2:3]
	v_and_b32_e32 v102, 7, v101
	v_cmp_ne_u32_e32 vcc, 0, v102
	s_and_saveexec_b64 s[8:9], vcc
	s_cbranch_execz .LBB79_95
; %bb.92:
	v_mov_b32_e32 v101, 0x80
	v_lshl_add_u32 v104, v100, 3, v101
	v_mov_b32_e32 v101, 0
	s_mov_b64 s[10:11], 0
.LBB79_93:                              ; =>This Inner Loop Header: Depth=1
	v_cmp_eq_u32_e32 vcc, 1, v100
	v_add_u32_e32 v102, -1, v102
	v_cmp_eq_u32_e64 s[2:3], 2, v100
	v_cndmask_b32_e32 v105, v35, v37, vcc
	v_cndmask_b32_e32 v108, v34, v36, vcc
	v_cndmask_b32_e64 v105, v105, v39, s[2:3]
	v_cmp_eq_u32_e32 vcc, 0, v102
	v_cmp_eq_u32_e64 s[4:5], 3, v100
	v_cndmask_b32_e64 v108, v108, v38, s[2:3]
	s_or_b64 s[10:11], vcc, s[10:11]
	v_cndmask_b32_e64 v105, v105, v41, s[4:5]
	v_cmp_eq_u32_e32 vcc, 4, v100
	v_cndmask_b32_e64 v108, v108, v40, s[4:5]
	v_cmp_eq_u32_e64 s[2:3], 5, v100
	v_cndmask_b32_e32 v105, v105, v43, vcc
	v_cndmask_b32_e32 v108, v108, v42, vcc
	v_cndmask_b32_e64 v105, v105, v45, s[2:3]
	v_cmp_eq_u32_e32 vcc, 6, v100
	v_cndmask_b32_e64 v108, v108, v44, s[2:3]
	v_cmp_eq_u32_e64 s[2:3], 7, v100
	v_cndmask_b32_e32 v105, v105, v47, vcc
	v_cndmask_b32_e32 v108, v108, v46, vcc
	;; [unrolled: 6-line block ×4, first 2 shown]
	v_cndmask_b32_e64 v105, v105, v57, s[2:3]
	v_cmp_eq_u32_e32 vcc, 12, v100
	ds_read_b64 v[106:107], v104
	v_cndmask_b32_e64 v108, v108, v56, s[2:3]
	v_cndmask_b32_e32 v105, v105, v59, vcc
	v_cmp_eq_u32_e64 s[2:3], 13, v100
	v_cndmask_b32_e32 v108, v108, v58, vcc
	v_cmp_eq_u32_e32 vcc, 14, v100
	v_cndmask_b32_e64 v105, v105, v61, s[2:3]
	v_cmp_eq_u32_e64 s[4:5], 15, v100
	v_cndmask_b32_e32 v105, v105, v63, vcc
	v_cndmask_b32_e64 v108, v108, v60, s[2:3]
	v_cndmask_b32_e64 v109, v105, v65, s[4:5]
	v_cndmask_b32_e32 v105, v108, v62, vcc
	v_cndmask_b32_e64 v108, v105, v64, s[4:5]
	v_add_u32_e32 v104, 8, v104
	v_lshl_add_u64 v[100:101], v[100:101], 0, 1
	s_waitcnt lgkmcnt(0)
	v_fmac_f64_e32 v[98:99], v[108:109], v[106:107]
	s_andn2_b64 exec, exec, s[10:11]
	s_cbranch_execnz .LBB79_93
; %bb.94:
	s_or_b64 exec, exec, s[10:11]
.LBB79_95:
	s_or_b64 exec, exec, s[8:9]
.LBB79_96:
	s_or_b64 exec, exec, s[6:7]
	v_mov_b32_e32 v50, 0
	ds_read_b64 v[50:51], v50 offset:64
	s_waitcnt lgkmcnt(0)
	v_mul_f64 v[50:51], v[98:99], v[50:51]
.LBB79_97:
	s_or_b64 exec, exec, s[36:37]
	v_cmp_lt_u32_e64 s[2:3], 7, v0
	ds_write_b64 v103, v[48:49]
	s_waitcnt lgkmcnt(0)
	; wave barrier
	s_and_saveexec_b64 s[36:37], s[2:3]
	s_cbranch_execz .LBB79_113
; %bb.98:
	s_andn2_b64 vcc, exec, s[34:35]
	s_cbranch_vccnz .LBB79_100
; %bb.99:
	v_cmp_eq_u32_e32 vcc, 1, v0
	v_cmp_eq_u32_e64 s[4:5], 2, v0
	v_cmp_eq_u32_e64 s[6:7], 3, v0
	v_cndmask_b32_e32 v98, v35, v37, vcc
	v_cndmask_b32_e64 v98, v98, v39, s[4:5]
	v_cndmask_b32_e64 v98, v98, v41, s[6:7]
	v_cmp_eq_u32_e64 s[8:9], 4, v0
	v_cmp_eq_u32_e64 s[10:11], 5, v0
	v_cmp_eq_u32_e64 s[12:13], 6, v0
	v_cndmask_b32_e64 v98, v98, v43, s[8:9]
	v_cndmask_b32_e64 v98, v98, v45, s[10:11]
	v_cndmask_b32_e64 v98, v98, v47, s[12:13]
	v_cmp_eq_u32_e64 s[14:15], 7, v0
	v_cmp_eq_u32_e64 s[16:17], 8, v0
	v_cmp_eq_u32_e64 s[18:19], 9, v0
	v_cndmask_b32_e64 v98, v98, v49, s[14:15]
	v_cndmask_b32_e64 v98, v98, v51, s[16:17]
	v_cndmask_b32_e64 v98, v98, v53, s[18:19]
	v_cmp_eq_u32_e64 s[20:21], 10, v0
	v_cmp_eq_u32_e64 s[22:23], 11, v0
	v_cmp_eq_u32_e64 s[24:25], 12, v0
	v_cndmask_b32_e64 v98, v98, v55, s[20:21]
	v_cndmask_b32_e64 v98, v98, v57, s[22:23]
	v_cndmask_b32_e64 v98, v98, v59, s[24:25]
	v_cmp_eq_u32_e64 s[26:27], 13, v0
	v_cmp_eq_u32_e64 s[28:29], 14, v0
	v_cmp_eq_u32_e64 s[30:31], 15, v0
	v_cndmask_b32_e64 v98, v98, v61, s[26:27]
	v_cndmask_b32_e64 v98, v98, v63, s[28:29]
	v_cndmask_b32_e64 v99, v98, v65, s[30:31]
	v_cndmask_b32_e32 v98, v34, v36, vcc
	v_cndmask_b32_e64 v98, v98, v38, s[4:5]
	v_cndmask_b32_e64 v98, v98, v40, s[6:7]
	;; [unrolled: 1-line block ×10, first 2 shown]
	ds_read_b64 v[100:101], v103
	v_cndmask_b32_e64 v98, v98, v58, s[24:25]
	v_cndmask_b32_e64 v98, v98, v60, s[26:27]
	;; [unrolled: 1-line block ×4, first 2 shown]
	s_waitcnt lgkmcnt(0)
	v_mul_f64 v[98:99], v[98:99], v[100:101]
	s_cbranch_execz .LBB79_101
	s_branch .LBB79_102
.LBB79_100:
                                        ; implicit-def: $vgpr98_vgpr99
.LBB79_101:
	ds_read_b64 v[98:99], v103
.LBB79_102:
	s_and_saveexec_b64 s[6:7], s[0:1]
	s_cbranch_execz .LBB79_112
; %bb.103:
	v_add_u32_e32 v100, -9, v0
	v_cmp_lt_u32_e32 vcc, 6, v100
	v_mov_b32_e32 v100, 8
	s_and_saveexec_b64 s[0:1], vcc
	s_cbranch_execz .LBB79_107
; %bb.104:
	v_and_b32_e32 v100, 8, v0
	v_sub_u32_e32 v102, 0, v100
	s_mov_b64 s[4:5], 15
	s_movk_i32 s10, 0xc0
	s_mov_b64 s[8:9], 0
.LBB79_105:                             ; =>This Inner Loop Header: Depth=1
	s_lshl_b32 s11, s4, 1
	s_add_i32 s12, s11, -13
	s_add_i32 s13, s11, -14
	s_set_gpr_idx_on s12, gpr_idx(SRC0)
	v_mov_b32_e32 v121, v34
	s_set_gpr_idx_off
	v_mov_b32_e32 v100, s10
	s_add_i32 s14, s11, -11
	s_set_gpr_idx_on s13, gpr_idx(SRC0)
	v_mov_b32_e32 v120, v34
	s_set_gpr_idx_off
	s_add_i32 s15, s11, -12
	ds_read_b128 v[104:107], v100
	ds_read_b128 v[108:111], v100 offset:16
	ds_read_b128 v[112:115], v100 offset:32
	ds_read_b128 v[116:119], v100 offset:48
	s_set_gpr_idx_on s14, gpr_idx(SRC0)
	v_mov_b32_e32 v123, v34
	s_set_gpr_idx_off
	s_add_i32 s16, s11, -9
	s_set_gpr_idx_on s15, gpr_idx(SRC0)
	v_mov_b32_e32 v122, v34
	s_set_gpr_idx_off
	s_add_i32 s17, s11, -10
	;; [unrolled: 4-line block ×4, first 2 shown]
	s_waitcnt lgkmcnt(3)
	v_fmac_f64_e32 v[98:99], v[120:121], v[104:105]
	s_set_gpr_idx_on s18, gpr_idx(SRC0)
	v_mov_b32_e32 v105, v34
	s_set_gpr_idx_off
	s_add_i32 s20, s11, -5
	v_fmac_f64_e32 v[98:99], v[122:123], v[106:107]
	s_set_gpr_idx_on s19, gpr_idx(SRC0)
	v_mov_b32_e32 v104, v34
	s_set_gpr_idx_off
	s_add_i32 s21, s11, -6
	s_waitcnt lgkmcnt(2)
	v_fmac_f64_e32 v[98:99], v[124:125], v[108:109]
	s_set_gpr_idx_on s20, gpr_idx(SRC0)
	v_mov_b32_e32 v107, v34
	s_set_gpr_idx_off
	s_add_i32 s22, s11, -3
	v_fmac_f64_e32 v[98:99], v[104:105], v[110:111]
	s_set_gpr_idx_on s21, gpr_idx(SRC0)
	v_mov_b32_e32 v106, v34
	s_set_gpr_idx_off
	s_add_i32 s23, s11, -4
	s_waitcnt lgkmcnt(1)
	v_fmac_f64_e32 v[98:99], v[106:107], v[112:113]
	s_set_gpr_idx_on s22, gpr_idx(SRC0)
	v_mov_b32_e32 v105, v34
	s_set_gpr_idx_off
	s_add_i32 s24, s11, -1
	s_set_gpr_idx_on s23, gpr_idx(SRC0)
	v_mov_b32_e32 v104, v34
	s_set_gpr_idx_off
	s_add_i32 s25, s11, -2
	v_fmac_f64_e32 v[98:99], v[104:105], v[114:115]
	s_set_gpr_idx_on s24, gpr_idx(SRC0)
	v_mov_b32_e32 v105, v34
	s_set_gpr_idx_off
	s_add_u32 s4, s4, 8
	s_set_gpr_idx_on s25, gpr_idx(SRC0)
	v_mov_b32_e32 v104, v34
	s_set_gpr_idx_off
	v_add_u32_e32 v100, s4, v102
	s_waitcnt lgkmcnt(0)
	v_fmac_f64_e32 v[98:99], v[104:105], v[116:117]
	s_set_gpr_idx_on s11, gpr_idx(SRC0)
	v_mov_b32_e32 v105, v35
	s_set_gpr_idx_off
	s_addc_u32 s5, s5, 0
	s_add_i32 s10, s10, 64
	s_add_i32 s12, s4, -7
	v_cmp_eq_u32_e32 vcc, 7, v100
	s_set_gpr_idx_on s11, gpr_idx(SRC0)
	v_mov_b32_e32 v104, v34
	s_set_gpr_idx_off
	v_mov_b32_e32 v100, s12
	s_or_b64 s[8:9], vcc, s[8:9]
	v_fmac_f64_e32 v[98:99], v[104:105], v[118:119]
	s_andn2_b64 exec, exec, s[8:9]
	s_cbranch_execnz .LBB79_105
; %bb.106:
	s_or_b64 exec, exec, s[8:9]
.LBB79_107:
	s_or_b64 exec, exec, s[0:1]
	v_and_b32_e32 v102, 7, v0
	v_cmp_ne_u32_e32 vcc, 0, v102
	s_and_saveexec_b64 s[8:9], vcc
	s_cbranch_execz .LBB79_111
; %bb.108:
	v_mov_b32_e32 v101, 0x80
	v_lshl_add_u32 v104, v100, 3, v101
	v_mov_b32_e32 v101, 0
	s_mov_b64 s[10:11], 0
.LBB79_109:                             ; =>This Inner Loop Header: Depth=1
	v_cmp_eq_u32_e32 vcc, 1, v100
	v_add_u32_e32 v102, -1, v102
	v_cmp_eq_u32_e64 s[0:1], 2, v100
	v_cndmask_b32_e32 v105, v35, v37, vcc
	v_cndmask_b32_e32 v108, v34, v36, vcc
	v_cndmask_b32_e64 v105, v105, v39, s[0:1]
	v_cmp_eq_u32_e32 vcc, 0, v102
	v_cmp_eq_u32_e64 s[4:5], 3, v100
	v_cndmask_b32_e64 v108, v108, v38, s[0:1]
	s_or_b64 s[10:11], vcc, s[10:11]
	v_cndmask_b32_e64 v105, v105, v41, s[4:5]
	v_cmp_eq_u32_e32 vcc, 4, v100
	v_cndmask_b32_e64 v108, v108, v40, s[4:5]
	v_cmp_eq_u32_e64 s[0:1], 5, v100
	v_cndmask_b32_e32 v105, v105, v43, vcc
	v_cndmask_b32_e32 v108, v108, v42, vcc
	v_cndmask_b32_e64 v105, v105, v45, s[0:1]
	v_cmp_eq_u32_e32 vcc, 6, v100
	v_cndmask_b32_e64 v108, v108, v44, s[0:1]
	v_cmp_eq_u32_e64 s[0:1], 7, v100
	v_cndmask_b32_e32 v105, v105, v47, vcc
	v_cndmask_b32_e32 v108, v108, v46, vcc
	;; [unrolled: 6-line block ×4, first 2 shown]
	v_cndmask_b32_e64 v105, v105, v57, s[0:1]
	v_cmp_eq_u32_e32 vcc, 12, v100
	ds_read_b64 v[106:107], v104
	v_cndmask_b32_e64 v108, v108, v56, s[0:1]
	v_cndmask_b32_e32 v105, v105, v59, vcc
	v_cmp_eq_u32_e64 s[0:1], 13, v100
	v_cndmask_b32_e32 v108, v108, v58, vcc
	v_cmp_eq_u32_e32 vcc, 14, v100
	v_cndmask_b32_e64 v105, v105, v61, s[0:1]
	v_cmp_eq_u32_e64 s[4:5], 15, v100
	v_cndmask_b32_e32 v105, v105, v63, vcc
	v_cndmask_b32_e64 v108, v108, v60, s[0:1]
	v_cndmask_b32_e64 v109, v105, v65, s[4:5]
	v_cndmask_b32_e32 v105, v108, v62, vcc
	v_cndmask_b32_e64 v108, v105, v64, s[4:5]
	v_add_u32_e32 v104, 8, v104
	v_lshl_add_u64 v[100:101], v[100:101], 0, 1
	s_waitcnt lgkmcnt(0)
	v_fmac_f64_e32 v[98:99], v[108:109], v[106:107]
	s_andn2_b64 exec, exec, s[10:11]
	s_cbranch_execnz .LBB79_109
; %bb.110:
	s_or_b64 exec, exec, s[10:11]
.LBB79_111:
	s_or_b64 exec, exec, s[8:9]
.LBB79_112:
	s_or_b64 exec, exec, s[6:7]
	v_mov_b32_e32 v48, 0
	ds_read_b64 v[48:49], v48 offset:56
	s_waitcnt lgkmcnt(0)
	v_mul_f64 v[48:49], v[98:99], v[48:49]
.LBB79_113:
	s_or_b64 exec, exec, s[36:37]
	v_cmp_lt_u32_e64 s[0:1], 6, v0
	ds_write_b64 v103, v[46:47]
	s_waitcnt lgkmcnt(0)
	; wave barrier
	s_and_saveexec_b64 s[36:37], s[0:1]
	s_cbranch_execz .LBB79_129
; %bb.114:
	s_andn2_b64 vcc, exec, s[34:35]
	s_cbranch_vccnz .LBB79_116
; %bb.115:
	v_cmp_eq_u32_e32 vcc, 1, v0
	v_cmp_eq_u32_e64 s[4:5], 2, v0
	v_cmp_eq_u32_e64 s[6:7], 3, v0
	v_cndmask_b32_e32 v98, v35, v37, vcc
	v_cndmask_b32_e64 v98, v98, v39, s[4:5]
	v_cndmask_b32_e64 v98, v98, v41, s[6:7]
	v_cmp_eq_u32_e64 s[8:9], 4, v0
	v_cmp_eq_u32_e64 s[10:11], 5, v0
	v_cmp_eq_u32_e64 s[12:13], 6, v0
	v_cndmask_b32_e64 v98, v98, v43, s[8:9]
	v_cndmask_b32_e64 v98, v98, v45, s[10:11]
	v_cndmask_b32_e64 v98, v98, v47, s[12:13]
	v_cmp_eq_u32_e64 s[14:15], 7, v0
	v_cmp_eq_u32_e64 s[16:17], 8, v0
	v_cmp_eq_u32_e64 s[18:19], 9, v0
	v_cndmask_b32_e64 v98, v98, v49, s[14:15]
	;; [unrolled: 6-line block ×4, first 2 shown]
	v_cndmask_b32_e64 v98, v98, v63, s[28:29]
	v_cndmask_b32_e64 v99, v98, v65, s[30:31]
	v_cndmask_b32_e32 v98, v34, v36, vcc
	v_cndmask_b32_e64 v98, v98, v38, s[4:5]
	v_cndmask_b32_e64 v98, v98, v40, s[6:7]
	;; [unrolled: 1-line block ×10, first 2 shown]
	ds_read_b64 v[100:101], v103
	v_cndmask_b32_e64 v98, v98, v58, s[24:25]
	v_cndmask_b32_e64 v98, v98, v60, s[26:27]
	;; [unrolled: 1-line block ×4, first 2 shown]
	s_waitcnt lgkmcnt(0)
	v_mul_f64 v[98:99], v[98:99], v[100:101]
	s_cbranch_execz .LBB79_117
	s_branch .LBB79_118
.LBB79_116:
                                        ; implicit-def: $vgpr98_vgpr99
.LBB79_117:
	ds_read_b64 v[98:99], v103
.LBB79_118:
	s_and_saveexec_b64 s[6:7], s[2:3]
	s_cbranch_execz .LBB79_128
; %bb.119:
	v_add_u32_e32 v100, -8, v0
	v_add_u32_e32 v101, -7, v0
	v_cmp_lt_u32_e32 vcc, 6, v100
	v_mov_b32_e32 v100, 7
	s_and_saveexec_b64 s[2:3], vcc
	s_cbranch_execz .LBB79_123
; %bb.120:
	v_and_b32_e32 v100, -8, v101
	v_sub_u32_e32 v102, 0, v100
	s_mov_b64 s[4:5], 14
	s_movk_i32 s10, 0xb8
	s_mov_b64 s[8:9], 0
.LBB79_121:                             ; =>This Inner Loop Header: Depth=1
	s_lshl_b32 s11, s4, 1
	s_add_i32 s12, s11, -13
	v_mov_b32_e32 v118, s10
	s_add_i32 s13, s11, -14
	s_set_gpr_idx_on s12, gpr_idx(SRC0)
	v_mov_b32_e32 v113, v34
	s_set_gpr_idx_off
	s_add_i32 s14, s11, -11
	s_set_gpr_idx_on s13, gpr_idx(SRC0)
	v_mov_b32_e32 v112, v34
	s_set_gpr_idx_off
	ds_read2_b64 v[104:107], v118 offset1:1
	s_add_i32 s15, s11, -12
	s_set_gpr_idx_on s14, gpr_idx(SRC0)
	v_mov_b32_e32 v115, v34
	s_set_gpr_idx_off
	s_add_i32 s16, s11, -9
	s_set_gpr_idx_on s15, gpr_idx(SRC0)
	v_mov_b32_e32 v114, v34
	s_set_gpr_idx_off
	;; [unrolled: 4-line block ×4, first 2 shown]
	ds_read2_b64 v[108:111], v118 offset0:2 offset1:3
	s_add_i32 s19, s11, -8
	s_waitcnt lgkmcnt(1)
	v_fmac_f64_e32 v[98:99], v[112:113], v[104:105]
	s_set_gpr_idx_on s18, gpr_idx(SRC0)
	v_mov_b32_e32 v113, v34
	s_set_gpr_idx_off
	s_add_i32 s20, s11, -5
	v_fmac_f64_e32 v[98:99], v[114:115], v[106:107]
	s_set_gpr_idx_on s19, gpr_idx(SRC0)
	v_mov_b32_e32 v112, v34
	s_set_gpr_idx_off
	s_add_i32 s21, s11, -6
	s_set_gpr_idx_on s20, gpr_idx(SRC0)
	v_mov_b32_e32 v115, v34
	s_set_gpr_idx_off
	s_add_i32 s22, s11, -3
	;; [unrolled: 4-line block ×3, first 2 shown]
	ds_read2_b64 v[104:107], v118 offset0:4 offset1:5
	s_waitcnt lgkmcnt(1)
	v_fmac_f64_e32 v[98:99], v[116:117], v[108:109]
	s_set_gpr_idx_on s22, gpr_idx(SRC0)
	v_mov_b32_e32 v117, v34
	s_set_gpr_idx_off
	s_add_i32 s24, s11, -1
	v_fmac_f64_e32 v[98:99], v[112:113], v[110:111]
	s_set_gpr_idx_on s23, gpr_idx(SRC0)
	v_mov_b32_e32 v116, v34
	s_set_gpr_idx_off
	s_add_i32 s25, s11, -2
	s_set_gpr_idx_on s24, gpr_idx(SRC0)
	v_mov_b32_e32 v113, v34
	s_set_gpr_idx_off
	s_set_gpr_idx_on s25, gpr_idx(SRC0)
	v_mov_b32_e32 v112, v34
	s_set_gpr_idx_off
	ds_read2_b64 v[108:111], v118 offset0:6 offset1:7
	s_add_u32 s4, s4, 8
	s_waitcnt lgkmcnt(1)
	v_fmac_f64_e32 v[98:99], v[114:115], v[104:105]
	s_set_gpr_idx_on s11, gpr_idx(SRC0)
	v_mov_b32_e32 v105, v35
	s_set_gpr_idx_off
	v_add_u32_e32 v100, s4, v102
	v_fmac_f64_e32 v[98:99], v[116:117], v[106:107]
	s_set_gpr_idx_on s11, gpr_idx(SRC0)
	v_mov_b32_e32 v104, v34
	s_set_gpr_idx_off
	s_addc_u32 s5, s5, 0
	s_add_i32 s10, s10, 64
	s_add_i32 s12, s4, -7
	v_cmp_eq_u32_e32 vcc, 14, v100
	s_waitcnt lgkmcnt(0)
	v_fmac_f64_e32 v[98:99], v[112:113], v[108:109]
	v_mov_b32_e32 v100, s12
	s_or_b64 s[8:9], vcc, s[8:9]
	v_fmac_f64_e32 v[98:99], v[104:105], v[110:111]
	s_andn2_b64 exec, exec, s[8:9]
	s_cbranch_execnz .LBB79_121
; %bb.122:
	s_or_b64 exec, exec, s[8:9]
.LBB79_123:
	s_or_b64 exec, exec, s[2:3]
	v_and_b32_e32 v102, 7, v101
	v_cmp_ne_u32_e32 vcc, 0, v102
	s_and_saveexec_b64 s[8:9], vcc
	s_cbranch_execz .LBB79_127
; %bb.124:
	v_mov_b32_e32 v101, 0x80
	v_lshl_add_u32 v104, v100, 3, v101
	v_mov_b32_e32 v101, 0
	s_mov_b64 s[10:11], 0
.LBB79_125:                             ; =>This Inner Loop Header: Depth=1
	v_cmp_eq_u32_e32 vcc, 1, v100
	v_add_u32_e32 v102, -1, v102
	v_cmp_eq_u32_e64 s[2:3], 2, v100
	v_cndmask_b32_e32 v105, v35, v37, vcc
	v_cndmask_b32_e32 v108, v34, v36, vcc
	v_cndmask_b32_e64 v105, v105, v39, s[2:3]
	v_cmp_eq_u32_e32 vcc, 0, v102
	v_cmp_eq_u32_e64 s[4:5], 3, v100
	v_cndmask_b32_e64 v108, v108, v38, s[2:3]
	s_or_b64 s[10:11], vcc, s[10:11]
	v_cndmask_b32_e64 v105, v105, v41, s[4:5]
	v_cmp_eq_u32_e32 vcc, 4, v100
	v_cndmask_b32_e64 v108, v108, v40, s[4:5]
	v_cmp_eq_u32_e64 s[2:3], 5, v100
	v_cndmask_b32_e32 v105, v105, v43, vcc
	v_cndmask_b32_e32 v108, v108, v42, vcc
	v_cndmask_b32_e64 v105, v105, v45, s[2:3]
	v_cmp_eq_u32_e32 vcc, 6, v100
	v_cndmask_b32_e64 v108, v108, v44, s[2:3]
	v_cmp_eq_u32_e64 s[2:3], 7, v100
	v_cndmask_b32_e32 v105, v105, v47, vcc
	v_cndmask_b32_e32 v108, v108, v46, vcc
	;; [unrolled: 6-line block ×4, first 2 shown]
	v_cndmask_b32_e64 v105, v105, v57, s[2:3]
	v_cmp_eq_u32_e32 vcc, 12, v100
	ds_read_b64 v[106:107], v104
	v_cndmask_b32_e64 v108, v108, v56, s[2:3]
	v_cndmask_b32_e32 v105, v105, v59, vcc
	v_cmp_eq_u32_e64 s[2:3], 13, v100
	v_cndmask_b32_e32 v108, v108, v58, vcc
	v_cmp_eq_u32_e32 vcc, 14, v100
	v_cndmask_b32_e64 v105, v105, v61, s[2:3]
	v_cmp_eq_u32_e64 s[4:5], 15, v100
	v_cndmask_b32_e32 v105, v105, v63, vcc
	v_cndmask_b32_e64 v108, v108, v60, s[2:3]
	v_cndmask_b32_e64 v109, v105, v65, s[4:5]
	v_cndmask_b32_e32 v105, v108, v62, vcc
	v_cndmask_b32_e64 v108, v105, v64, s[4:5]
	v_add_u32_e32 v104, 8, v104
	v_lshl_add_u64 v[100:101], v[100:101], 0, 1
	s_waitcnt lgkmcnt(0)
	v_fmac_f64_e32 v[98:99], v[108:109], v[106:107]
	s_andn2_b64 exec, exec, s[10:11]
	s_cbranch_execnz .LBB79_125
; %bb.126:
	s_or_b64 exec, exec, s[10:11]
.LBB79_127:
	s_or_b64 exec, exec, s[8:9]
.LBB79_128:
	s_or_b64 exec, exec, s[6:7]
	v_mov_b32_e32 v46, 0
	ds_read_b64 v[46:47], v46 offset:48
	s_waitcnt lgkmcnt(0)
	v_mul_f64 v[46:47], v[98:99], v[46:47]
.LBB79_129:
	s_or_b64 exec, exec, s[36:37]
	v_cmp_lt_u32_e64 s[2:3], 5, v0
	ds_write_b64 v103, v[44:45]
	s_waitcnt lgkmcnt(0)
	; wave barrier
	s_and_saveexec_b64 s[36:37], s[2:3]
	s_cbranch_execz .LBB79_145
; %bb.130:
	s_andn2_b64 vcc, exec, s[34:35]
	s_cbranch_vccnz .LBB79_132
; %bb.131:
	v_cmp_eq_u32_e32 vcc, 1, v0
	v_cmp_eq_u32_e64 s[4:5], 2, v0
	v_cmp_eq_u32_e64 s[6:7], 3, v0
	v_cndmask_b32_e32 v98, v35, v37, vcc
	v_cndmask_b32_e64 v98, v98, v39, s[4:5]
	v_cndmask_b32_e64 v98, v98, v41, s[6:7]
	v_cmp_eq_u32_e64 s[8:9], 4, v0
	v_cmp_eq_u32_e64 s[10:11], 5, v0
	v_cmp_eq_u32_e64 s[12:13], 6, v0
	v_cndmask_b32_e64 v98, v98, v43, s[8:9]
	v_cndmask_b32_e64 v98, v98, v45, s[10:11]
	v_cndmask_b32_e64 v98, v98, v47, s[12:13]
	v_cmp_eq_u32_e64 s[14:15], 7, v0
	v_cmp_eq_u32_e64 s[16:17], 8, v0
	v_cmp_eq_u32_e64 s[18:19], 9, v0
	v_cndmask_b32_e64 v98, v98, v49, s[14:15]
	;; [unrolled: 6-line block ×4, first 2 shown]
	v_cndmask_b32_e64 v98, v98, v63, s[28:29]
	v_cndmask_b32_e64 v99, v98, v65, s[30:31]
	v_cndmask_b32_e32 v98, v34, v36, vcc
	v_cndmask_b32_e64 v98, v98, v38, s[4:5]
	v_cndmask_b32_e64 v98, v98, v40, s[6:7]
	;; [unrolled: 1-line block ×10, first 2 shown]
	ds_read_b64 v[100:101], v103
	v_cndmask_b32_e64 v98, v98, v58, s[24:25]
	v_cndmask_b32_e64 v98, v98, v60, s[26:27]
	;; [unrolled: 1-line block ×4, first 2 shown]
	s_waitcnt lgkmcnt(0)
	v_mul_f64 v[98:99], v[98:99], v[100:101]
	s_cbranch_execz .LBB79_133
	s_branch .LBB79_134
.LBB79_132:
                                        ; implicit-def: $vgpr98_vgpr99
.LBB79_133:
	ds_read_b64 v[98:99], v103
.LBB79_134:
	s_and_saveexec_b64 s[6:7], s[0:1]
	s_cbranch_execz .LBB79_144
; %bb.135:
	v_add_u32_e32 v102, -7, v0
	v_add_u32_e32 v101, -6, v0
	v_mov_b32_e32 v100, 6
	v_cmp_lt_u32_e32 vcc, 6, v102
	s_and_saveexec_b64 s[0:1], vcc
	s_cbranch_execz .LBB79_139
; %bb.136:
	v_and_b32_e32 v100, -8, v101
	v_sub_u32_e32 v102, 0, v100
	s_mov_b64 s[4:5], 13
	s_movk_i32 s10, 0xb0
	s_mov_b64 s[8:9], 0
.LBB79_137:                             ; =>This Inner Loop Header: Depth=1
	s_lshl_b32 s11, s4, 1
	s_add_i32 s12, s11, -13
	s_add_i32 s13, s11, -14
	s_set_gpr_idx_on s12, gpr_idx(SRC0)
	v_mov_b32_e32 v121, v34
	s_set_gpr_idx_off
	v_mov_b32_e32 v100, s10
	s_add_i32 s14, s11, -11
	s_set_gpr_idx_on s13, gpr_idx(SRC0)
	v_mov_b32_e32 v120, v34
	s_set_gpr_idx_off
	s_add_i32 s15, s11, -12
	ds_read_b128 v[104:107], v100
	ds_read_b128 v[108:111], v100 offset:16
	ds_read_b128 v[112:115], v100 offset:32
	;; [unrolled: 1-line block ×3, first 2 shown]
	s_set_gpr_idx_on s14, gpr_idx(SRC0)
	v_mov_b32_e32 v123, v34
	s_set_gpr_idx_off
	s_add_i32 s16, s11, -9
	s_set_gpr_idx_on s15, gpr_idx(SRC0)
	v_mov_b32_e32 v122, v34
	s_set_gpr_idx_off
	s_add_i32 s17, s11, -10
	;; [unrolled: 4-line block ×4, first 2 shown]
	s_waitcnt lgkmcnt(3)
	v_fmac_f64_e32 v[98:99], v[120:121], v[104:105]
	s_set_gpr_idx_on s18, gpr_idx(SRC0)
	v_mov_b32_e32 v105, v34
	s_set_gpr_idx_off
	s_add_i32 s20, s11, -5
	v_fmac_f64_e32 v[98:99], v[122:123], v[106:107]
	s_set_gpr_idx_on s19, gpr_idx(SRC0)
	v_mov_b32_e32 v104, v34
	s_set_gpr_idx_off
	s_add_i32 s21, s11, -6
	s_waitcnt lgkmcnt(2)
	v_fmac_f64_e32 v[98:99], v[124:125], v[108:109]
	s_set_gpr_idx_on s20, gpr_idx(SRC0)
	v_mov_b32_e32 v107, v34
	s_set_gpr_idx_off
	s_add_i32 s22, s11, -3
	v_fmac_f64_e32 v[98:99], v[104:105], v[110:111]
	s_set_gpr_idx_on s21, gpr_idx(SRC0)
	v_mov_b32_e32 v106, v34
	s_set_gpr_idx_off
	s_add_i32 s23, s11, -4
	s_waitcnt lgkmcnt(1)
	v_fmac_f64_e32 v[98:99], v[106:107], v[112:113]
	s_set_gpr_idx_on s22, gpr_idx(SRC0)
	v_mov_b32_e32 v105, v34
	s_set_gpr_idx_off
	s_add_i32 s24, s11, -1
	s_set_gpr_idx_on s23, gpr_idx(SRC0)
	v_mov_b32_e32 v104, v34
	s_set_gpr_idx_off
	s_add_i32 s25, s11, -2
	v_fmac_f64_e32 v[98:99], v[104:105], v[114:115]
	s_set_gpr_idx_on s24, gpr_idx(SRC0)
	v_mov_b32_e32 v105, v34
	s_set_gpr_idx_off
	s_add_u32 s4, s4, 8
	s_set_gpr_idx_on s25, gpr_idx(SRC0)
	v_mov_b32_e32 v104, v34
	s_set_gpr_idx_off
	v_add_u32_e32 v100, s4, v102
	s_waitcnt lgkmcnt(0)
	v_fmac_f64_e32 v[98:99], v[104:105], v[116:117]
	s_set_gpr_idx_on s11, gpr_idx(SRC0)
	v_mov_b32_e32 v105, v35
	s_set_gpr_idx_off
	s_addc_u32 s5, s5, 0
	s_add_i32 s10, s10, 64
	s_add_i32 s12, s4, -7
	v_cmp_eq_u32_e32 vcc, 13, v100
	s_set_gpr_idx_on s11, gpr_idx(SRC0)
	v_mov_b32_e32 v104, v34
	s_set_gpr_idx_off
	v_mov_b32_e32 v100, s12
	s_or_b64 s[8:9], vcc, s[8:9]
	v_fmac_f64_e32 v[98:99], v[104:105], v[118:119]
	s_andn2_b64 exec, exec, s[8:9]
	s_cbranch_execnz .LBB79_137
; %bb.138:
	s_or_b64 exec, exec, s[8:9]
.LBB79_139:
	s_or_b64 exec, exec, s[0:1]
	v_and_b32_e32 v102, 7, v101
	v_cmp_ne_u32_e32 vcc, 0, v102
	s_and_saveexec_b64 s[8:9], vcc
	s_cbranch_execz .LBB79_143
; %bb.140:
	v_mov_b32_e32 v101, 0x80
	v_lshl_add_u32 v104, v100, 3, v101
	v_mov_b32_e32 v101, 0
	s_mov_b64 s[10:11], 0
.LBB79_141:                             ; =>This Inner Loop Header: Depth=1
	v_cmp_eq_u32_e32 vcc, 1, v100
	v_add_u32_e32 v102, -1, v102
	v_cmp_eq_u32_e64 s[0:1], 2, v100
	v_cndmask_b32_e32 v105, v35, v37, vcc
	v_cndmask_b32_e32 v108, v34, v36, vcc
	v_cndmask_b32_e64 v105, v105, v39, s[0:1]
	v_cmp_eq_u32_e32 vcc, 0, v102
	v_cmp_eq_u32_e64 s[4:5], 3, v100
	v_cndmask_b32_e64 v108, v108, v38, s[0:1]
	s_or_b64 s[10:11], vcc, s[10:11]
	v_cndmask_b32_e64 v105, v105, v41, s[4:5]
	v_cmp_eq_u32_e32 vcc, 4, v100
	v_cndmask_b32_e64 v108, v108, v40, s[4:5]
	v_cmp_eq_u32_e64 s[0:1], 5, v100
	v_cndmask_b32_e32 v105, v105, v43, vcc
	v_cndmask_b32_e32 v108, v108, v42, vcc
	v_cndmask_b32_e64 v105, v105, v45, s[0:1]
	v_cmp_eq_u32_e32 vcc, 6, v100
	v_cndmask_b32_e64 v108, v108, v44, s[0:1]
	v_cmp_eq_u32_e64 s[0:1], 7, v100
	v_cndmask_b32_e32 v105, v105, v47, vcc
	v_cndmask_b32_e32 v108, v108, v46, vcc
	;; [unrolled: 6-line block ×4, first 2 shown]
	v_cndmask_b32_e64 v105, v105, v57, s[0:1]
	v_cmp_eq_u32_e32 vcc, 12, v100
	ds_read_b64 v[106:107], v104
	v_cndmask_b32_e64 v108, v108, v56, s[0:1]
	v_cndmask_b32_e32 v105, v105, v59, vcc
	v_cmp_eq_u32_e64 s[0:1], 13, v100
	v_cndmask_b32_e32 v108, v108, v58, vcc
	v_cmp_eq_u32_e32 vcc, 14, v100
	v_cndmask_b32_e64 v105, v105, v61, s[0:1]
	v_cmp_eq_u32_e64 s[4:5], 15, v100
	v_cndmask_b32_e32 v105, v105, v63, vcc
	v_cndmask_b32_e64 v108, v108, v60, s[0:1]
	v_cndmask_b32_e64 v109, v105, v65, s[4:5]
	v_cndmask_b32_e32 v105, v108, v62, vcc
	v_cndmask_b32_e64 v108, v105, v64, s[4:5]
	v_add_u32_e32 v104, 8, v104
	v_lshl_add_u64 v[100:101], v[100:101], 0, 1
	s_waitcnt lgkmcnt(0)
	v_fmac_f64_e32 v[98:99], v[108:109], v[106:107]
	s_andn2_b64 exec, exec, s[10:11]
	s_cbranch_execnz .LBB79_141
; %bb.142:
	s_or_b64 exec, exec, s[10:11]
.LBB79_143:
	s_or_b64 exec, exec, s[8:9]
.LBB79_144:
	s_or_b64 exec, exec, s[6:7]
	v_mov_b32_e32 v44, 0
	ds_read_b64 v[44:45], v44 offset:40
	s_waitcnt lgkmcnt(0)
	v_mul_f64 v[44:45], v[98:99], v[44:45]
.LBB79_145:
	s_or_b64 exec, exec, s[36:37]
	v_cmp_lt_u32_e64 s[0:1], 4, v0
	ds_write_b64 v103, v[42:43]
	s_waitcnt lgkmcnt(0)
	; wave barrier
	s_and_saveexec_b64 s[36:37], s[0:1]
	s_cbranch_execz .LBB79_161
; %bb.146:
	s_andn2_b64 vcc, exec, s[34:35]
	s_cbranch_vccnz .LBB79_148
; %bb.147:
	v_cmp_eq_u32_e32 vcc, 1, v0
	v_cmp_eq_u32_e64 s[4:5], 2, v0
	v_cmp_eq_u32_e64 s[6:7], 3, v0
	v_cndmask_b32_e32 v98, v35, v37, vcc
	v_cndmask_b32_e64 v98, v98, v39, s[4:5]
	v_cndmask_b32_e64 v98, v98, v41, s[6:7]
	v_cmp_eq_u32_e64 s[8:9], 4, v0
	v_cmp_eq_u32_e64 s[10:11], 5, v0
	v_cmp_eq_u32_e64 s[12:13], 6, v0
	v_cndmask_b32_e64 v98, v98, v43, s[8:9]
	v_cndmask_b32_e64 v98, v98, v45, s[10:11]
	v_cndmask_b32_e64 v98, v98, v47, s[12:13]
	v_cmp_eq_u32_e64 s[14:15], 7, v0
	v_cmp_eq_u32_e64 s[16:17], 8, v0
	v_cmp_eq_u32_e64 s[18:19], 9, v0
	v_cndmask_b32_e64 v98, v98, v49, s[14:15]
	;; [unrolled: 6-line block ×4, first 2 shown]
	v_cndmask_b32_e64 v98, v98, v63, s[28:29]
	v_cndmask_b32_e64 v99, v98, v65, s[30:31]
	v_cndmask_b32_e32 v98, v34, v36, vcc
	v_cndmask_b32_e64 v98, v98, v38, s[4:5]
	v_cndmask_b32_e64 v98, v98, v40, s[6:7]
	;; [unrolled: 1-line block ×10, first 2 shown]
	ds_read_b64 v[100:101], v103
	v_cndmask_b32_e64 v98, v98, v58, s[24:25]
	v_cndmask_b32_e64 v98, v98, v60, s[26:27]
	v_cndmask_b32_e64 v98, v98, v62, s[28:29]
	v_cndmask_b32_e64 v98, v98, v64, s[30:31]
	s_waitcnt lgkmcnt(0)
	v_mul_f64 v[98:99], v[98:99], v[100:101]
	s_cbranch_execz .LBB79_149
	s_branch .LBB79_150
.LBB79_148:
                                        ; implicit-def: $vgpr98_vgpr99
.LBB79_149:
	ds_read_b64 v[98:99], v103
.LBB79_150:
	s_and_saveexec_b64 s[6:7], s[2:3]
	s_cbranch_execz .LBB79_160
; %bb.151:
	v_add_u32_e32 v100, -6, v0
	v_add_u32_e32 v101, -5, v0
	v_cmp_lt_u32_e32 vcc, 6, v100
	v_mov_b32_e32 v100, 5
	s_and_saveexec_b64 s[2:3], vcc
	s_cbranch_execz .LBB79_155
; %bb.152:
	v_and_b32_e32 v100, -8, v101
	v_sub_u32_e32 v102, 0, v100
	s_mov_b64 s[4:5], 12
	s_movk_i32 s10, 0xa8
	s_mov_b64 s[8:9], 0
.LBB79_153:                             ; =>This Inner Loop Header: Depth=1
	s_lshl_b32 s11, s4, 1
	s_add_i32 s12, s11, -13
	v_mov_b32_e32 v118, s10
	s_add_i32 s13, s11, -14
	s_set_gpr_idx_on s12, gpr_idx(SRC0)
	v_mov_b32_e32 v113, v34
	s_set_gpr_idx_off
	s_add_i32 s14, s11, -11
	s_set_gpr_idx_on s13, gpr_idx(SRC0)
	v_mov_b32_e32 v112, v34
	s_set_gpr_idx_off
	ds_read2_b64 v[104:107], v118 offset1:1
	s_add_i32 s15, s11, -12
	s_set_gpr_idx_on s14, gpr_idx(SRC0)
	v_mov_b32_e32 v115, v34
	s_set_gpr_idx_off
	s_add_i32 s16, s11, -9
	s_set_gpr_idx_on s15, gpr_idx(SRC0)
	v_mov_b32_e32 v114, v34
	s_set_gpr_idx_off
	;; [unrolled: 4-line block ×4, first 2 shown]
	ds_read2_b64 v[108:111], v118 offset0:2 offset1:3
	s_add_i32 s19, s11, -8
	s_waitcnt lgkmcnt(1)
	v_fmac_f64_e32 v[98:99], v[112:113], v[104:105]
	s_set_gpr_idx_on s18, gpr_idx(SRC0)
	v_mov_b32_e32 v113, v34
	s_set_gpr_idx_off
	s_add_i32 s20, s11, -5
	v_fmac_f64_e32 v[98:99], v[114:115], v[106:107]
	s_set_gpr_idx_on s19, gpr_idx(SRC0)
	v_mov_b32_e32 v112, v34
	s_set_gpr_idx_off
	s_add_i32 s21, s11, -6
	s_set_gpr_idx_on s20, gpr_idx(SRC0)
	v_mov_b32_e32 v115, v34
	s_set_gpr_idx_off
	s_add_i32 s22, s11, -3
	;; [unrolled: 4-line block ×3, first 2 shown]
	ds_read2_b64 v[104:107], v118 offset0:4 offset1:5
	s_waitcnt lgkmcnt(1)
	v_fmac_f64_e32 v[98:99], v[116:117], v[108:109]
	s_set_gpr_idx_on s22, gpr_idx(SRC0)
	v_mov_b32_e32 v117, v34
	s_set_gpr_idx_off
	s_add_i32 s24, s11, -1
	v_fmac_f64_e32 v[98:99], v[112:113], v[110:111]
	s_set_gpr_idx_on s23, gpr_idx(SRC0)
	v_mov_b32_e32 v116, v34
	s_set_gpr_idx_off
	s_add_i32 s25, s11, -2
	s_set_gpr_idx_on s24, gpr_idx(SRC0)
	v_mov_b32_e32 v113, v34
	s_set_gpr_idx_off
	s_set_gpr_idx_on s25, gpr_idx(SRC0)
	v_mov_b32_e32 v112, v34
	s_set_gpr_idx_off
	ds_read2_b64 v[108:111], v118 offset0:6 offset1:7
	s_add_u32 s4, s4, 8
	s_waitcnt lgkmcnt(1)
	v_fmac_f64_e32 v[98:99], v[114:115], v[104:105]
	s_set_gpr_idx_on s11, gpr_idx(SRC0)
	v_mov_b32_e32 v105, v35
	s_set_gpr_idx_off
	v_add_u32_e32 v100, s4, v102
	v_fmac_f64_e32 v[98:99], v[116:117], v[106:107]
	s_set_gpr_idx_on s11, gpr_idx(SRC0)
	v_mov_b32_e32 v104, v34
	s_set_gpr_idx_off
	s_addc_u32 s5, s5, 0
	s_add_i32 s10, s10, 64
	s_add_i32 s12, s4, -7
	v_cmp_eq_u32_e32 vcc, 12, v100
	s_waitcnt lgkmcnt(0)
	v_fmac_f64_e32 v[98:99], v[112:113], v[108:109]
	v_mov_b32_e32 v100, s12
	s_or_b64 s[8:9], vcc, s[8:9]
	v_fmac_f64_e32 v[98:99], v[104:105], v[110:111]
	s_andn2_b64 exec, exec, s[8:9]
	s_cbranch_execnz .LBB79_153
; %bb.154:
	s_or_b64 exec, exec, s[8:9]
.LBB79_155:
	s_or_b64 exec, exec, s[2:3]
	v_and_b32_e32 v102, 7, v101
	v_cmp_ne_u32_e32 vcc, 0, v102
	s_and_saveexec_b64 s[8:9], vcc
	s_cbranch_execz .LBB79_159
; %bb.156:
	v_mov_b32_e32 v101, 0x80
	v_lshl_add_u32 v104, v100, 3, v101
	v_mov_b32_e32 v101, 0
	s_mov_b64 s[10:11], 0
.LBB79_157:                             ; =>This Inner Loop Header: Depth=1
	v_cmp_eq_u32_e32 vcc, 1, v100
	v_add_u32_e32 v102, -1, v102
	v_cmp_eq_u32_e64 s[2:3], 2, v100
	v_cndmask_b32_e32 v105, v35, v37, vcc
	v_cndmask_b32_e32 v108, v34, v36, vcc
	v_cndmask_b32_e64 v105, v105, v39, s[2:3]
	v_cmp_eq_u32_e32 vcc, 0, v102
	v_cmp_eq_u32_e64 s[4:5], 3, v100
	v_cndmask_b32_e64 v108, v108, v38, s[2:3]
	s_or_b64 s[10:11], vcc, s[10:11]
	v_cndmask_b32_e64 v105, v105, v41, s[4:5]
	v_cmp_eq_u32_e32 vcc, 4, v100
	v_cndmask_b32_e64 v108, v108, v40, s[4:5]
	v_cmp_eq_u32_e64 s[2:3], 5, v100
	v_cndmask_b32_e32 v105, v105, v43, vcc
	v_cndmask_b32_e32 v108, v108, v42, vcc
	v_cndmask_b32_e64 v105, v105, v45, s[2:3]
	v_cmp_eq_u32_e32 vcc, 6, v100
	v_cndmask_b32_e64 v108, v108, v44, s[2:3]
	v_cmp_eq_u32_e64 s[2:3], 7, v100
	v_cndmask_b32_e32 v105, v105, v47, vcc
	v_cndmask_b32_e32 v108, v108, v46, vcc
	;; [unrolled: 6-line block ×4, first 2 shown]
	v_cndmask_b32_e64 v105, v105, v57, s[2:3]
	v_cmp_eq_u32_e32 vcc, 12, v100
	ds_read_b64 v[106:107], v104
	v_cndmask_b32_e64 v108, v108, v56, s[2:3]
	v_cndmask_b32_e32 v105, v105, v59, vcc
	v_cmp_eq_u32_e64 s[2:3], 13, v100
	v_cndmask_b32_e32 v108, v108, v58, vcc
	v_cmp_eq_u32_e32 vcc, 14, v100
	v_cndmask_b32_e64 v105, v105, v61, s[2:3]
	v_cmp_eq_u32_e64 s[4:5], 15, v100
	v_cndmask_b32_e32 v105, v105, v63, vcc
	v_cndmask_b32_e64 v108, v108, v60, s[2:3]
	v_cndmask_b32_e64 v109, v105, v65, s[4:5]
	v_cndmask_b32_e32 v105, v108, v62, vcc
	v_cndmask_b32_e64 v108, v105, v64, s[4:5]
	v_add_u32_e32 v104, 8, v104
	v_lshl_add_u64 v[100:101], v[100:101], 0, 1
	s_waitcnt lgkmcnt(0)
	v_fmac_f64_e32 v[98:99], v[108:109], v[106:107]
	s_andn2_b64 exec, exec, s[10:11]
	s_cbranch_execnz .LBB79_157
; %bb.158:
	s_or_b64 exec, exec, s[10:11]
.LBB79_159:
	s_or_b64 exec, exec, s[8:9]
.LBB79_160:
	s_or_b64 exec, exec, s[6:7]
	v_mov_b32_e32 v42, 0
	ds_read_b64 v[42:43], v42 offset:32
	s_waitcnt lgkmcnt(0)
	v_mul_f64 v[42:43], v[98:99], v[42:43]
.LBB79_161:
	s_or_b64 exec, exec, s[36:37]
	v_cmp_lt_u32_e64 s[2:3], 3, v0
	ds_write_b64 v103, v[40:41]
	s_waitcnt lgkmcnt(0)
	; wave barrier
	s_and_saveexec_b64 s[36:37], s[2:3]
	s_cbranch_execz .LBB79_177
; %bb.162:
	s_andn2_b64 vcc, exec, s[34:35]
	s_cbranch_vccnz .LBB79_164
; %bb.163:
	v_cmp_eq_u32_e32 vcc, 1, v0
	v_cmp_eq_u32_e64 s[4:5], 2, v0
	v_cmp_eq_u32_e64 s[6:7], 3, v0
	v_cndmask_b32_e32 v98, v35, v37, vcc
	v_cndmask_b32_e64 v98, v98, v39, s[4:5]
	v_cndmask_b32_e64 v98, v98, v41, s[6:7]
	v_cmp_eq_u32_e64 s[8:9], 4, v0
	v_cmp_eq_u32_e64 s[10:11], 5, v0
	v_cmp_eq_u32_e64 s[12:13], 6, v0
	v_cndmask_b32_e64 v98, v98, v43, s[8:9]
	v_cndmask_b32_e64 v98, v98, v45, s[10:11]
	v_cndmask_b32_e64 v98, v98, v47, s[12:13]
	v_cmp_eq_u32_e64 s[14:15], 7, v0
	v_cmp_eq_u32_e64 s[16:17], 8, v0
	v_cmp_eq_u32_e64 s[18:19], 9, v0
	v_cndmask_b32_e64 v98, v98, v49, s[14:15]
	v_cndmask_b32_e64 v98, v98, v51, s[16:17]
	v_cndmask_b32_e64 v98, v98, v53, s[18:19]
	v_cmp_eq_u32_e64 s[20:21], 10, v0
	v_cmp_eq_u32_e64 s[22:23], 11, v0
	v_cmp_eq_u32_e64 s[24:25], 12, v0
	v_cndmask_b32_e64 v98, v98, v55, s[20:21]
	v_cndmask_b32_e64 v98, v98, v57, s[22:23]
	v_cndmask_b32_e64 v98, v98, v59, s[24:25]
	v_cmp_eq_u32_e64 s[26:27], 13, v0
	v_cmp_eq_u32_e64 s[28:29], 14, v0
	v_cmp_eq_u32_e64 s[30:31], 15, v0
	v_cndmask_b32_e64 v98, v98, v61, s[26:27]
	v_cndmask_b32_e64 v98, v98, v63, s[28:29]
	v_cndmask_b32_e64 v99, v98, v65, s[30:31]
	v_cndmask_b32_e32 v98, v34, v36, vcc
	v_cndmask_b32_e64 v98, v98, v38, s[4:5]
	v_cndmask_b32_e64 v98, v98, v40, s[6:7]
	;; [unrolled: 1-line block ×10, first 2 shown]
	ds_read_b64 v[100:101], v103
	v_cndmask_b32_e64 v98, v98, v58, s[24:25]
	v_cndmask_b32_e64 v98, v98, v60, s[26:27]
	;; [unrolled: 1-line block ×4, first 2 shown]
	s_waitcnt lgkmcnt(0)
	v_mul_f64 v[98:99], v[98:99], v[100:101]
	s_cbranch_execz .LBB79_165
	s_branch .LBB79_166
.LBB79_164:
                                        ; implicit-def: $vgpr98_vgpr99
.LBB79_165:
	ds_read_b64 v[98:99], v103
.LBB79_166:
	s_and_saveexec_b64 s[6:7], s[0:1]
	s_cbranch_execz .LBB79_176
; %bb.167:
	v_add_u32_e32 v100, -5, v0
	v_add_u32_e32 v101, -4, v0
	v_cmp_lt_u32_e32 vcc, 6, v100
	v_mov_b32_e32 v100, 4
	s_and_saveexec_b64 s[0:1], vcc
	s_cbranch_execz .LBB79_171
; %bb.168:
	v_and_b32_e32 v100, -8, v101
	v_sub_u32_e32 v102, 0, v100
	s_mov_b64 s[4:5], 5
	s_movk_i32 s10, 0xa0
	s_mov_b64 s[8:9], 0
.LBB79_169:                             ; =>This Inner Loop Header: Depth=1
	s_lshl_b32 s11, s4, 1
	s_add_i32 s12, s11, -1
	s_add_i32 s13, s11, -2
	s_set_gpr_idx_on s12, gpr_idx(SRC0)
	v_mov_b32_e32 v121, v34
	s_set_gpr_idx_off
	v_mov_b32_e32 v100, s10
	s_set_gpr_idx_on s13, gpr_idx(SRC0)
	v_mov_b32_e32 v120, v34
	s_set_gpr_idx_off
	ds_read_b128 v[104:107], v100
	ds_read_b128 v[108:111], v100 offset:16
	ds_read_b128 v[112:115], v100 offset:32
	ds_read_b128 v[116:119], v100 offset:48
	s_set_gpr_idx_on s11, gpr_idx(SRC0)
	v_mov_b32_e32 v123, v35
	s_add_i32 s14, s11, 3
	v_mov_b32_e32 v122, v34
	s_set_gpr_idx_off
	s_add_i32 s15, s11, 2
	s_set_gpr_idx_on s14, gpr_idx(SRC0)
	v_mov_b32_e32 v125, v34
	s_set_gpr_idx_off
	s_add_i32 s16, s11, 5
	s_set_gpr_idx_on s15, gpr_idx(SRC0)
	v_mov_b32_e32 v124, v34
	s_set_gpr_idx_off
	s_add_i32 s17, s11, 4
	s_waitcnt lgkmcnt(3)
	v_fmac_f64_e32 v[98:99], v[120:121], v[104:105]
	s_set_gpr_idx_on s16, gpr_idx(SRC0)
	v_mov_b32_e32 v105, v34
	s_set_gpr_idx_off
	s_add_i32 s18, s11, 7
	v_fmac_f64_e32 v[98:99], v[122:123], v[106:107]
	s_set_gpr_idx_on s17, gpr_idx(SRC0)
	v_mov_b32_e32 v104, v34
	s_set_gpr_idx_off
	s_add_i32 s19, s11, 6
	s_waitcnt lgkmcnt(2)
	v_fmac_f64_e32 v[98:99], v[124:125], v[108:109]
	s_set_gpr_idx_on s18, gpr_idx(SRC0)
	v_mov_b32_e32 v107, v34
	s_set_gpr_idx_off
	s_add_i32 s20, s11, 9
	v_fmac_f64_e32 v[98:99], v[104:105], v[110:111]
	s_set_gpr_idx_on s19, gpr_idx(SRC0)
	v_mov_b32_e32 v106, v34
	s_set_gpr_idx_off
	s_add_i32 s21, s11, 8
	s_waitcnt lgkmcnt(1)
	v_fmac_f64_e32 v[98:99], v[106:107], v[112:113]
	s_set_gpr_idx_on s20, gpr_idx(SRC0)
	v_mov_b32_e32 v105, v34
	s_set_gpr_idx_off
	s_add_i32 s22, s11, 11
	s_set_gpr_idx_on s21, gpr_idx(SRC0)
	v_mov_b32_e32 v104, v34
	s_set_gpr_idx_off
	s_add_i32 s23, s11, 10
	s_add_i32 s24, s11, 13
	;; [unrolled: 1-line block ×3, first 2 shown]
	v_fmac_f64_e32 v[98:99], v[104:105], v[114:115]
	s_set_gpr_idx_on s22, gpr_idx(SRC0)
	v_mov_b32_e32 v105, v34
	s_set_gpr_idx_off
	s_add_u32 s4, s4, 8
	s_set_gpr_idx_on s23, gpr_idx(SRC0)
	v_mov_b32_e32 v104, v34
	s_set_gpr_idx_off
	v_add_u32_e32 v100, s4, v102
	s_waitcnt lgkmcnt(0)
	v_fmac_f64_e32 v[98:99], v[104:105], v[116:117]
	s_set_gpr_idx_on s24, gpr_idx(SRC0)
	v_mov_b32_e32 v105, v34
	s_set_gpr_idx_off
	s_addc_u32 s5, s5, 0
	s_add_i32 s10, s10, 64
	s_add_i32 s12, s4, -1
	v_cmp_eq_u32_e32 vcc, 5, v100
	s_set_gpr_idx_on s25, gpr_idx(SRC0)
	v_mov_b32_e32 v104, v34
	s_set_gpr_idx_off
	v_mov_b32_e32 v100, s12
	s_or_b64 s[8:9], vcc, s[8:9]
	v_fmac_f64_e32 v[98:99], v[104:105], v[118:119]
	s_andn2_b64 exec, exec, s[8:9]
	s_cbranch_execnz .LBB79_169
; %bb.170:
	s_or_b64 exec, exec, s[8:9]
.LBB79_171:
	s_or_b64 exec, exec, s[0:1]
	v_and_b32_e32 v102, 7, v101
	v_cmp_ne_u32_e32 vcc, 0, v102
	s_and_saveexec_b64 s[8:9], vcc
	s_cbranch_execz .LBB79_175
; %bb.172:
	v_mov_b32_e32 v101, 0x80
	v_lshl_add_u32 v104, v100, 3, v101
	v_mov_b32_e32 v101, 0
	s_mov_b64 s[10:11], 0
.LBB79_173:                             ; =>This Inner Loop Header: Depth=1
	v_cmp_eq_u32_e32 vcc, 1, v100
	v_add_u32_e32 v102, -1, v102
	v_cmp_eq_u32_e64 s[0:1], 2, v100
	v_cndmask_b32_e32 v105, v35, v37, vcc
	v_cndmask_b32_e32 v108, v34, v36, vcc
	v_cndmask_b32_e64 v105, v105, v39, s[0:1]
	v_cmp_eq_u32_e32 vcc, 0, v102
	v_cmp_eq_u32_e64 s[4:5], 3, v100
	v_cndmask_b32_e64 v108, v108, v38, s[0:1]
	s_or_b64 s[10:11], vcc, s[10:11]
	v_cndmask_b32_e64 v105, v105, v41, s[4:5]
	v_cmp_eq_u32_e32 vcc, 4, v100
	v_cndmask_b32_e64 v108, v108, v40, s[4:5]
	v_cmp_eq_u32_e64 s[0:1], 5, v100
	v_cndmask_b32_e32 v105, v105, v43, vcc
	v_cndmask_b32_e32 v108, v108, v42, vcc
	v_cndmask_b32_e64 v105, v105, v45, s[0:1]
	v_cmp_eq_u32_e32 vcc, 6, v100
	v_cndmask_b32_e64 v108, v108, v44, s[0:1]
	v_cmp_eq_u32_e64 s[0:1], 7, v100
	v_cndmask_b32_e32 v105, v105, v47, vcc
	v_cndmask_b32_e32 v108, v108, v46, vcc
	;; [unrolled: 6-line block ×4, first 2 shown]
	v_cndmask_b32_e64 v105, v105, v57, s[0:1]
	v_cmp_eq_u32_e32 vcc, 12, v100
	ds_read_b64 v[106:107], v104
	v_cndmask_b32_e64 v108, v108, v56, s[0:1]
	v_cndmask_b32_e32 v105, v105, v59, vcc
	v_cmp_eq_u32_e64 s[0:1], 13, v100
	v_cndmask_b32_e32 v108, v108, v58, vcc
	v_cmp_eq_u32_e32 vcc, 14, v100
	v_cndmask_b32_e64 v105, v105, v61, s[0:1]
	v_cmp_eq_u32_e64 s[4:5], 15, v100
	v_cndmask_b32_e32 v105, v105, v63, vcc
	v_cndmask_b32_e64 v108, v108, v60, s[0:1]
	v_cndmask_b32_e64 v109, v105, v65, s[4:5]
	v_cndmask_b32_e32 v105, v108, v62, vcc
	v_cndmask_b32_e64 v108, v105, v64, s[4:5]
	v_add_u32_e32 v104, 8, v104
	v_lshl_add_u64 v[100:101], v[100:101], 0, 1
	s_waitcnt lgkmcnt(0)
	v_fmac_f64_e32 v[98:99], v[108:109], v[106:107]
	s_andn2_b64 exec, exec, s[10:11]
	s_cbranch_execnz .LBB79_173
; %bb.174:
	s_or_b64 exec, exec, s[10:11]
.LBB79_175:
	s_or_b64 exec, exec, s[8:9]
.LBB79_176:
	s_or_b64 exec, exec, s[6:7]
	v_mov_b32_e32 v40, 0
	ds_read_b64 v[40:41], v40 offset:24
	s_waitcnt lgkmcnt(0)
	v_mul_f64 v[40:41], v[98:99], v[40:41]
.LBB79_177:
	s_or_b64 exec, exec, s[36:37]
	v_cmp_lt_u32_e64 s[0:1], 2, v0
	ds_write_b64 v103, v[38:39]
	s_waitcnt lgkmcnt(0)
	; wave barrier
	s_and_saveexec_b64 s[36:37], s[0:1]
	s_cbranch_execz .LBB79_193
; %bb.178:
	s_andn2_b64 vcc, exec, s[34:35]
	s_cbranch_vccnz .LBB79_180
; %bb.179:
	v_cmp_eq_u32_e32 vcc, 1, v0
	v_cmp_eq_u32_e64 s[4:5], 2, v0
	v_cmp_eq_u32_e64 s[6:7], 3, v0
	v_cndmask_b32_e32 v98, v35, v37, vcc
	v_cndmask_b32_e64 v98, v98, v39, s[4:5]
	v_cndmask_b32_e64 v98, v98, v41, s[6:7]
	v_cmp_eq_u32_e64 s[8:9], 4, v0
	v_cmp_eq_u32_e64 s[10:11], 5, v0
	v_cmp_eq_u32_e64 s[12:13], 6, v0
	v_cndmask_b32_e64 v98, v98, v43, s[8:9]
	v_cndmask_b32_e64 v98, v98, v45, s[10:11]
	v_cndmask_b32_e64 v98, v98, v47, s[12:13]
	v_cmp_eq_u32_e64 s[14:15], 7, v0
	v_cmp_eq_u32_e64 s[16:17], 8, v0
	v_cmp_eq_u32_e64 s[18:19], 9, v0
	v_cndmask_b32_e64 v98, v98, v49, s[14:15]
	;; [unrolled: 6-line block ×4, first 2 shown]
	v_cndmask_b32_e64 v98, v98, v63, s[28:29]
	v_cndmask_b32_e64 v99, v98, v65, s[30:31]
	v_cndmask_b32_e32 v98, v34, v36, vcc
	v_cndmask_b32_e64 v98, v98, v38, s[4:5]
	v_cndmask_b32_e64 v98, v98, v40, s[6:7]
	;; [unrolled: 1-line block ×10, first 2 shown]
	ds_read_b64 v[100:101], v103
	v_cndmask_b32_e64 v98, v98, v58, s[24:25]
	v_cndmask_b32_e64 v98, v98, v60, s[26:27]
	;; [unrolled: 1-line block ×4, first 2 shown]
	s_waitcnt lgkmcnt(0)
	v_mul_f64 v[98:99], v[98:99], v[100:101]
	s_cbranch_execz .LBB79_181
	s_branch .LBB79_182
.LBB79_180:
                                        ; implicit-def: $vgpr98_vgpr99
.LBB79_181:
	ds_read_b64 v[98:99], v103
.LBB79_182:
	s_and_saveexec_b64 s[6:7], s[2:3]
	s_cbranch_execz .LBB79_192
; %bb.183:
	v_add_u32_e32 v100, -4, v0
	v_add_u32_e32 v101, -3, v0
	v_cmp_lt_u32_e32 vcc, 6, v100
	v_mov_b32_e32 v100, 3
	s_and_saveexec_b64 s[2:3], vcc
	s_cbranch_execz .LBB79_187
; %bb.184:
	v_and_b32_e32 v100, -8, v101
	v_sub_u32_e32 v102, 0, v100
	s_mov_b64 s[4:5], 10
	s_movk_i32 s10, 0x98
	s_mov_b64 s[8:9], 0
.LBB79_185:                             ; =>This Inner Loop Header: Depth=1
	s_lshl_b32 s11, s4, 1
	s_add_i32 s12, s11, -13
	v_mov_b32_e32 v118, s10
	s_add_i32 s13, s11, -14
	s_set_gpr_idx_on s12, gpr_idx(SRC0)
	v_mov_b32_e32 v113, v34
	s_set_gpr_idx_off
	s_add_i32 s14, s11, -11
	s_set_gpr_idx_on s13, gpr_idx(SRC0)
	v_mov_b32_e32 v112, v34
	s_set_gpr_idx_off
	ds_read2_b64 v[104:107], v118 offset1:1
	s_add_i32 s15, s11, -12
	s_set_gpr_idx_on s14, gpr_idx(SRC0)
	v_mov_b32_e32 v115, v34
	s_set_gpr_idx_off
	s_add_i32 s16, s11, -9
	s_set_gpr_idx_on s15, gpr_idx(SRC0)
	v_mov_b32_e32 v114, v34
	s_set_gpr_idx_off
	;; [unrolled: 4-line block ×4, first 2 shown]
	ds_read2_b64 v[108:111], v118 offset0:2 offset1:3
	s_add_i32 s19, s11, -8
	s_waitcnt lgkmcnt(1)
	v_fmac_f64_e32 v[98:99], v[112:113], v[104:105]
	s_set_gpr_idx_on s18, gpr_idx(SRC0)
	v_mov_b32_e32 v113, v34
	s_set_gpr_idx_off
	s_add_i32 s20, s11, -5
	v_fmac_f64_e32 v[98:99], v[114:115], v[106:107]
	s_set_gpr_idx_on s19, gpr_idx(SRC0)
	v_mov_b32_e32 v112, v34
	s_set_gpr_idx_off
	s_add_i32 s21, s11, -6
	s_set_gpr_idx_on s20, gpr_idx(SRC0)
	v_mov_b32_e32 v115, v34
	s_set_gpr_idx_off
	s_add_i32 s22, s11, -3
	;; [unrolled: 4-line block ×3, first 2 shown]
	ds_read2_b64 v[104:107], v118 offset0:4 offset1:5
	s_waitcnt lgkmcnt(1)
	v_fmac_f64_e32 v[98:99], v[116:117], v[108:109]
	s_set_gpr_idx_on s22, gpr_idx(SRC0)
	v_mov_b32_e32 v117, v34
	s_set_gpr_idx_off
	s_add_i32 s24, s11, -1
	v_fmac_f64_e32 v[98:99], v[112:113], v[110:111]
	s_set_gpr_idx_on s23, gpr_idx(SRC0)
	v_mov_b32_e32 v116, v34
	s_set_gpr_idx_off
	s_add_i32 s25, s11, -2
	s_set_gpr_idx_on s24, gpr_idx(SRC0)
	v_mov_b32_e32 v113, v34
	s_set_gpr_idx_off
	s_set_gpr_idx_on s25, gpr_idx(SRC0)
	v_mov_b32_e32 v112, v34
	s_set_gpr_idx_off
	ds_read2_b64 v[108:111], v118 offset0:6 offset1:7
	s_add_u32 s4, s4, 8
	s_waitcnt lgkmcnt(1)
	v_fmac_f64_e32 v[98:99], v[114:115], v[104:105]
	s_set_gpr_idx_on s11, gpr_idx(SRC0)
	v_mov_b32_e32 v105, v35
	s_set_gpr_idx_off
	v_add_u32_e32 v100, s4, v102
	v_fmac_f64_e32 v[98:99], v[116:117], v[106:107]
	s_set_gpr_idx_on s11, gpr_idx(SRC0)
	v_mov_b32_e32 v104, v34
	s_set_gpr_idx_off
	s_addc_u32 s5, s5, 0
	s_add_i32 s10, s10, 64
	s_add_i32 s12, s4, -7
	v_cmp_eq_u32_e32 vcc, 10, v100
	s_waitcnt lgkmcnt(0)
	v_fmac_f64_e32 v[98:99], v[112:113], v[108:109]
	v_mov_b32_e32 v100, s12
	s_or_b64 s[8:9], vcc, s[8:9]
	v_fmac_f64_e32 v[98:99], v[104:105], v[110:111]
	s_andn2_b64 exec, exec, s[8:9]
	s_cbranch_execnz .LBB79_185
; %bb.186:
	s_or_b64 exec, exec, s[8:9]
.LBB79_187:
	s_or_b64 exec, exec, s[2:3]
	v_and_b32_e32 v102, 7, v101
	v_cmp_ne_u32_e32 vcc, 0, v102
	s_and_saveexec_b64 s[8:9], vcc
	s_cbranch_execz .LBB79_191
; %bb.188:
	v_mov_b32_e32 v101, 0x80
	v_lshl_add_u32 v104, v100, 3, v101
	v_mov_b32_e32 v101, 0
	s_mov_b64 s[10:11], 0
.LBB79_189:                             ; =>This Inner Loop Header: Depth=1
	v_cmp_eq_u32_e32 vcc, 1, v100
	v_add_u32_e32 v102, -1, v102
	v_cmp_eq_u32_e64 s[2:3], 2, v100
	v_cndmask_b32_e32 v105, v35, v37, vcc
	v_cndmask_b32_e32 v108, v34, v36, vcc
	v_cndmask_b32_e64 v105, v105, v39, s[2:3]
	v_cmp_eq_u32_e32 vcc, 0, v102
	v_cmp_eq_u32_e64 s[4:5], 3, v100
	v_cndmask_b32_e64 v108, v108, v38, s[2:3]
	s_or_b64 s[10:11], vcc, s[10:11]
	v_cndmask_b32_e64 v105, v105, v41, s[4:5]
	v_cmp_eq_u32_e32 vcc, 4, v100
	v_cndmask_b32_e64 v108, v108, v40, s[4:5]
	v_cmp_eq_u32_e64 s[2:3], 5, v100
	v_cndmask_b32_e32 v105, v105, v43, vcc
	v_cndmask_b32_e32 v108, v108, v42, vcc
	v_cndmask_b32_e64 v105, v105, v45, s[2:3]
	v_cmp_eq_u32_e32 vcc, 6, v100
	v_cndmask_b32_e64 v108, v108, v44, s[2:3]
	v_cmp_eq_u32_e64 s[2:3], 7, v100
	v_cndmask_b32_e32 v105, v105, v47, vcc
	v_cndmask_b32_e32 v108, v108, v46, vcc
	;; [unrolled: 6-line block ×4, first 2 shown]
	v_cndmask_b32_e64 v105, v105, v57, s[2:3]
	v_cmp_eq_u32_e32 vcc, 12, v100
	ds_read_b64 v[106:107], v104
	v_cndmask_b32_e64 v108, v108, v56, s[2:3]
	v_cndmask_b32_e32 v105, v105, v59, vcc
	v_cmp_eq_u32_e64 s[2:3], 13, v100
	v_cndmask_b32_e32 v108, v108, v58, vcc
	v_cmp_eq_u32_e32 vcc, 14, v100
	v_cndmask_b32_e64 v105, v105, v61, s[2:3]
	v_cmp_eq_u32_e64 s[4:5], 15, v100
	v_cndmask_b32_e32 v105, v105, v63, vcc
	v_cndmask_b32_e64 v108, v108, v60, s[2:3]
	v_cndmask_b32_e64 v109, v105, v65, s[4:5]
	v_cndmask_b32_e32 v105, v108, v62, vcc
	v_cndmask_b32_e64 v108, v105, v64, s[4:5]
	v_add_u32_e32 v104, 8, v104
	v_lshl_add_u64 v[100:101], v[100:101], 0, 1
	s_waitcnt lgkmcnt(0)
	v_fmac_f64_e32 v[98:99], v[108:109], v[106:107]
	s_andn2_b64 exec, exec, s[10:11]
	s_cbranch_execnz .LBB79_189
; %bb.190:
	s_or_b64 exec, exec, s[10:11]
.LBB79_191:
	s_or_b64 exec, exec, s[8:9]
.LBB79_192:
	s_or_b64 exec, exec, s[6:7]
	v_mov_b32_e32 v38, 0
	ds_read_b64 v[38:39], v38 offset:16
	s_waitcnt lgkmcnt(0)
	v_mul_f64 v[38:39], v[98:99], v[38:39]
.LBB79_193:
	s_or_b64 exec, exec, s[36:37]
	v_cmp_lt_u32_e64 s[2:3], 1, v0
	ds_write_b64 v103, v[36:37]
	s_waitcnt lgkmcnt(0)
	; wave barrier
	s_and_saveexec_b64 s[36:37], s[2:3]
	s_cbranch_execz .LBB79_209
; %bb.194:
	s_andn2_b64 vcc, exec, s[34:35]
	s_cbranch_vccnz .LBB79_196
; %bb.195:
	v_cmp_eq_u32_e32 vcc, 1, v0
	v_cmp_eq_u32_e64 s[4:5], 2, v0
	v_cmp_eq_u32_e64 s[6:7], 3, v0
	v_cndmask_b32_e32 v98, v35, v37, vcc
	v_cndmask_b32_e64 v98, v98, v39, s[4:5]
	v_cndmask_b32_e64 v98, v98, v41, s[6:7]
	v_cmp_eq_u32_e64 s[8:9], 4, v0
	v_cmp_eq_u32_e64 s[10:11], 5, v0
	v_cmp_eq_u32_e64 s[12:13], 6, v0
	v_cndmask_b32_e64 v98, v98, v43, s[8:9]
	v_cndmask_b32_e64 v98, v98, v45, s[10:11]
	v_cndmask_b32_e64 v98, v98, v47, s[12:13]
	v_cmp_eq_u32_e64 s[14:15], 7, v0
	v_cmp_eq_u32_e64 s[16:17], 8, v0
	v_cmp_eq_u32_e64 s[18:19], 9, v0
	v_cndmask_b32_e64 v98, v98, v49, s[14:15]
	;; [unrolled: 6-line block ×4, first 2 shown]
	v_cndmask_b32_e64 v98, v98, v63, s[28:29]
	v_cndmask_b32_e64 v99, v98, v65, s[30:31]
	v_cndmask_b32_e32 v98, v34, v36, vcc
	v_cndmask_b32_e64 v98, v98, v38, s[4:5]
	v_cndmask_b32_e64 v98, v98, v40, s[6:7]
	v_cndmask_b32_e64 v98, v98, v42, s[8:9]
	v_cndmask_b32_e64 v98, v98, v44, s[10:11]
	v_cndmask_b32_e64 v98, v98, v46, s[12:13]
	v_cndmask_b32_e64 v98, v98, v48, s[14:15]
	v_cndmask_b32_e64 v98, v98, v50, s[16:17]
	v_cndmask_b32_e64 v98, v98, v52, s[18:19]
	v_cndmask_b32_e64 v98, v98, v54, s[20:21]
	v_cndmask_b32_e64 v98, v98, v56, s[22:23]
	ds_read_b64 v[100:101], v103
	v_cndmask_b32_e64 v98, v98, v58, s[24:25]
	v_cndmask_b32_e64 v98, v98, v60, s[26:27]
	;; [unrolled: 1-line block ×4, first 2 shown]
	s_waitcnt lgkmcnt(0)
	v_mul_f64 v[98:99], v[98:99], v[100:101]
	s_cbranch_execz .LBB79_197
	s_branch .LBB79_198
.LBB79_196:
                                        ; implicit-def: $vgpr98_vgpr99
.LBB79_197:
	ds_read_b64 v[98:99], v103
.LBB79_198:
	s_and_saveexec_b64 s[6:7], s[0:1]
	s_cbranch_execz .LBB79_208
; %bb.199:
	v_add_u32_e32 v100, -3, v0
	v_add_u32_e32 v101, -2, v0
	v_cmp_lt_u32_e32 vcc, 6, v100
	v_mov_b32_e32 v100, 2
	s_and_saveexec_b64 s[0:1], vcc
	s_cbranch_execz .LBB79_203
; %bb.200:
	v_and_b32_e32 v100, -8, v101
	v_sub_u32_e32 v102, 0, v100
	s_mov_b64 s[4:5], 9
	s_movk_i32 s10, 0x90
	s_mov_b64 s[8:9], 0
.LBB79_201:                             ; =>This Inner Loop Header: Depth=1
	s_lshl_b32 s11, s4, 1
	s_add_i32 s12, s11, -13
	s_add_i32 s13, s11, -14
	s_set_gpr_idx_on s12, gpr_idx(SRC0)
	v_mov_b32_e32 v121, v34
	s_set_gpr_idx_off
	v_mov_b32_e32 v100, s10
	s_add_i32 s14, s11, -11
	s_set_gpr_idx_on s13, gpr_idx(SRC0)
	v_mov_b32_e32 v120, v34
	s_set_gpr_idx_off
	s_add_i32 s15, s11, -12
	ds_read_b128 v[104:107], v100
	ds_read_b128 v[108:111], v100 offset:16
	ds_read_b128 v[112:115], v100 offset:32
	;; [unrolled: 1-line block ×3, first 2 shown]
	s_set_gpr_idx_on s14, gpr_idx(SRC0)
	v_mov_b32_e32 v123, v34
	s_set_gpr_idx_off
	s_add_i32 s16, s11, -9
	s_set_gpr_idx_on s15, gpr_idx(SRC0)
	v_mov_b32_e32 v122, v34
	s_set_gpr_idx_off
	s_add_i32 s17, s11, -10
	;; [unrolled: 4-line block ×4, first 2 shown]
	s_waitcnt lgkmcnt(3)
	v_fmac_f64_e32 v[98:99], v[120:121], v[104:105]
	s_set_gpr_idx_on s18, gpr_idx(SRC0)
	v_mov_b32_e32 v105, v34
	s_set_gpr_idx_off
	s_add_i32 s20, s11, -5
	v_fmac_f64_e32 v[98:99], v[122:123], v[106:107]
	s_set_gpr_idx_on s19, gpr_idx(SRC0)
	v_mov_b32_e32 v104, v34
	s_set_gpr_idx_off
	s_add_i32 s21, s11, -6
	s_waitcnt lgkmcnt(2)
	v_fmac_f64_e32 v[98:99], v[124:125], v[108:109]
	s_set_gpr_idx_on s20, gpr_idx(SRC0)
	v_mov_b32_e32 v107, v34
	s_set_gpr_idx_off
	s_add_i32 s22, s11, -3
	v_fmac_f64_e32 v[98:99], v[104:105], v[110:111]
	s_set_gpr_idx_on s21, gpr_idx(SRC0)
	v_mov_b32_e32 v106, v34
	s_set_gpr_idx_off
	s_add_i32 s23, s11, -4
	s_waitcnt lgkmcnt(1)
	v_fmac_f64_e32 v[98:99], v[106:107], v[112:113]
	s_set_gpr_idx_on s22, gpr_idx(SRC0)
	v_mov_b32_e32 v105, v34
	s_set_gpr_idx_off
	s_add_i32 s24, s11, -1
	s_set_gpr_idx_on s23, gpr_idx(SRC0)
	v_mov_b32_e32 v104, v34
	s_set_gpr_idx_off
	s_add_i32 s25, s11, -2
	v_fmac_f64_e32 v[98:99], v[104:105], v[114:115]
	s_set_gpr_idx_on s24, gpr_idx(SRC0)
	v_mov_b32_e32 v105, v34
	s_set_gpr_idx_off
	s_add_u32 s4, s4, 8
	s_set_gpr_idx_on s25, gpr_idx(SRC0)
	v_mov_b32_e32 v104, v34
	s_set_gpr_idx_off
	v_add_u32_e32 v100, s4, v102
	s_waitcnt lgkmcnt(0)
	v_fmac_f64_e32 v[98:99], v[104:105], v[116:117]
	s_set_gpr_idx_on s11, gpr_idx(SRC0)
	v_mov_b32_e32 v105, v35
	s_set_gpr_idx_off
	s_addc_u32 s5, s5, 0
	s_add_i32 s10, s10, 64
	s_add_i32 s12, s4, -7
	v_cmp_eq_u32_e32 vcc, 9, v100
	s_set_gpr_idx_on s11, gpr_idx(SRC0)
	v_mov_b32_e32 v104, v34
	s_set_gpr_idx_off
	v_mov_b32_e32 v100, s12
	s_or_b64 s[8:9], vcc, s[8:9]
	v_fmac_f64_e32 v[98:99], v[104:105], v[118:119]
	s_andn2_b64 exec, exec, s[8:9]
	s_cbranch_execnz .LBB79_201
; %bb.202:
	s_or_b64 exec, exec, s[8:9]
.LBB79_203:
	s_or_b64 exec, exec, s[0:1]
	v_and_b32_e32 v102, 7, v101
	v_cmp_ne_u32_e32 vcc, 0, v102
	s_and_saveexec_b64 s[8:9], vcc
	s_cbranch_execz .LBB79_207
; %bb.204:
	v_mov_b32_e32 v101, 0x80
	v_lshl_add_u32 v104, v100, 3, v101
	v_mov_b32_e32 v101, 0
	s_mov_b64 s[10:11], 0
.LBB79_205:                             ; =>This Inner Loop Header: Depth=1
	v_cmp_eq_u32_e32 vcc, 1, v100
	v_add_u32_e32 v102, -1, v102
	v_cmp_eq_u32_e64 s[0:1], 2, v100
	v_cndmask_b32_e32 v105, v35, v37, vcc
	v_cndmask_b32_e32 v108, v34, v36, vcc
	v_cndmask_b32_e64 v105, v105, v39, s[0:1]
	v_cmp_eq_u32_e32 vcc, 0, v102
	v_cmp_eq_u32_e64 s[4:5], 3, v100
	v_cndmask_b32_e64 v108, v108, v38, s[0:1]
	s_or_b64 s[10:11], vcc, s[10:11]
	v_cndmask_b32_e64 v105, v105, v41, s[4:5]
	v_cmp_eq_u32_e32 vcc, 4, v100
	v_cndmask_b32_e64 v108, v108, v40, s[4:5]
	v_cmp_eq_u32_e64 s[0:1], 5, v100
	v_cndmask_b32_e32 v105, v105, v43, vcc
	v_cndmask_b32_e32 v108, v108, v42, vcc
	v_cndmask_b32_e64 v105, v105, v45, s[0:1]
	v_cmp_eq_u32_e32 vcc, 6, v100
	v_cndmask_b32_e64 v108, v108, v44, s[0:1]
	v_cmp_eq_u32_e64 s[0:1], 7, v100
	v_cndmask_b32_e32 v105, v105, v47, vcc
	v_cndmask_b32_e32 v108, v108, v46, vcc
	;; [unrolled: 6-line block ×4, first 2 shown]
	v_cndmask_b32_e64 v105, v105, v57, s[0:1]
	v_cmp_eq_u32_e32 vcc, 12, v100
	ds_read_b64 v[106:107], v104
	v_cndmask_b32_e64 v108, v108, v56, s[0:1]
	v_cndmask_b32_e32 v105, v105, v59, vcc
	v_cmp_eq_u32_e64 s[0:1], 13, v100
	v_cndmask_b32_e32 v108, v108, v58, vcc
	v_cmp_eq_u32_e32 vcc, 14, v100
	v_cndmask_b32_e64 v105, v105, v61, s[0:1]
	v_cmp_eq_u32_e64 s[4:5], 15, v100
	v_cndmask_b32_e32 v105, v105, v63, vcc
	v_cndmask_b32_e64 v108, v108, v60, s[0:1]
	v_cndmask_b32_e64 v109, v105, v65, s[4:5]
	v_cndmask_b32_e32 v105, v108, v62, vcc
	v_cndmask_b32_e64 v108, v105, v64, s[4:5]
	v_add_u32_e32 v104, 8, v104
	v_lshl_add_u64 v[100:101], v[100:101], 0, 1
	s_waitcnt lgkmcnt(0)
	v_fmac_f64_e32 v[98:99], v[108:109], v[106:107]
	s_andn2_b64 exec, exec, s[10:11]
	s_cbranch_execnz .LBB79_205
; %bb.206:
	s_or_b64 exec, exec, s[10:11]
.LBB79_207:
	s_or_b64 exec, exec, s[8:9]
.LBB79_208:
	s_or_b64 exec, exec, s[6:7]
	v_mov_b32_e32 v36, 0
	ds_read_b64 v[36:37], v36 offset:8
	s_waitcnt lgkmcnt(0)
	v_mul_f64 v[36:37], v[98:99], v[36:37]
.LBB79_209:
	s_or_b64 exec, exec, s[36:37]
	v_cmp_ne_u32_e32 vcc, 0, v0
	ds_write_b64 v103, v[34:35]
	s_waitcnt lgkmcnt(0)
	; wave barrier
	s_and_saveexec_b64 s[30:31], vcc
	s_cbranch_execz .LBB79_225
; %bb.210:
	s_andn2_b64 vcc, exec, s[34:35]
	s_cbranch_vccnz .LBB79_212
; %bb.211:
	v_cmp_eq_u32_e32 vcc, 1, v0
	v_cmp_eq_u32_e64 s[0:1], 2, v0
	v_cmp_eq_u32_e64 s[4:5], 3, v0
	v_cndmask_b32_e32 v98, v35, v37, vcc
	v_cndmask_b32_e64 v98, v98, v39, s[0:1]
	v_cndmask_b32_e64 v98, v98, v41, s[4:5]
	v_cmp_eq_u32_e64 s[6:7], 4, v0
	v_cmp_eq_u32_e64 s[8:9], 5, v0
	v_cmp_eq_u32_e64 s[10:11], 6, v0
	v_cndmask_b32_e64 v98, v98, v43, s[6:7]
	v_cndmask_b32_e64 v98, v98, v45, s[8:9]
	v_cndmask_b32_e64 v98, v98, v47, s[10:11]
	v_cmp_eq_u32_e64 s[12:13], 7, v0
	v_cmp_eq_u32_e64 s[14:15], 8, v0
	v_cmp_eq_u32_e64 s[16:17], 9, v0
	v_cndmask_b32_e64 v98, v98, v49, s[12:13]
	;; [unrolled: 6-line block ×4, first 2 shown]
	v_cndmask_b32_e64 v98, v98, v63, s[26:27]
	v_cndmask_b32_e64 v99, v98, v65, s[28:29]
	v_cndmask_b32_e32 v98, v34, v36, vcc
	v_cndmask_b32_e64 v98, v98, v38, s[0:1]
	v_cndmask_b32_e64 v98, v98, v40, s[4:5]
	;; [unrolled: 1-line block ×10, first 2 shown]
	ds_read_b64 v[100:101], v103
	v_cndmask_b32_e64 v98, v98, v58, s[22:23]
	v_cndmask_b32_e64 v98, v98, v60, s[24:25]
	;; [unrolled: 1-line block ×4, first 2 shown]
	s_waitcnt lgkmcnt(0)
	v_mul_f64 v[98:99], v[98:99], v[100:101]
	s_cbranch_execz .LBB79_213
	s_branch .LBB79_214
.LBB79_212:
                                        ; implicit-def: $vgpr98_vgpr99
.LBB79_213:
	ds_read_b64 v[98:99], v103
.LBB79_214:
	s_and_saveexec_b64 s[4:5], s[2:3]
	s_cbranch_execz .LBB79_224
; %bb.215:
	v_add_u32_e32 v100, -2, v0
	v_add_u32_e32 v101, -1, v0
	v_cmp_lt_u32_e32 vcc, 6, v100
	v_mov_b32_e32 v100, 1
	s_and_saveexec_b64 s[0:1], vcc
	s_cbranch_execz .LBB79_219
; %bb.216:
	v_and_b32_e32 v100, -8, v101
	v_sub_u32_e32 v102, 0, v100
	s_mov_b64 s[2:3], 8
	s_movk_i32 s8, 0x88
	s_mov_b64 s[6:7], 0
.LBB79_217:                             ; =>This Inner Loop Header: Depth=1
	s_lshl_b32 s9, s2, 1
	s_add_i32 s10, s9, -13
	v_mov_b32_e32 v118, s8
	s_add_i32 s11, s9, -14
	s_set_gpr_idx_on s10, gpr_idx(SRC0)
	v_mov_b32_e32 v113, v34
	s_set_gpr_idx_off
	s_add_i32 s12, s9, -11
	s_set_gpr_idx_on s11, gpr_idx(SRC0)
	v_mov_b32_e32 v112, v34
	s_set_gpr_idx_off
	ds_read2_b64 v[104:107], v118 offset1:1
	s_add_i32 s13, s9, -12
	s_set_gpr_idx_on s12, gpr_idx(SRC0)
	v_mov_b32_e32 v115, v34
	s_set_gpr_idx_off
	s_add_i32 s14, s9, -9
	s_set_gpr_idx_on s13, gpr_idx(SRC0)
	v_mov_b32_e32 v114, v34
	s_set_gpr_idx_off
	;; [unrolled: 4-line block ×4, first 2 shown]
	ds_read2_b64 v[108:111], v118 offset0:2 offset1:3
	s_add_i32 s17, s9, -8
	s_waitcnt lgkmcnt(1)
	v_fmac_f64_e32 v[98:99], v[112:113], v[104:105]
	s_set_gpr_idx_on s16, gpr_idx(SRC0)
	v_mov_b32_e32 v113, v34
	s_set_gpr_idx_off
	s_add_i32 s18, s9, -5
	v_fmac_f64_e32 v[98:99], v[114:115], v[106:107]
	s_set_gpr_idx_on s17, gpr_idx(SRC0)
	v_mov_b32_e32 v112, v34
	s_set_gpr_idx_off
	s_add_i32 s19, s9, -6
	s_set_gpr_idx_on s18, gpr_idx(SRC0)
	v_mov_b32_e32 v115, v34
	s_set_gpr_idx_off
	s_add_i32 s20, s9, -3
	;; [unrolled: 4-line block ×3, first 2 shown]
	ds_read2_b64 v[104:107], v118 offset0:4 offset1:5
	s_waitcnt lgkmcnt(1)
	v_fmac_f64_e32 v[98:99], v[116:117], v[108:109]
	s_set_gpr_idx_on s20, gpr_idx(SRC0)
	v_mov_b32_e32 v117, v34
	s_set_gpr_idx_off
	s_add_i32 s22, s9, -1
	v_fmac_f64_e32 v[98:99], v[112:113], v[110:111]
	s_set_gpr_idx_on s21, gpr_idx(SRC0)
	v_mov_b32_e32 v116, v34
	s_set_gpr_idx_off
	s_add_i32 s23, s9, -2
	s_set_gpr_idx_on s22, gpr_idx(SRC0)
	v_mov_b32_e32 v113, v34
	s_set_gpr_idx_off
	s_set_gpr_idx_on s23, gpr_idx(SRC0)
	v_mov_b32_e32 v112, v34
	s_set_gpr_idx_off
	ds_read2_b64 v[108:111], v118 offset0:6 offset1:7
	s_add_u32 s2, s2, 8
	s_waitcnt lgkmcnt(1)
	v_fmac_f64_e32 v[98:99], v[114:115], v[104:105]
	s_set_gpr_idx_on s9, gpr_idx(SRC0)
	v_mov_b32_e32 v105, v35
	s_set_gpr_idx_off
	v_add_u32_e32 v100, s2, v102
	v_fmac_f64_e32 v[98:99], v[116:117], v[106:107]
	s_set_gpr_idx_on s9, gpr_idx(SRC0)
	v_mov_b32_e32 v104, v34
	s_set_gpr_idx_off
	s_addc_u32 s3, s3, 0
	s_add_i32 s8, s8, 64
	s_add_i32 s10, s2, -7
	v_cmp_eq_u32_e32 vcc, 8, v100
	s_waitcnt lgkmcnt(0)
	v_fmac_f64_e32 v[98:99], v[112:113], v[108:109]
	v_mov_b32_e32 v100, s10
	s_or_b64 s[6:7], vcc, s[6:7]
	v_fmac_f64_e32 v[98:99], v[104:105], v[110:111]
	s_andn2_b64 exec, exec, s[6:7]
	s_cbranch_execnz .LBB79_217
; %bb.218:
	s_or_b64 exec, exec, s[6:7]
.LBB79_219:
	s_or_b64 exec, exec, s[0:1]
	v_and_b32_e32 v102, 7, v101
	v_cmp_ne_u32_e32 vcc, 0, v102
	s_and_saveexec_b64 s[6:7], vcc
	s_cbranch_execz .LBB79_223
; %bb.220:
	v_mov_b32_e32 v101, 0x80
	v_lshl_add_u32 v104, v100, 3, v101
	v_mov_b32_e32 v101, 0
	s_mov_b64 s[8:9], 0
.LBB79_221:                             ; =>This Inner Loop Header: Depth=1
	v_cmp_eq_u32_e32 vcc, 1, v100
	v_add_u32_e32 v102, -1, v102
	v_cmp_eq_u32_e64 s[0:1], 2, v100
	v_cndmask_b32_e32 v105, v35, v37, vcc
	v_cndmask_b32_e32 v108, v34, v36, vcc
	v_cndmask_b32_e64 v105, v105, v39, s[0:1]
	v_cmp_eq_u32_e32 vcc, 0, v102
	v_cmp_eq_u32_e64 s[2:3], 3, v100
	v_cndmask_b32_e64 v108, v108, v38, s[0:1]
	s_or_b64 s[8:9], vcc, s[8:9]
	v_cndmask_b32_e64 v105, v105, v41, s[2:3]
	v_cmp_eq_u32_e32 vcc, 4, v100
	v_cndmask_b32_e64 v108, v108, v40, s[2:3]
	v_cmp_eq_u32_e64 s[0:1], 5, v100
	v_cndmask_b32_e32 v105, v105, v43, vcc
	v_cndmask_b32_e32 v108, v108, v42, vcc
	v_cndmask_b32_e64 v105, v105, v45, s[0:1]
	v_cmp_eq_u32_e32 vcc, 6, v100
	v_cndmask_b32_e64 v108, v108, v44, s[0:1]
	v_cmp_eq_u32_e64 s[0:1], 7, v100
	v_cndmask_b32_e32 v105, v105, v47, vcc
	v_cndmask_b32_e32 v108, v108, v46, vcc
	;; [unrolled: 6-line block ×4, first 2 shown]
	v_cndmask_b32_e64 v105, v105, v57, s[0:1]
	v_cmp_eq_u32_e32 vcc, 12, v100
	ds_read_b64 v[106:107], v104
	v_cndmask_b32_e64 v108, v108, v56, s[0:1]
	v_cndmask_b32_e32 v105, v105, v59, vcc
	v_cmp_eq_u32_e64 s[0:1], 13, v100
	v_cndmask_b32_e32 v108, v108, v58, vcc
	v_cmp_eq_u32_e32 vcc, 14, v100
	v_cndmask_b32_e64 v105, v105, v61, s[0:1]
	v_cmp_eq_u32_e64 s[2:3], 15, v100
	v_cndmask_b32_e32 v105, v105, v63, vcc
	v_cndmask_b32_e64 v108, v108, v60, s[0:1]
	v_cndmask_b32_e64 v109, v105, v65, s[2:3]
	v_cndmask_b32_e32 v105, v108, v62, vcc
	v_cndmask_b32_e64 v108, v105, v64, s[2:3]
	v_add_u32_e32 v104, 8, v104
	v_lshl_add_u64 v[100:101], v[100:101], 0, 1
	s_waitcnt lgkmcnt(0)
	v_fmac_f64_e32 v[98:99], v[108:109], v[106:107]
	s_andn2_b64 exec, exec, s[8:9]
	s_cbranch_execnz .LBB79_221
; %bb.222:
	s_or_b64 exec, exec, s[8:9]
.LBB79_223:
	s_or_b64 exec, exec, s[6:7]
.LBB79_224:
	s_or_b64 exec, exec, s[4:5]
	v_mov_b32_e32 v34, 0
	ds_read_b64 v[34:35], v34
	s_waitcnt lgkmcnt(0)
	v_mul_f64 v[34:35], v[98:99], v[34:35]
.LBB79_225:
	s_or_b64 exec, exec, s[30:31]
	s_branch .LBB79_379
.LBB79_226:
	v_cmp_eq_u32_e64 s[2:3], 0, v0
	s_waitcnt vmcnt(0) lgkmcnt(0)
	ds_write_b64 v103, v[4:5]
	s_waitcnt lgkmcnt(0)
	; wave barrier
	s_and_saveexec_b64 s[30:31], s[2:3]
	s_cbranch_execz .LBB79_232
; %bb.227:
	s_and_b64 vcc, exec, s[34:35]
	s_cbranch_vccz .LBB79_229
; %bb.228:
	v_cmp_eq_u32_e32 vcc, 1, v0
	v_cmp_eq_u32_e64 s[0:1], 2, v0
	v_cmp_eq_u32_e64 s[4:5], 3, v0
	v_cndmask_b32_e32 v5, v3, v5, vcc
	v_cndmask_b32_e32 v4, v2, v4, vcc
	v_cndmask_b32_e64 v5, v5, v7, s[0:1]
	v_cndmask_b32_e64 v4, v4, v6, s[0:1]
	v_cndmask_b32_e64 v5, v5, v9, s[4:5]
	v_cmp_eq_u32_e64 s[6:7], 4, v0
	v_cndmask_b32_e64 v4, v4, v8, s[4:5]
	v_cmp_eq_u32_e64 s[8:9], 5, v0
	v_cndmask_b32_e64 v5, v5, v11, s[6:7]
	v_cndmask_b32_e64 v4, v4, v10, s[6:7]
	v_cndmask_b32_e64 v5, v5, v13, s[8:9]
	v_cmp_eq_u32_e64 s[10:11], 6, v0
	v_cndmask_b32_e64 v4, v4, v12, s[8:9]
	v_cmp_eq_u32_e64 s[12:13], 7, v0
	;; [unrolled: 6-line block ×4, first 2 shown]
	v_cndmask_b32_e64 v5, v5, v23, s[18:19]
	v_cndmask_b32_e64 v4, v4, v22, s[18:19]
	;; [unrolled: 1-line block ×3, first 2 shown]
	v_cmp_eq_u32_e64 s[22:23], 12, v0
	v_cndmask_b32_e64 v4, v4, v24, s[20:21]
	ds_read_b64 v[34:35], v103
	v_cndmask_b32_e64 v5, v5, v27, s[22:23]
	v_cmp_eq_u32_e64 s[24:25], 13, v0
	v_cndmask_b32_e64 v4, v4, v26, s[22:23]
	v_cmp_eq_u32_e64 s[26:27], 14, v0
	v_cndmask_b32_e64 v5, v5, v29, s[24:25]
	v_cndmask_b32_e64 v4, v4, v28, s[24:25]
	;; [unrolled: 1-line block ×3, first 2 shown]
	v_cmp_eq_u32_e64 s[28:29], 15, v0
	v_cndmask_b32_e64 v4, v4, v30, s[26:27]
	s_nop 0
	v_cndmask_b32_e64 v5, v5, v33, s[28:29]
	v_cndmask_b32_e64 v4, v4, v32, s[28:29]
	s_waitcnt lgkmcnt(0)
	v_mul_f64 v[4:5], v[4:5], v[34:35]
	s_cbranch_execz .LBB79_230
	s_branch .LBB79_231
.LBB79_229:
                                        ; implicit-def: $vgpr4_vgpr5
.LBB79_230:
	ds_read_b64 v[4:5], v103
.LBB79_231:
	v_mov_b32_e32 v34, 0
	ds_read_b64 v[34:35], v34 offset:8
	s_waitcnt lgkmcnt(0)
	v_mul_f64 v[4:5], v[4:5], v[34:35]
.LBB79_232:
	s_or_b64 exec, exec, s[30:31]
	v_cndmask_b32_e64 v34, 0, 1, s[34:35]
	v_cmp_gt_u32_e32 vcc, 2, v0
	v_cmp_ne_u32_e64 s[0:1], 1, v34
	ds_write_b64 v103, v[6:7]
	s_waitcnt lgkmcnt(0)
	; wave barrier
	s_and_saveexec_b64 s[34:35], vcc
	s_cbranch_execz .LBB79_238
; %bb.233:
	s_and_b64 vcc, exec, s[0:1]
	s_cbranch_vccnz .LBB79_235
; %bb.234:
	v_cmp_eq_u32_e32 vcc, 1, v0
	v_cmp_eq_u32_e64 s[4:5], 2, v0
	v_cmp_eq_u32_e64 s[6:7], 3, v0
	v_cndmask_b32_e32 v34, v3, v5, vcc
	v_cndmask_b32_e64 v7, v34, v7, s[4:5]
	v_cndmask_b32_e32 v34, v2, v4, vcc
	v_cndmask_b32_e64 v6, v34, v6, s[4:5]
	v_cndmask_b32_e64 v7, v7, v9, s[6:7]
	v_cmp_eq_u32_e64 s[8:9], 4, v0
	v_cndmask_b32_e64 v6, v6, v8, s[6:7]
	v_cmp_eq_u32_e64 s[10:11], 5, v0
	v_cndmask_b32_e64 v7, v7, v11, s[8:9]
	v_cndmask_b32_e64 v6, v6, v10, s[8:9]
	v_cndmask_b32_e64 v7, v7, v13, s[10:11]
	v_cmp_eq_u32_e64 s[12:13], 6, v0
	v_cndmask_b32_e64 v6, v6, v12, s[10:11]
	v_cmp_eq_u32_e64 s[14:15], 7, v0
	v_cndmask_b32_e64 v7, v7, v15, s[12:13]
	;; [unrolled: 6-line block ×4, first 2 shown]
	v_cndmask_b32_e64 v6, v6, v22, s[20:21]
	v_cndmask_b32_e64 v7, v7, v25, s[22:23]
	v_cmp_eq_u32_e64 s[24:25], 12, v0
	v_cndmask_b32_e64 v6, v6, v24, s[22:23]
	ds_read_b64 v[34:35], v103
	v_cndmask_b32_e64 v7, v7, v27, s[24:25]
	v_cmp_eq_u32_e64 s[26:27], 13, v0
	v_cndmask_b32_e64 v6, v6, v26, s[24:25]
	v_cmp_eq_u32_e64 s[28:29], 14, v0
	v_cndmask_b32_e64 v7, v7, v29, s[26:27]
	v_cndmask_b32_e64 v6, v6, v28, s[26:27]
	;; [unrolled: 1-line block ×3, first 2 shown]
	v_cmp_eq_u32_e64 s[30:31], 15, v0
	v_cndmask_b32_e64 v6, v6, v30, s[28:29]
	s_nop 0
	v_cndmask_b32_e64 v7, v7, v33, s[30:31]
	v_cndmask_b32_e64 v6, v6, v32, s[30:31]
	s_waitcnt lgkmcnt(0)
	v_mul_f64 v[6:7], v[6:7], v[34:35]
	s_cbranch_execz .LBB79_236
	s_branch .LBB79_237
.LBB79_235:
                                        ; implicit-def: $vgpr6_vgpr7
.LBB79_236:
	ds_read_b64 v[6:7], v103
.LBB79_237:
	v_mov_b32_e32 v34, 0
	ds_read2_b64 v[34:37], v34 offset0:2 offset1:17
	s_waitcnt lgkmcnt(0)
	v_fma_f64 v[36:37], v[4:5], v[36:37], v[6:7]
	v_cndmask_b32_e64 v7, v7, v37, s[2:3]
	v_cndmask_b32_e64 v6, v6, v36, s[2:3]
	v_mul_f64 v[6:7], v[6:7], v[34:35]
.LBB79_238:
	s_or_b64 exec, exec, s[34:35]
	v_add_u32_e32 v38, 1, v0
	v_cmp_gt_u32_e64 s[4:5], 3, v0
	ds_write_b64 v103, v[8:9]
	s_waitcnt lgkmcnt(0)
	; wave barrier
	s_and_saveexec_b64 s[36:37], s[4:5]
	s_cbranch_execz .LBB79_246
; %bb.239:
	s_and_b64 vcc, exec, s[0:1]
	s_cbranch_vccnz .LBB79_241
; %bb.240:
	v_cmp_eq_u32_e32 vcc, 1, v0
	v_cmp_eq_u32_e64 s[6:7], 2, v0
	v_cmp_eq_u32_e64 s[8:9], 3, v0
	v_cndmask_b32_e32 v34, v3, v5, vcc
	v_cndmask_b32_e64 v34, v34, v7, s[6:7]
	v_cndmask_b32_e64 v34, v34, v9, s[8:9]
	v_cmp_eq_u32_e64 s[10:11], 4, v0
	v_cmp_eq_u32_e64 s[12:13], 5, v0
	v_cmp_eq_u32_e64 s[14:15], 6, v0
	v_cndmask_b32_e64 v34, v34, v11, s[10:11]
	v_cndmask_b32_e64 v34, v34, v13, s[12:13]
	v_cndmask_b32_e64 v34, v34, v15, s[14:15]
	v_cmp_eq_u32_e64 s[16:17], 7, v0
	v_cmp_eq_u32_e64 s[18:19], 8, v0
	v_cmp_eq_u32_e64 s[20:21], 9, v0
	v_cndmask_b32_e64 v34, v34, v17, s[16:17]
	;; [unrolled: 6-line block ×4, first 2 shown]
	v_cndmask_b32_e64 v34, v34, v31, s[30:31]
	v_cndmask_b32_e64 v35, v34, v33, s[34:35]
	v_cndmask_b32_e32 v34, v2, v4, vcc
	v_cndmask_b32_e64 v34, v34, v6, s[6:7]
	v_cndmask_b32_e64 v34, v34, v8, s[8:9]
	;; [unrolled: 1-line block ×10, first 2 shown]
	ds_read_b64 v[36:37], v103
	v_cndmask_b32_e64 v34, v34, v26, s[26:27]
	v_cndmask_b32_e64 v34, v34, v28, s[28:29]
	;; [unrolled: 1-line block ×4, first 2 shown]
	s_waitcnt lgkmcnt(0)
	v_mul_f64 v[34:35], v[34:35], v[36:37]
	s_cbranch_execz .LBB79_242
	s_branch .LBB79_243
.LBB79_241:
                                        ; implicit-def: $vgpr34_vgpr35
.LBB79_242:
	ds_read_b64 v[34:35], v103
.LBB79_243:
	v_cmp_ne_u32_e32 vcc, 2, v0
	s_and_saveexec_b64 s[38:39], vcc
	s_cbranch_execz .LBB79_245
; %bb.244:
	v_cmp_eq_u32_e32 vcc, 1, v38
	v_cmp_eq_u32_e64 s[6:7], 2, v38
	v_cmp_eq_u32_e64 s[8:9], 3, v38
	v_cndmask_b32_e32 v36, v3, v5, vcc
	v_cndmask_b32_e64 v36, v36, v7, s[6:7]
	v_cndmask_b32_e64 v9, v36, v9, s[8:9]
	v_cndmask_b32_e32 v36, v2, v4, vcc
	v_cndmask_b32_e64 v36, v36, v6, s[6:7]
	v_cmp_eq_u32_e64 s[10:11], 4, v38
	v_cndmask_b32_e64 v8, v36, v8, s[8:9]
	v_cmp_eq_u32_e64 s[12:13], 5, v38
	v_cndmask_b32_e64 v9, v9, v11, s[10:11]
	v_cndmask_b32_e64 v8, v8, v10, s[10:11]
	v_cndmask_b32_e64 v9, v9, v13, s[12:13]
	v_cmp_eq_u32_e64 s[14:15], 6, v38
	v_cndmask_b32_e64 v8, v8, v12, s[12:13]
	v_cmp_eq_u32_e64 s[16:17], 7, v38
	v_cndmask_b32_e64 v9, v9, v15, s[14:15]
	v_cndmask_b32_e64 v8, v8, v14, s[14:15]
	;; [unrolled: 6-line block ×5, first 2 shown]
	v_mov_b32_e32 v39, 0
	ds_read_b64 v[36:37], v103 offset:8
	ds_read_b64 v[40:41], v39 offset:144
	v_cndmask_b32_e64 v9, v9, v29, s[28:29]
	v_cmp_eq_u32_e64 s[30:31], 14, v38
	v_cndmask_b32_e64 v8, v8, v28, s[28:29]
	v_cmp_eq_u32_e64 s[34:35], 15, v38
	v_cndmask_b32_e64 v9, v9, v31, s[30:31]
	v_cndmask_b32_e64 v8, v8, v30, s[30:31]
	;; [unrolled: 1-line block ×4, first 2 shown]
	s_waitcnt lgkmcnt(1)
	v_fmac_f64_e32 v[34:35], v[8:9], v[36:37]
	s_waitcnt lgkmcnt(0)
	v_fma_f64 v[8:9], v[6:7], v[40:41], v[34:35]
	v_cndmask_b32_e64 v35, v35, v9, s[2:3]
	v_cndmask_b32_e64 v34, v34, v8, s[2:3]
.LBB79_245:
	s_or_b64 exec, exec, s[38:39]
	v_mov_b32_e32 v8, 0
	ds_read_b64 v[8:9], v8 offset:24
	s_waitcnt lgkmcnt(0)
	v_mul_f64 v[8:9], v[34:35], v[8:9]
.LBB79_246:
	s_or_b64 exec, exec, s[36:37]
	v_cmp_gt_u32_e32 vcc, 4, v0
	ds_write_b64 v103, v[10:11]
	s_waitcnt lgkmcnt(0)
	; wave barrier
	s_and_saveexec_b64 s[36:37], vcc
	s_cbranch_execz .LBB79_256
; %bb.247:
	s_and_b64 vcc, exec, s[0:1]
	s_cbranch_vccnz .LBB79_249
; %bb.248:
	v_cmp_eq_u32_e32 vcc, 1, v0
	v_cmp_eq_u32_e64 s[6:7], 2, v0
	v_cmp_eq_u32_e64 s[8:9], 3, v0
	v_cndmask_b32_e32 v34, v3, v5, vcc
	v_cndmask_b32_e64 v34, v34, v7, s[6:7]
	v_cndmask_b32_e64 v34, v34, v9, s[8:9]
	v_cmp_eq_u32_e64 s[10:11], 4, v0
	v_cmp_eq_u32_e64 s[12:13], 5, v0
	v_cmp_eq_u32_e64 s[14:15], 6, v0
	v_cndmask_b32_e64 v34, v34, v11, s[10:11]
	v_cndmask_b32_e64 v34, v34, v13, s[12:13]
	v_cndmask_b32_e64 v34, v34, v15, s[14:15]
	v_cmp_eq_u32_e64 s[16:17], 7, v0
	v_cmp_eq_u32_e64 s[18:19], 8, v0
	v_cmp_eq_u32_e64 s[20:21], 9, v0
	v_cndmask_b32_e64 v34, v34, v17, s[16:17]
	;; [unrolled: 6-line block ×4, first 2 shown]
	v_cndmask_b32_e64 v34, v34, v31, s[30:31]
	v_cndmask_b32_e64 v35, v34, v33, s[34:35]
	v_cndmask_b32_e32 v34, v2, v4, vcc
	v_cndmask_b32_e64 v34, v34, v6, s[6:7]
	v_cndmask_b32_e64 v34, v34, v8, s[8:9]
	;; [unrolled: 1-line block ×10, first 2 shown]
	ds_read_b64 v[36:37], v103
	v_cndmask_b32_e64 v34, v34, v26, s[26:27]
	v_cndmask_b32_e64 v34, v34, v28, s[28:29]
	v_cndmask_b32_e64 v34, v34, v30, s[30:31]
	v_cndmask_b32_e64 v34, v34, v32, s[34:35]
	s_waitcnt lgkmcnt(0)
	v_mul_f64 v[34:35], v[34:35], v[36:37]
	s_cbranch_execz .LBB79_250
	s_branch .LBB79_251
.LBB79_249:
                                        ; implicit-def: $vgpr34_vgpr35
.LBB79_250:
	ds_read_b64 v[34:35], v103
.LBB79_251:
	v_cmp_ne_u32_e32 vcc, 3, v0
	s_and_saveexec_b64 s[10:11], vcc
	s_cbranch_execz .LBB79_255
; %bb.252:
	v_mov_b32_e32 v36, 0x88
	v_lshl_add_u32 v39, v0, 3, v36
	s_mov_b64 s[12:13], 0
	v_mov_b64_e32 v[36:37], v[0:1]
.LBB79_253:                             ; =>This Inner Loop Header: Depth=1
	v_lshl_add_u64 v[36:37], v[36:37], 0, 1
	v_cmp_eq_u32_e32 vcc, 1, v36
	v_cmp_eq_u32_e64 s[8:9], 2, v36
	v_cmp_lt_u32_e64 s[6:7], 2, v36
	v_cndmask_b32_e32 v42, v3, v5, vcc
	v_cndmask_b32_e64 v42, v42, v7, s[8:9]
	v_cndmask_b32_e32 v43, v2, v4, vcc
	v_cmp_eq_u32_e32 vcc, 3, v36
	s_or_b64 s[12:13], s[6:7], s[12:13]
	v_cndmask_b32_e64 v43, v43, v6, s[8:9]
	v_cndmask_b32_e32 v42, v42, v9, vcc
	v_cmp_eq_u32_e64 s[6:7], 4, v36
	v_cndmask_b32_e32 v43, v43, v8, vcc
	v_cmp_eq_u32_e32 vcc, 5, v36
	v_cndmask_b32_e64 v42, v42, v11, s[6:7]
	v_cndmask_b32_e64 v43, v43, v10, s[6:7]
	v_cndmask_b32_e32 v42, v42, v13, vcc
	v_cmp_eq_u32_e64 s[6:7], 6, v36
	v_cndmask_b32_e32 v43, v43, v12, vcc
	v_cmp_eq_u32_e32 vcc, 7, v36
	v_cndmask_b32_e64 v42, v42, v15, s[6:7]
	;; [unrolled: 6-line block ×4, first 2 shown]
	v_cndmask_b32_e64 v43, v43, v22, s[6:7]
	v_cndmask_b32_e32 v42, v42, v25, vcc
	v_cmp_eq_u32_e64 s[6:7], 12, v36
	ds_read_b64 v[40:41], v39
	v_cndmask_b32_e32 v43, v43, v24, vcc
	v_cndmask_b32_e64 v42, v42, v27, s[6:7]
	v_cmp_eq_u32_e32 vcc, 13, v36
	v_cndmask_b32_e64 v43, v43, v26, s[6:7]
	v_cmp_eq_u32_e64 s[6:7], 14, v36
	v_cndmask_b32_e32 v42, v42, v29, vcc
	v_cndmask_b32_e32 v44, v43, v28, vcc
	v_cndmask_b32_e64 v42, v42, v31, s[6:7]
	v_cmp_eq_u32_e32 vcc, 15, v36
	v_add_u32_e32 v39, 8, v39
	s_nop 0
	v_cndmask_b32_e32 v43, v42, v33, vcc
	v_cndmask_b32_e64 v42, v44, v30, s[6:7]
	v_cndmask_b32_e32 v42, v42, v32, vcc
	s_waitcnt lgkmcnt(0)
	v_fmac_f64_e32 v[34:35], v[42:43], v[40:41]
	s_andn2_b64 exec, exec, s[12:13]
	s_cbranch_execnz .LBB79_253
; %bb.254:
	s_or_b64 exec, exec, s[12:13]
.LBB79_255:
	s_or_b64 exec, exec, s[10:11]
	v_mov_b32_e32 v10, 0
	ds_read_b64 v[10:11], v10 offset:32
	s_waitcnt lgkmcnt(0)
	v_mul_f64 v[10:11], v[34:35], v[10:11]
.LBB79_256:
	s_or_b64 exec, exec, s[36:37]
	v_cmp_gt_u32_e64 s[6:7], 5, v0
	ds_write_b64 v103, v[12:13]
	s_waitcnt lgkmcnt(0)
	; wave barrier
	s_and_saveexec_b64 s[38:39], s[6:7]
	s_cbranch_execz .LBB79_266
; %bb.257:
	s_and_b64 vcc, exec, s[0:1]
	s_cbranch_vccnz .LBB79_259
; %bb.258:
	v_cmp_eq_u32_e32 vcc, 1, v0
	v_cmp_eq_u32_e64 s[8:9], 2, v0
	v_cmp_eq_u32_e64 s[10:11], 3, v0
	v_cndmask_b32_e32 v34, v3, v5, vcc
	v_cndmask_b32_e64 v34, v34, v7, s[8:9]
	v_cndmask_b32_e64 v34, v34, v9, s[10:11]
	v_cmp_eq_u32_e64 s[12:13], 4, v0
	v_cmp_eq_u32_e64 s[14:15], 5, v0
	v_cmp_eq_u32_e64 s[16:17], 6, v0
	v_cndmask_b32_e64 v34, v34, v11, s[12:13]
	v_cndmask_b32_e64 v34, v34, v13, s[14:15]
	v_cndmask_b32_e64 v34, v34, v15, s[16:17]
	v_cmp_eq_u32_e64 s[18:19], 7, v0
	v_cmp_eq_u32_e64 s[20:21], 8, v0
	v_cmp_eq_u32_e64 s[22:23], 9, v0
	v_cndmask_b32_e64 v34, v34, v17, s[18:19]
	;; [unrolled: 6-line block ×4, first 2 shown]
	v_cndmask_b32_e64 v34, v34, v31, s[34:35]
	v_cndmask_b32_e64 v35, v34, v33, s[36:37]
	v_cndmask_b32_e32 v34, v2, v4, vcc
	v_cndmask_b32_e64 v34, v34, v6, s[8:9]
	v_cndmask_b32_e64 v34, v34, v8, s[10:11]
	;; [unrolled: 1-line block ×10, first 2 shown]
	ds_read_b64 v[36:37], v103
	v_cndmask_b32_e64 v34, v34, v26, s[28:29]
	v_cndmask_b32_e64 v34, v34, v28, s[30:31]
	;; [unrolled: 1-line block ×4, first 2 shown]
	s_waitcnt lgkmcnt(0)
	v_mul_f64 v[34:35], v[34:35], v[36:37]
	s_cbranch_execz .LBB79_260
	s_branch .LBB79_261
.LBB79_259:
                                        ; implicit-def: $vgpr34_vgpr35
.LBB79_260:
	ds_read_b64 v[34:35], v103
.LBB79_261:
	v_cmp_ne_u32_e32 vcc, 4, v0
	s_and_saveexec_b64 s[12:13], vcc
	s_cbranch_execz .LBB79_265
; %bb.262:
	v_mov_b32_e32 v36, 0x88
	v_lshl_add_u32 v39, v0, 3, v36
	s_mov_b64 s[14:15], 0
	v_mov_b64_e32 v[36:37], v[0:1]
.LBB79_263:                             ; =>This Inner Loop Header: Depth=1
	v_lshl_add_u64 v[36:37], v[36:37], 0, 1
	v_cmp_eq_u32_e32 vcc, 1, v36
	v_cmp_eq_u32_e64 s[10:11], 2, v36
	v_cmp_lt_u32_e64 s[8:9], 3, v36
	v_cndmask_b32_e32 v42, v3, v5, vcc
	v_cndmask_b32_e64 v42, v42, v7, s[10:11]
	v_cndmask_b32_e32 v43, v2, v4, vcc
	v_cmp_eq_u32_e32 vcc, 3, v36
	s_or_b64 s[14:15], s[8:9], s[14:15]
	v_cndmask_b32_e64 v43, v43, v6, s[10:11]
	v_cndmask_b32_e32 v42, v42, v9, vcc
	v_cmp_eq_u32_e64 s[8:9], 4, v36
	v_cndmask_b32_e32 v43, v43, v8, vcc
	v_cmp_eq_u32_e32 vcc, 5, v36
	v_cndmask_b32_e64 v42, v42, v11, s[8:9]
	v_cndmask_b32_e64 v43, v43, v10, s[8:9]
	v_cndmask_b32_e32 v42, v42, v13, vcc
	v_cmp_eq_u32_e64 s[8:9], 6, v36
	v_cndmask_b32_e32 v43, v43, v12, vcc
	v_cmp_eq_u32_e32 vcc, 7, v36
	v_cndmask_b32_e64 v42, v42, v15, s[8:9]
	;; [unrolled: 6-line block ×4, first 2 shown]
	v_cndmask_b32_e64 v43, v43, v22, s[8:9]
	v_cndmask_b32_e32 v42, v42, v25, vcc
	v_cmp_eq_u32_e64 s[8:9], 12, v36
	ds_read_b64 v[40:41], v39
	v_cndmask_b32_e32 v43, v43, v24, vcc
	v_cndmask_b32_e64 v42, v42, v27, s[8:9]
	v_cmp_eq_u32_e32 vcc, 13, v36
	v_cndmask_b32_e64 v43, v43, v26, s[8:9]
	v_cmp_eq_u32_e64 s[8:9], 14, v36
	v_cndmask_b32_e32 v42, v42, v29, vcc
	v_cndmask_b32_e32 v44, v43, v28, vcc
	v_cndmask_b32_e64 v42, v42, v31, s[8:9]
	v_cmp_eq_u32_e32 vcc, 15, v36
	v_add_u32_e32 v39, 8, v39
	s_nop 0
	v_cndmask_b32_e32 v43, v42, v33, vcc
	v_cndmask_b32_e64 v42, v44, v30, s[8:9]
	v_cndmask_b32_e32 v42, v42, v32, vcc
	s_waitcnt lgkmcnt(0)
	v_fmac_f64_e32 v[34:35], v[42:43], v[40:41]
	s_andn2_b64 exec, exec, s[14:15]
	s_cbranch_execnz .LBB79_263
; %bb.264:
	s_or_b64 exec, exec, s[14:15]
.LBB79_265:
	s_or_b64 exec, exec, s[12:13]
	v_mov_b32_e32 v12, 0
	ds_read_b64 v[12:13], v12 offset:40
	s_waitcnt lgkmcnt(0)
	v_mul_f64 v[12:13], v[34:35], v[12:13]
.LBB79_266:
	s_or_b64 exec, exec, s[38:39]
	v_cmp_gt_u32_e32 vcc, 6, v0
	ds_write_b64 v103, v[14:15]
	s_waitcnt lgkmcnt(0)
	; wave barrier
	s_and_saveexec_b64 s[38:39], vcc
	s_cbranch_execz .LBB79_276
; %bb.267:
	s_and_b64 vcc, exec, s[0:1]
	s_cbranch_vccnz .LBB79_269
; %bb.268:
	v_cmp_eq_u32_e32 vcc, 1, v0
	v_cmp_eq_u32_e64 s[8:9], 2, v0
	v_cmp_eq_u32_e64 s[10:11], 3, v0
	v_cndmask_b32_e32 v34, v3, v5, vcc
	v_cndmask_b32_e64 v34, v34, v7, s[8:9]
	v_cndmask_b32_e64 v34, v34, v9, s[10:11]
	v_cmp_eq_u32_e64 s[12:13], 4, v0
	v_cmp_eq_u32_e64 s[14:15], 5, v0
	v_cmp_eq_u32_e64 s[16:17], 6, v0
	v_cndmask_b32_e64 v34, v34, v11, s[12:13]
	v_cndmask_b32_e64 v34, v34, v13, s[14:15]
	v_cndmask_b32_e64 v34, v34, v15, s[16:17]
	v_cmp_eq_u32_e64 s[18:19], 7, v0
	v_cmp_eq_u32_e64 s[20:21], 8, v0
	v_cmp_eq_u32_e64 s[22:23], 9, v0
	v_cndmask_b32_e64 v34, v34, v17, s[18:19]
	;; [unrolled: 6-line block ×4, first 2 shown]
	v_cndmask_b32_e64 v34, v34, v31, s[34:35]
	v_cndmask_b32_e64 v35, v34, v33, s[36:37]
	v_cndmask_b32_e32 v34, v2, v4, vcc
	v_cndmask_b32_e64 v34, v34, v6, s[8:9]
	v_cndmask_b32_e64 v34, v34, v8, s[10:11]
	;; [unrolled: 1-line block ×10, first 2 shown]
	ds_read_b64 v[36:37], v103
	v_cndmask_b32_e64 v34, v34, v26, s[28:29]
	v_cndmask_b32_e64 v34, v34, v28, s[30:31]
	;; [unrolled: 1-line block ×4, first 2 shown]
	s_waitcnt lgkmcnt(0)
	v_mul_f64 v[34:35], v[34:35], v[36:37]
	s_cbranch_execz .LBB79_270
	s_branch .LBB79_271
.LBB79_269:
                                        ; implicit-def: $vgpr34_vgpr35
.LBB79_270:
	ds_read_b64 v[34:35], v103
.LBB79_271:
	v_cmp_ne_u32_e32 vcc, 5, v0
	s_and_saveexec_b64 s[12:13], vcc
	s_cbranch_execz .LBB79_275
; %bb.272:
	v_mov_b32_e32 v36, 0x88
	v_lshl_add_u32 v39, v0, 3, v36
	s_mov_b64 s[14:15], 0
	v_mov_b64_e32 v[36:37], v[0:1]
.LBB79_273:                             ; =>This Inner Loop Header: Depth=1
	v_lshl_add_u64 v[36:37], v[36:37], 0, 1
	v_cmp_eq_u32_e32 vcc, 1, v36
	v_cmp_eq_u32_e64 s[10:11], 2, v36
	v_cmp_lt_u32_e64 s[8:9], 4, v36
	v_cndmask_b32_e32 v42, v3, v5, vcc
	v_cndmask_b32_e64 v42, v42, v7, s[10:11]
	v_cndmask_b32_e32 v43, v2, v4, vcc
	v_cmp_eq_u32_e32 vcc, 3, v36
	s_or_b64 s[14:15], s[8:9], s[14:15]
	v_cndmask_b32_e64 v43, v43, v6, s[10:11]
	v_cndmask_b32_e32 v42, v42, v9, vcc
	v_cmp_eq_u32_e64 s[8:9], 4, v36
	v_cndmask_b32_e32 v43, v43, v8, vcc
	v_cmp_eq_u32_e32 vcc, 5, v36
	v_cndmask_b32_e64 v42, v42, v11, s[8:9]
	v_cndmask_b32_e64 v43, v43, v10, s[8:9]
	v_cndmask_b32_e32 v42, v42, v13, vcc
	v_cmp_eq_u32_e64 s[8:9], 6, v36
	v_cndmask_b32_e32 v43, v43, v12, vcc
	v_cmp_eq_u32_e32 vcc, 7, v36
	v_cndmask_b32_e64 v42, v42, v15, s[8:9]
	v_cndmask_b32_e64 v43, v43, v14, s[8:9]
	v_cndmask_b32_e32 v42, v42, v17, vcc
	v_cmp_eq_u32_e64 s[8:9], 8, v36
	v_cndmask_b32_e32 v43, v43, v16, vcc
	v_cmp_eq_u32_e32 vcc, 9, v36
	v_cndmask_b32_e64 v42, v42, v19, s[8:9]
	v_cndmask_b32_e64 v43, v43, v18, s[8:9]
	v_cndmask_b32_e32 v42, v42, v21, vcc
	v_cmp_eq_u32_e64 s[8:9], 10, v36
	v_cndmask_b32_e32 v43, v43, v20, vcc
	v_cmp_eq_u32_e32 vcc, 11, v36
	v_cndmask_b32_e64 v42, v42, v23, s[8:9]
	v_cndmask_b32_e64 v43, v43, v22, s[8:9]
	v_cndmask_b32_e32 v42, v42, v25, vcc
	v_cmp_eq_u32_e64 s[8:9], 12, v36
	ds_read_b64 v[40:41], v39
	v_cndmask_b32_e32 v43, v43, v24, vcc
	v_cndmask_b32_e64 v42, v42, v27, s[8:9]
	v_cmp_eq_u32_e32 vcc, 13, v36
	v_cndmask_b32_e64 v43, v43, v26, s[8:9]
	v_cmp_eq_u32_e64 s[8:9], 14, v36
	v_cndmask_b32_e32 v42, v42, v29, vcc
	v_cndmask_b32_e32 v44, v43, v28, vcc
	v_cndmask_b32_e64 v42, v42, v31, s[8:9]
	v_cmp_eq_u32_e32 vcc, 15, v36
	v_add_u32_e32 v39, 8, v39
	s_nop 0
	v_cndmask_b32_e32 v43, v42, v33, vcc
	v_cndmask_b32_e64 v42, v44, v30, s[8:9]
	v_cndmask_b32_e32 v42, v42, v32, vcc
	s_waitcnt lgkmcnt(0)
	v_fmac_f64_e32 v[34:35], v[42:43], v[40:41]
	s_andn2_b64 exec, exec, s[14:15]
	s_cbranch_execnz .LBB79_273
; %bb.274:
	s_or_b64 exec, exec, s[14:15]
.LBB79_275:
	s_or_b64 exec, exec, s[12:13]
	v_mov_b32_e32 v14, 0
	ds_read_b64 v[14:15], v14 offset:48
	s_waitcnt lgkmcnt(0)
	v_mul_f64 v[14:15], v[34:35], v[14:15]
.LBB79_276:
	s_or_b64 exec, exec, s[38:39]
	v_cmp_gt_u32_e64 s[8:9], 7, v0
	ds_write_b64 v103, v[16:17]
	s_waitcnt lgkmcnt(0)
	; wave barrier
	s_and_saveexec_b64 s[40:41], s[8:9]
	s_cbranch_execz .LBB79_286
; %bb.277:
	s_and_b64 vcc, exec, s[0:1]
	s_cbranch_vccnz .LBB79_279
; %bb.278:
	v_cmp_eq_u32_e32 vcc, 1, v0
	v_cmp_eq_u32_e64 s[10:11], 2, v0
	v_cmp_eq_u32_e64 s[12:13], 3, v0
	v_cndmask_b32_e32 v34, v3, v5, vcc
	v_cndmask_b32_e64 v34, v34, v7, s[10:11]
	v_cndmask_b32_e64 v34, v34, v9, s[12:13]
	v_cmp_eq_u32_e64 s[14:15], 4, v0
	v_cmp_eq_u32_e64 s[16:17], 5, v0
	v_cmp_eq_u32_e64 s[18:19], 6, v0
	v_cndmask_b32_e64 v34, v34, v11, s[14:15]
	v_cndmask_b32_e64 v34, v34, v13, s[16:17]
	v_cndmask_b32_e64 v34, v34, v15, s[18:19]
	v_cmp_eq_u32_e64 s[20:21], 7, v0
	v_cmp_eq_u32_e64 s[22:23], 8, v0
	v_cmp_eq_u32_e64 s[24:25], 9, v0
	v_cndmask_b32_e64 v34, v34, v17, s[20:21]
	;; [unrolled: 6-line block ×4, first 2 shown]
	v_cndmask_b32_e64 v34, v34, v31, s[36:37]
	v_cndmask_b32_e64 v35, v34, v33, s[38:39]
	v_cndmask_b32_e32 v34, v2, v4, vcc
	v_cndmask_b32_e64 v34, v34, v6, s[10:11]
	v_cndmask_b32_e64 v34, v34, v8, s[12:13]
	;; [unrolled: 1-line block ×10, first 2 shown]
	ds_read_b64 v[36:37], v103
	v_cndmask_b32_e64 v34, v34, v26, s[30:31]
	v_cndmask_b32_e64 v34, v34, v28, s[34:35]
	;; [unrolled: 1-line block ×4, first 2 shown]
	s_waitcnt lgkmcnt(0)
	v_mul_f64 v[34:35], v[34:35], v[36:37]
	s_cbranch_execz .LBB79_280
	s_branch .LBB79_281
.LBB79_279:
                                        ; implicit-def: $vgpr34_vgpr35
.LBB79_280:
	ds_read_b64 v[34:35], v103
.LBB79_281:
	v_cmp_ne_u32_e32 vcc, 6, v0
	s_and_saveexec_b64 s[14:15], vcc
	s_cbranch_execz .LBB79_285
; %bb.282:
	v_mov_b32_e32 v36, 0x88
	v_lshl_add_u32 v39, v0, 3, v36
	s_mov_b64 s[16:17], 0
	v_mov_b64_e32 v[36:37], v[0:1]
.LBB79_283:                             ; =>This Inner Loop Header: Depth=1
	v_lshl_add_u64 v[36:37], v[36:37], 0, 1
	v_cmp_eq_u32_e32 vcc, 1, v36
	v_cmp_eq_u32_e64 s[12:13], 2, v36
	v_cmp_lt_u32_e64 s[10:11], 5, v36
	v_cndmask_b32_e32 v42, v3, v5, vcc
	v_cndmask_b32_e64 v42, v42, v7, s[12:13]
	v_cndmask_b32_e32 v43, v2, v4, vcc
	v_cmp_eq_u32_e32 vcc, 3, v36
	s_or_b64 s[16:17], s[10:11], s[16:17]
	v_cndmask_b32_e64 v43, v43, v6, s[12:13]
	v_cndmask_b32_e32 v42, v42, v9, vcc
	v_cmp_eq_u32_e64 s[10:11], 4, v36
	v_cndmask_b32_e32 v43, v43, v8, vcc
	v_cmp_eq_u32_e32 vcc, 5, v36
	v_cndmask_b32_e64 v42, v42, v11, s[10:11]
	v_cndmask_b32_e64 v43, v43, v10, s[10:11]
	v_cndmask_b32_e32 v42, v42, v13, vcc
	v_cmp_eq_u32_e64 s[10:11], 6, v36
	v_cndmask_b32_e32 v43, v43, v12, vcc
	v_cmp_eq_u32_e32 vcc, 7, v36
	v_cndmask_b32_e64 v42, v42, v15, s[10:11]
	;; [unrolled: 6-line block ×4, first 2 shown]
	v_cndmask_b32_e64 v43, v43, v22, s[10:11]
	v_cndmask_b32_e32 v42, v42, v25, vcc
	v_cmp_eq_u32_e64 s[10:11], 12, v36
	ds_read_b64 v[40:41], v39
	v_cndmask_b32_e32 v43, v43, v24, vcc
	v_cndmask_b32_e64 v42, v42, v27, s[10:11]
	v_cmp_eq_u32_e32 vcc, 13, v36
	v_cndmask_b32_e64 v43, v43, v26, s[10:11]
	v_cmp_eq_u32_e64 s[10:11], 14, v36
	v_cndmask_b32_e32 v42, v42, v29, vcc
	v_cndmask_b32_e32 v44, v43, v28, vcc
	v_cndmask_b32_e64 v42, v42, v31, s[10:11]
	v_cmp_eq_u32_e32 vcc, 15, v36
	v_add_u32_e32 v39, 8, v39
	s_nop 0
	v_cndmask_b32_e32 v43, v42, v33, vcc
	v_cndmask_b32_e64 v42, v44, v30, s[10:11]
	v_cndmask_b32_e32 v42, v42, v32, vcc
	s_waitcnt lgkmcnt(0)
	v_fmac_f64_e32 v[34:35], v[42:43], v[40:41]
	s_andn2_b64 exec, exec, s[16:17]
	s_cbranch_execnz .LBB79_283
; %bb.284:
	s_or_b64 exec, exec, s[16:17]
.LBB79_285:
	s_or_b64 exec, exec, s[14:15]
	v_mov_b32_e32 v16, 0
	ds_read_b64 v[16:17], v16 offset:56
	s_waitcnt lgkmcnt(0)
	v_mul_f64 v[16:17], v[34:35], v[16:17]
.LBB79_286:
	s_or_b64 exec, exec, s[40:41]
	v_cmp_gt_u32_e32 vcc, 8, v0
	ds_write_b64 v103, v[18:19]
	s_waitcnt lgkmcnt(0)
	; wave barrier
	s_and_saveexec_b64 s[40:41], vcc
	s_cbranch_execz .LBB79_296
; %bb.287:
	s_and_b64 vcc, exec, s[0:1]
	s_cbranch_vccnz .LBB79_289
; %bb.288:
	v_cmp_eq_u32_e32 vcc, 1, v0
	v_cmp_eq_u32_e64 s[10:11], 2, v0
	v_cmp_eq_u32_e64 s[12:13], 3, v0
	v_cndmask_b32_e32 v34, v3, v5, vcc
	v_cndmask_b32_e64 v34, v34, v7, s[10:11]
	v_cndmask_b32_e64 v34, v34, v9, s[12:13]
	v_cmp_eq_u32_e64 s[14:15], 4, v0
	v_cmp_eq_u32_e64 s[16:17], 5, v0
	v_cmp_eq_u32_e64 s[18:19], 6, v0
	v_cndmask_b32_e64 v34, v34, v11, s[14:15]
	v_cndmask_b32_e64 v34, v34, v13, s[16:17]
	v_cndmask_b32_e64 v34, v34, v15, s[18:19]
	v_cmp_eq_u32_e64 s[20:21], 7, v0
	v_cmp_eq_u32_e64 s[22:23], 8, v0
	v_cmp_eq_u32_e64 s[24:25], 9, v0
	v_cndmask_b32_e64 v34, v34, v17, s[20:21]
	;; [unrolled: 6-line block ×4, first 2 shown]
	v_cndmask_b32_e64 v34, v34, v31, s[36:37]
	v_cndmask_b32_e64 v35, v34, v33, s[38:39]
	v_cndmask_b32_e32 v34, v2, v4, vcc
	v_cndmask_b32_e64 v34, v34, v6, s[10:11]
	v_cndmask_b32_e64 v34, v34, v8, s[12:13]
	;; [unrolled: 1-line block ×10, first 2 shown]
	ds_read_b64 v[36:37], v103
	v_cndmask_b32_e64 v34, v34, v26, s[30:31]
	v_cndmask_b32_e64 v34, v34, v28, s[34:35]
	v_cndmask_b32_e64 v34, v34, v30, s[36:37]
	v_cndmask_b32_e64 v34, v34, v32, s[38:39]
	s_waitcnt lgkmcnt(0)
	v_mul_f64 v[34:35], v[34:35], v[36:37]
	s_cbranch_execz .LBB79_290
	s_branch .LBB79_291
.LBB79_289:
                                        ; implicit-def: $vgpr34_vgpr35
.LBB79_290:
	ds_read_b64 v[34:35], v103
.LBB79_291:
	v_cmp_ne_u32_e32 vcc, 7, v0
	s_and_saveexec_b64 s[14:15], vcc
	s_cbranch_execz .LBB79_295
; %bb.292:
	v_mov_b32_e32 v36, 0x88
	v_lshl_add_u32 v39, v0, 3, v36
	s_mov_b64 s[16:17], 0
	v_mov_b64_e32 v[36:37], v[0:1]
.LBB79_293:                             ; =>This Inner Loop Header: Depth=1
	v_lshl_add_u64 v[36:37], v[36:37], 0, 1
	v_cmp_eq_u32_e32 vcc, 1, v36
	v_cmp_eq_u32_e64 s[12:13], 2, v36
	v_cmp_lt_u32_e64 s[10:11], 6, v36
	v_cndmask_b32_e32 v42, v3, v5, vcc
	v_cndmask_b32_e64 v42, v42, v7, s[12:13]
	v_cndmask_b32_e32 v43, v2, v4, vcc
	v_cmp_eq_u32_e32 vcc, 3, v36
	s_or_b64 s[16:17], s[10:11], s[16:17]
	v_cndmask_b32_e64 v43, v43, v6, s[12:13]
	v_cndmask_b32_e32 v42, v42, v9, vcc
	v_cmp_eq_u32_e64 s[10:11], 4, v36
	v_cndmask_b32_e32 v43, v43, v8, vcc
	v_cmp_eq_u32_e32 vcc, 5, v36
	v_cndmask_b32_e64 v42, v42, v11, s[10:11]
	v_cndmask_b32_e64 v43, v43, v10, s[10:11]
	v_cndmask_b32_e32 v42, v42, v13, vcc
	v_cmp_eq_u32_e64 s[10:11], 6, v36
	v_cndmask_b32_e32 v43, v43, v12, vcc
	v_cmp_eq_u32_e32 vcc, 7, v36
	v_cndmask_b32_e64 v42, v42, v15, s[10:11]
	;; [unrolled: 6-line block ×4, first 2 shown]
	v_cndmask_b32_e64 v43, v43, v22, s[10:11]
	v_cndmask_b32_e32 v42, v42, v25, vcc
	v_cmp_eq_u32_e64 s[10:11], 12, v36
	ds_read_b64 v[40:41], v39
	v_cndmask_b32_e32 v43, v43, v24, vcc
	v_cndmask_b32_e64 v42, v42, v27, s[10:11]
	v_cmp_eq_u32_e32 vcc, 13, v36
	v_cndmask_b32_e64 v43, v43, v26, s[10:11]
	v_cmp_eq_u32_e64 s[10:11], 14, v36
	v_cndmask_b32_e32 v42, v42, v29, vcc
	v_cndmask_b32_e32 v44, v43, v28, vcc
	v_cndmask_b32_e64 v42, v42, v31, s[10:11]
	v_cmp_eq_u32_e32 vcc, 15, v36
	v_add_u32_e32 v39, 8, v39
	s_nop 0
	v_cndmask_b32_e32 v43, v42, v33, vcc
	v_cndmask_b32_e64 v42, v44, v30, s[10:11]
	v_cndmask_b32_e32 v42, v42, v32, vcc
	s_waitcnt lgkmcnt(0)
	v_fmac_f64_e32 v[34:35], v[42:43], v[40:41]
	s_andn2_b64 exec, exec, s[16:17]
	s_cbranch_execnz .LBB79_293
; %bb.294:
	s_or_b64 exec, exec, s[16:17]
.LBB79_295:
	s_or_b64 exec, exec, s[14:15]
	v_mov_b32_e32 v18, 0
	ds_read_b64 v[18:19], v18 offset:64
	s_waitcnt lgkmcnt(0)
	v_mul_f64 v[18:19], v[34:35], v[18:19]
.LBB79_296:
	s_or_b64 exec, exec, s[40:41]
	v_cmp_gt_u32_e32 vcc, 9, v0
	ds_write_b64 v103, v[20:21]
	s_waitcnt lgkmcnt(0)
	; wave barrier
	s_and_saveexec_b64 s[40:41], vcc
	s_cbranch_execz .LBB79_318
; %bb.297:
	s_and_b64 vcc, exec, s[0:1]
	s_cbranch_vccnz .LBB79_299
; %bb.298:
	v_cmp_eq_u32_e32 vcc, 1, v0
	v_cmp_eq_u32_e64 s[10:11], 2, v0
	v_cmp_eq_u32_e64 s[12:13], 3, v0
	v_cndmask_b32_e32 v34, v3, v5, vcc
	v_cndmask_b32_e64 v34, v34, v7, s[10:11]
	v_cndmask_b32_e64 v34, v34, v9, s[12:13]
	v_cmp_eq_u32_e64 s[14:15], 4, v0
	v_cmp_eq_u32_e64 s[16:17], 5, v0
	v_cmp_eq_u32_e64 s[18:19], 6, v0
	v_cndmask_b32_e64 v34, v34, v11, s[14:15]
	v_cndmask_b32_e64 v34, v34, v13, s[16:17]
	v_cndmask_b32_e64 v34, v34, v15, s[18:19]
	v_cmp_eq_u32_e64 s[20:21], 7, v0
	v_cmp_eq_u32_e64 s[22:23], 8, v0
	v_cmp_eq_u32_e64 s[24:25], 9, v0
	v_cndmask_b32_e64 v34, v34, v17, s[20:21]
	;; [unrolled: 6-line block ×4, first 2 shown]
	v_cndmask_b32_e64 v34, v34, v31, s[36:37]
	v_cndmask_b32_e64 v35, v34, v33, s[38:39]
	v_cndmask_b32_e32 v34, v2, v4, vcc
	v_cndmask_b32_e64 v34, v34, v6, s[10:11]
	v_cndmask_b32_e64 v34, v34, v8, s[12:13]
	v_cndmask_b32_e64 v34, v34, v10, s[14:15]
	v_cndmask_b32_e64 v34, v34, v12, s[16:17]
	v_cndmask_b32_e64 v34, v34, v14, s[18:19]
	v_cndmask_b32_e64 v34, v34, v16, s[20:21]
	v_cndmask_b32_e64 v34, v34, v18, s[22:23]
	v_cndmask_b32_e64 v34, v34, v20, s[24:25]
	v_cndmask_b32_e64 v34, v34, v22, s[26:27]
	v_cndmask_b32_e64 v34, v34, v24, s[28:29]
	ds_read_b64 v[36:37], v103
	v_cndmask_b32_e64 v34, v34, v26, s[30:31]
	v_cndmask_b32_e64 v34, v34, v28, s[34:35]
	;; [unrolled: 1-line block ×4, first 2 shown]
	s_waitcnt lgkmcnt(0)
	v_mul_f64 v[34:35], v[34:35], v[36:37]
	s_cbranch_execz .LBB79_300
	s_branch .LBB79_301
.LBB79_299:
                                        ; implicit-def: $vgpr34_vgpr35
.LBB79_300:
	ds_read_b64 v[34:35], v103
.LBB79_301:
	v_cmp_ne_u32_e32 vcc, 8, v0
	s_and_saveexec_b64 s[42:43], vcc
	s_cbranch_execz .LBB79_317
; %bb.302:
	v_cmp_eq_u32_e32 vcc, 1, v38
	v_cmp_eq_u32_e64 s[10:11], 2, v38
	v_cmp_eq_u32_e64 s[12:13], 3, v38
	v_cndmask_b32_e32 v36, v3, v5, vcc
	v_cndmask_b32_e64 v36, v36, v7, s[10:11]
	v_cndmask_b32_e64 v36, v36, v9, s[12:13]
	v_cmp_eq_u32_e64 s[14:15], 4, v38
	v_cmp_eq_u32_e64 s[16:17], 5, v38
	v_cmp_eq_u32_e64 s[18:19], 6, v38
	v_cndmask_b32_e64 v36, v36, v11, s[14:15]
	v_cndmask_b32_e64 v36, v36, v13, s[16:17]
	v_cndmask_b32_e64 v36, v36, v15, s[18:19]
	v_cmp_eq_u32_e64 s[20:21], 7, v38
	v_cmp_eq_u32_e64 s[22:23], 8, v38
	v_cmp_eq_u32_e64 s[24:25], 9, v38
	v_cndmask_b32_e64 v36, v36, v17, s[20:21]
	;; [unrolled: 6-line block ×4, first 2 shown]
	v_cndmask_b32_e64 v36, v36, v31, s[36:37]
	v_cndmask_b32_e64 v37, v36, v33, s[38:39]
	v_cndmask_b32_e32 v36, v2, v4, vcc
	v_cndmask_b32_e64 v36, v36, v6, s[10:11]
	v_cndmask_b32_e64 v36, v36, v8, s[12:13]
	v_cndmask_b32_e64 v36, v36, v10, s[14:15]
	v_cndmask_b32_e64 v36, v36, v12, s[16:17]
	v_cndmask_b32_e64 v36, v36, v14, s[18:19]
	v_cndmask_b32_e64 v36, v36, v16, s[20:21]
	v_cndmask_b32_e64 v36, v36, v18, s[22:23]
	v_cndmask_b32_e64 v36, v36, v20, s[24:25]
	v_cndmask_b32_e64 v36, v36, v22, s[26:27]
	v_cndmask_b32_e64 v36, v36, v24, s[28:29]
	ds_read_b64 v[38:39], v103 offset:8
	v_cndmask_b32_e64 v36, v36, v26, s[30:31]
	v_cndmask_b32_e64 v36, v36, v28, s[34:35]
	;; [unrolled: 1-line block ×4, first 2 shown]
	s_waitcnt lgkmcnt(0)
	v_fmac_f64_e32 v[34:35], v[36:37], v[38:39]
	s_and_saveexec_b64 s[38:39], s[8:9]
	s_cbranch_execz .LBB79_316
; %bb.303:
	v_add_u32_e32 v36, 2, v0
	v_cmp_eq_u32_e32 vcc, 1, v36
	v_cmp_eq_u32_e64 s[8:9], 2, v36
	v_cmp_eq_u32_e64 s[10:11], 3, v36
	v_cndmask_b32_e32 v37, v3, v5, vcc
	v_cmp_eq_u32_e64 s[12:13], 4, v36
	v_cmp_eq_u32_e64 s[14:15], 5, v36
	v_cmp_eq_u32_e64 s[16:17], 6, v36
	v_cmp_eq_u32_e64 s[18:19], 7, v36
	v_cmp_eq_u32_e64 s[20:21], 8, v36
	v_cmp_eq_u32_e64 s[22:23], 9, v36
	v_cmp_eq_u32_e64 s[24:25], 10, v36
	v_cmp_eq_u32_e64 s[26:27], 11, v36
	v_cmp_eq_u32_e64 s[28:29], 12, v36
	v_cmp_eq_u32_e64 s[30:31], 13, v36
	v_cmp_eq_u32_e64 s[34:35], 14, v36
	v_cmp_eq_u32_e64 s[36:37], 15, v36
	v_cndmask_b32_e32 v36, v2, v4, vcc
	v_cndmask_b32_e64 v37, v37, v7, s[8:9]
	v_cndmask_b32_e64 v36, v36, v6, s[8:9]
	;; [unrolled: 1-line block ×20, first 2 shown]
	ds_read_b64 v[38:39], v103 offset:16
	v_cndmask_b32_e64 v37, v37, v27, s[28:29]
	v_cndmask_b32_e64 v36, v36, v26, s[28:29]
	;; [unrolled: 1-line block ×8, first 2 shown]
	s_waitcnt lgkmcnt(0)
	v_fmac_f64_e32 v[34:35], v[36:37], v[38:39]
	v_cmp_ne_u32_e32 vcc, 6, v0
	s_and_saveexec_b64 s[44:45], vcc
	s_cbranch_execz .LBB79_315
; %bb.304:
	v_add_u32_e32 v36, 3, v0
	v_cmp_eq_u32_e32 vcc, 1, v36
	v_cmp_eq_u32_e64 s[8:9], 2, v36
	v_cmp_eq_u32_e64 s[10:11], 3, v36
	v_cndmask_b32_e32 v37, v3, v5, vcc
	v_cmp_eq_u32_e64 s[12:13], 4, v36
	v_cmp_eq_u32_e64 s[14:15], 5, v36
	;; [unrolled: 1-line block ×12, first 2 shown]
	v_cndmask_b32_e32 v36, v2, v4, vcc
	v_cndmask_b32_e64 v37, v37, v7, s[8:9]
	v_cndmask_b32_e64 v36, v36, v6, s[8:9]
	;; [unrolled: 1-line block ×20, first 2 shown]
	ds_read_b64 v[38:39], v103 offset:24
	v_cndmask_b32_e64 v37, v37, v27, s[28:29]
	v_cndmask_b32_e64 v36, v36, v26, s[28:29]
	;; [unrolled: 1-line block ×8, first 2 shown]
	s_waitcnt lgkmcnt(0)
	v_fmac_f64_e32 v[34:35], v[36:37], v[38:39]
	s_and_saveexec_b64 s[36:37], s[6:7]
	s_cbranch_execz .LBB79_314
; %bb.305:
	v_add_u32_e32 v36, 4, v0
	v_cmp_eq_u32_e32 vcc, 1, v36
	v_cmp_eq_u32_e64 s[6:7], 2, v36
	v_cmp_eq_u32_e64 s[8:9], 3, v36
	v_cndmask_b32_e32 v37, v3, v5, vcc
	v_cmp_eq_u32_e64 s[10:11], 4, v36
	v_cmp_eq_u32_e64 s[12:13], 5, v36
	;; [unrolled: 1-line block ×12, first 2 shown]
	v_cndmask_b32_e32 v36, v2, v4, vcc
	v_cndmask_b32_e64 v37, v37, v7, s[6:7]
	v_cndmask_b32_e64 v36, v36, v6, s[6:7]
	v_cndmask_b32_e64 v37, v37, v9, s[8:9]
	v_cndmask_b32_e64 v36, v36, v8, s[8:9]
	v_cndmask_b32_e64 v37, v37, v11, s[10:11]
	v_cndmask_b32_e64 v36, v36, v10, s[10:11]
	v_cndmask_b32_e64 v37, v37, v13, s[12:13]
	v_cndmask_b32_e64 v36, v36, v12, s[12:13]
	v_cndmask_b32_e64 v37, v37, v15, s[14:15]
	v_cndmask_b32_e64 v36, v36, v14, s[14:15]
	v_cndmask_b32_e64 v37, v37, v17, s[16:17]
	v_cndmask_b32_e64 v36, v36, v16, s[16:17]
	v_cndmask_b32_e64 v37, v37, v19, s[18:19]
	v_cndmask_b32_e64 v36, v36, v18, s[18:19]
	v_cndmask_b32_e64 v37, v37, v21, s[20:21]
	v_cndmask_b32_e64 v36, v36, v20, s[20:21]
	v_cndmask_b32_e64 v37, v37, v23, s[22:23]
	v_cndmask_b32_e64 v36, v36, v22, s[22:23]
	v_cndmask_b32_e64 v37, v37, v25, s[24:25]
	v_cndmask_b32_e64 v36, v36, v24, s[24:25]
	ds_read_b64 v[38:39], v103 offset:32
	v_cndmask_b32_e64 v37, v37, v27, s[26:27]
	v_cndmask_b32_e64 v36, v36, v26, s[26:27]
	;; [unrolled: 1-line block ×8, first 2 shown]
	s_waitcnt lgkmcnt(0)
	v_fmac_f64_e32 v[34:35], v[36:37], v[38:39]
	v_cmp_ne_u32_e32 vcc, 4, v0
	s_and_saveexec_b64 s[46:47], vcc
	s_cbranch_execz .LBB79_313
; %bb.306:
	v_add_u32_e32 v36, 5, v0
	v_cmp_eq_u32_e32 vcc, 1, v36
	v_cmp_eq_u32_e64 s[6:7], 2, v36
	v_cmp_eq_u32_e64 s[8:9], 3, v36
	v_cndmask_b32_e32 v37, v3, v5, vcc
	v_cmp_eq_u32_e64 s[10:11], 4, v36
	v_cmp_eq_u32_e64 s[12:13], 5, v36
	;; [unrolled: 1-line block ×12, first 2 shown]
	v_cndmask_b32_e32 v36, v2, v4, vcc
	v_cndmask_b32_e64 v37, v37, v7, s[6:7]
	v_cndmask_b32_e64 v36, v36, v6, s[6:7]
	;; [unrolled: 1-line block ×20, first 2 shown]
	ds_read_b64 v[38:39], v103 offset:40
	v_cndmask_b32_e64 v37, v37, v27, s[26:27]
	v_cndmask_b32_e64 v36, v36, v26, s[26:27]
	;; [unrolled: 1-line block ×8, first 2 shown]
	s_waitcnt lgkmcnt(0)
	v_fmac_f64_e32 v[34:35], v[36:37], v[38:39]
	s_and_saveexec_b64 s[34:35], s[4:5]
	s_cbranch_execz .LBB79_312
; %bb.307:
	v_add_u32_e32 v36, 6, v0
	v_cmp_eq_u32_e32 vcc, 1, v36
	v_cmp_eq_u32_e64 s[4:5], 2, v36
	v_cmp_eq_u32_e64 s[6:7], 3, v36
	v_cndmask_b32_e32 v37, v3, v5, vcc
	v_cmp_eq_u32_e64 s[8:9], 4, v36
	v_cmp_eq_u32_e64 s[10:11], 5, v36
	;; [unrolled: 1-line block ×12, first 2 shown]
	v_cndmask_b32_e32 v36, v2, v4, vcc
	v_cndmask_b32_e64 v37, v37, v7, s[4:5]
	v_cndmask_b32_e64 v36, v36, v6, s[4:5]
	;; [unrolled: 1-line block ×20, first 2 shown]
	ds_read_b64 v[38:39], v103 offset:48
	v_cndmask_b32_e64 v37, v37, v27, s[24:25]
	v_cndmask_b32_e64 v36, v36, v26, s[24:25]
	;; [unrolled: 1-line block ×8, first 2 shown]
	s_waitcnt lgkmcnt(0)
	v_fmac_f64_e32 v[34:35], v[36:37], v[38:39]
	v_cmp_ne_u32_e32 vcc, 2, v0
	s_and_saveexec_b64 s[48:49], vcc
	s_cbranch_execz .LBB79_311
; %bb.308:
	v_add_u32_e32 v36, 7, v0
	v_cmp_eq_u32_e32 vcc, 1, v36
	v_cmp_eq_u32_e64 s[4:5], 2, v36
	v_cmp_eq_u32_e64 s[6:7], 3, v36
	v_cndmask_b32_e32 v37, v3, v5, vcc
	v_cmp_eq_u32_e64 s[8:9], 4, v36
	v_cmp_eq_u32_e64 s[10:11], 5, v36
	;; [unrolled: 1-line block ×12, first 2 shown]
	v_cndmask_b32_e32 v36, v2, v4, vcc
	v_cndmask_b32_e64 v37, v37, v7, s[4:5]
	v_cndmask_b32_e64 v36, v36, v6, s[4:5]
	;; [unrolled: 1-line block ×20, first 2 shown]
	ds_read_b64 v[36:37], v103 offset:56
	v_cndmask_b32_e64 v21, v21, v27, s[24:25]
	v_cndmask_b32_e64 v20, v20, v26, s[24:25]
	;; [unrolled: 1-line block ×8, first 2 shown]
	s_waitcnt lgkmcnt(0)
	v_fmac_f64_e32 v[34:35], v[20:21], v[36:37]
	s_and_saveexec_b64 s[4:5], s[2:3]
	s_cbranch_execz .LBB79_310
; %bb.309:
	ds_read_b64 v[20:21], v103 offset:64
	s_waitcnt lgkmcnt(0)
	v_fmac_f64_e32 v[34:35], v[18:19], v[20:21]
.LBB79_310:
	s_or_b64 exec, exec, s[4:5]
.LBB79_311:
	s_or_b64 exec, exec, s[48:49]
.LBB79_312:
	s_or_b64 exec, exec, s[34:35]
.LBB79_313:
	s_or_b64 exec, exec, s[46:47]
.LBB79_314:
	s_or_b64 exec, exec, s[36:37]
.LBB79_315:
	s_or_b64 exec, exec, s[44:45]
.LBB79_316:
	s_or_b64 exec, exec, s[38:39]
.LBB79_317:
	s_or_b64 exec, exec, s[42:43]
	v_mov_b32_e32 v20, 0
	ds_read_b64 v[20:21], v20 offset:72
	s_waitcnt lgkmcnt(0)
	v_mul_f64 v[20:21], v[34:35], v[20:21]
.LBB79_318:
	s_or_b64 exec, exec, s[40:41]
	v_cmp_gt_u32_e32 vcc, 10, v0
	ds_write_b64 v103, v[22:23]
	s_waitcnt lgkmcnt(0)
	; wave barrier
	s_and_saveexec_b64 s[30:31], vcc
	s_cbranch_execz .LBB79_328
; %bb.319:
	s_and_b64 vcc, exec, s[0:1]
	s_cbranch_vccnz .LBB79_321
; %bb.320:
	v_cmp_eq_u32_e32 vcc, 1, v0
	v_cmp_eq_u32_e64 s[2:3], 2, v0
	v_cmp_eq_u32_e64 s[4:5], 3, v0
	v_cndmask_b32_e32 v34, v3, v5, vcc
	v_cndmask_b32_e64 v34, v34, v7, s[2:3]
	v_cndmask_b32_e64 v34, v34, v9, s[4:5]
	v_cmp_eq_u32_e64 s[6:7], 4, v0
	v_cmp_eq_u32_e64 s[8:9], 5, v0
	v_cmp_eq_u32_e64 s[10:11], 6, v0
	v_cndmask_b32_e64 v34, v34, v11, s[6:7]
	v_cndmask_b32_e64 v34, v34, v13, s[8:9]
	v_cndmask_b32_e64 v34, v34, v15, s[10:11]
	v_cmp_eq_u32_e64 s[12:13], 7, v0
	v_cmp_eq_u32_e64 s[14:15], 8, v0
	v_cmp_eq_u32_e64 s[16:17], 9, v0
	v_cndmask_b32_e64 v34, v34, v17, s[12:13]
	;; [unrolled: 6-line block ×4, first 2 shown]
	v_cndmask_b32_e64 v34, v34, v31, s[26:27]
	v_cndmask_b32_e64 v35, v34, v33, s[28:29]
	v_cndmask_b32_e32 v34, v2, v4, vcc
	v_cndmask_b32_e64 v34, v34, v6, s[2:3]
	v_cndmask_b32_e64 v34, v34, v8, s[4:5]
	;; [unrolled: 1-line block ×10, first 2 shown]
	ds_read_b64 v[36:37], v103
	v_cndmask_b32_e64 v34, v34, v26, s[22:23]
	v_cndmask_b32_e64 v34, v34, v28, s[24:25]
	;; [unrolled: 1-line block ×4, first 2 shown]
	s_waitcnt lgkmcnt(0)
	v_mul_f64 v[34:35], v[34:35], v[36:37]
	s_cbranch_execz .LBB79_322
	s_branch .LBB79_323
.LBB79_321:
                                        ; implicit-def: $vgpr34_vgpr35
.LBB79_322:
	ds_read_b64 v[34:35], v103
.LBB79_323:
	v_cmp_ne_u32_e32 vcc, 9, v0
	s_and_saveexec_b64 s[6:7], vcc
	s_cbranch_execz .LBB79_327
; %bb.324:
	v_mov_b32_e32 v36, 0x88
	v_lshl_add_u32 v38, v0, 3, v36
	s_mov_b64 s[8:9], 0
	v_mov_b64_e32 v[36:37], v[0:1]
.LBB79_325:                             ; =>This Inner Loop Header: Depth=1
	v_lshl_add_u64 v[36:37], v[36:37], 0, 1
	v_cmp_eq_u32_e32 vcc, 1, v36
	v_cmp_eq_u32_e64 s[4:5], 2, v36
	v_cmp_lt_u32_e64 s[2:3], 8, v36
	v_cndmask_b32_e32 v39, v3, v5, vcc
	v_cndmask_b32_e64 v39, v39, v7, s[4:5]
	v_cndmask_b32_e32 v42, v2, v4, vcc
	v_cmp_eq_u32_e32 vcc, 3, v36
	s_or_b64 s[8:9], s[2:3], s[8:9]
	v_cndmask_b32_e64 v42, v42, v6, s[4:5]
	v_cndmask_b32_e32 v39, v39, v9, vcc
	v_cmp_eq_u32_e64 s[2:3], 4, v36
	v_cndmask_b32_e32 v42, v42, v8, vcc
	v_cmp_eq_u32_e32 vcc, 5, v36
	v_cndmask_b32_e64 v39, v39, v11, s[2:3]
	v_cndmask_b32_e64 v42, v42, v10, s[2:3]
	v_cndmask_b32_e32 v39, v39, v13, vcc
	v_cmp_eq_u32_e64 s[2:3], 6, v36
	v_cndmask_b32_e32 v42, v42, v12, vcc
	v_cmp_eq_u32_e32 vcc, 7, v36
	v_cndmask_b32_e64 v39, v39, v15, s[2:3]
	;; [unrolled: 6-line block ×4, first 2 shown]
	v_cndmask_b32_e64 v42, v42, v22, s[2:3]
	v_cndmask_b32_e32 v39, v39, v25, vcc
	v_cmp_eq_u32_e64 s[2:3], 12, v36
	ds_read_b64 v[40:41], v38
	v_cndmask_b32_e32 v42, v42, v24, vcc
	v_cndmask_b32_e64 v39, v39, v27, s[2:3]
	v_cmp_eq_u32_e32 vcc, 13, v36
	v_cndmask_b32_e64 v42, v42, v26, s[2:3]
	v_cmp_eq_u32_e64 s[2:3], 14, v36
	v_cndmask_b32_e32 v39, v39, v29, vcc
	v_cndmask_b32_e32 v42, v42, v28, vcc
	v_cndmask_b32_e64 v39, v39, v31, s[2:3]
	v_cmp_eq_u32_e32 vcc, 15, v36
	v_add_u32_e32 v38, 8, v38
	s_nop 0
	v_cndmask_b32_e32 v43, v39, v33, vcc
	v_cndmask_b32_e64 v39, v42, v30, s[2:3]
	v_cndmask_b32_e32 v42, v39, v32, vcc
	s_waitcnt lgkmcnt(0)
	v_fmac_f64_e32 v[34:35], v[42:43], v[40:41]
	s_andn2_b64 exec, exec, s[8:9]
	s_cbranch_execnz .LBB79_325
; %bb.326:
	s_or_b64 exec, exec, s[8:9]
.LBB79_327:
	s_or_b64 exec, exec, s[6:7]
	v_mov_b32_e32 v22, 0
	ds_read_b64 v[22:23], v22 offset:80
	s_waitcnt lgkmcnt(0)
	v_mul_f64 v[22:23], v[34:35], v[22:23]
.LBB79_328:
	s_or_b64 exec, exec, s[30:31]
	v_cmp_gt_u32_e32 vcc, 11, v0
	ds_write_b64 v103, v[24:25]
	s_waitcnt lgkmcnt(0)
	; wave barrier
	s_and_saveexec_b64 s[30:31], vcc
	s_cbranch_execz .LBB79_338
; %bb.329:
	s_and_b64 vcc, exec, s[0:1]
	s_cbranch_vccnz .LBB79_331
; %bb.330:
	v_cmp_eq_u32_e32 vcc, 1, v0
	v_cmp_eq_u32_e64 s[2:3], 2, v0
	v_cmp_eq_u32_e64 s[4:5], 3, v0
	v_cndmask_b32_e32 v34, v3, v5, vcc
	v_cndmask_b32_e64 v34, v34, v7, s[2:3]
	v_cndmask_b32_e64 v34, v34, v9, s[4:5]
	v_cmp_eq_u32_e64 s[6:7], 4, v0
	v_cmp_eq_u32_e64 s[8:9], 5, v0
	v_cmp_eq_u32_e64 s[10:11], 6, v0
	v_cndmask_b32_e64 v34, v34, v11, s[6:7]
	v_cndmask_b32_e64 v34, v34, v13, s[8:9]
	v_cndmask_b32_e64 v34, v34, v15, s[10:11]
	v_cmp_eq_u32_e64 s[12:13], 7, v0
	v_cmp_eq_u32_e64 s[14:15], 8, v0
	v_cmp_eq_u32_e64 s[16:17], 9, v0
	v_cndmask_b32_e64 v34, v34, v17, s[12:13]
	;; [unrolled: 6-line block ×4, first 2 shown]
	v_cndmask_b32_e64 v34, v34, v31, s[26:27]
	v_cndmask_b32_e64 v35, v34, v33, s[28:29]
	v_cndmask_b32_e32 v34, v2, v4, vcc
	v_cndmask_b32_e64 v34, v34, v6, s[2:3]
	v_cndmask_b32_e64 v34, v34, v8, s[4:5]
	;; [unrolled: 1-line block ×10, first 2 shown]
	ds_read_b64 v[36:37], v103
	v_cndmask_b32_e64 v34, v34, v26, s[22:23]
	v_cndmask_b32_e64 v34, v34, v28, s[24:25]
	;; [unrolled: 1-line block ×4, first 2 shown]
	s_waitcnt lgkmcnt(0)
	v_mul_f64 v[34:35], v[34:35], v[36:37]
	s_cbranch_execz .LBB79_332
	s_branch .LBB79_333
.LBB79_331:
                                        ; implicit-def: $vgpr34_vgpr35
.LBB79_332:
	ds_read_b64 v[34:35], v103
.LBB79_333:
	v_cmp_ne_u32_e32 vcc, 10, v0
	s_and_saveexec_b64 s[6:7], vcc
	s_cbranch_execz .LBB79_337
; %bb.334:
	v_mov_b32_e32 v36, 0x88
	v_lshl_add_u32 v38, v0, 3, v36
	s_mov_b64 s[8:9], 0
	v_mov_b64_e32 v[36:37], v[0:1]
.LBB79_335:                             ; =>This Inner Loop Header: Depth=1
	v_lshl_add_u64 v[36:37], v[36:37], 0, 1
	v_cmp_eq_u32_e32 vcc, 1, v36
	v_cmp_eq_u32_e64 s[4:5], 2, v36
	v_cmp_lt_u32_e64 s[2:3], 9, v36
	v_cndmask_b32_e32 v39, v3, v5, vcc
	v_cndmask_b32_e64 v39, v39, v7, s[4:5]
	v_cndmask_b32_e32 v42, v2, v4, vcc
	v_cmp_eq_u32_e32 vcc, 3, v36
	s_or_b64 s[8:9], s[2:3], s[8:9]
	v_cndmask_b32_e64 v42, v42, v6, s[4:5]
	v_cndmask_b32_e32 v39, v39, v9, vcc
	v_cmp_eq_u32_e64 s[2:3], 4, v36
	v_cndmask_b32_e32 v42, v42, v8, vcc
	v_cmp_eq_u32_e32 vcc, 5, v36
	v_cndmask_b32_e64 v39, v39, v11, s[2:3]
	v_cndmask_b32_e64 v42, v42, v10, s[2:3]
	v_cndmask_b32_e32 v39, v39, v13, vcc
	v_cmp_eq_u32_e64 s[2:3], 6, v36
	v_cndmask_b32_e32 v42, v42, v12, vcc
	v_cmp_eq_u32_e32 vcc, 7, v36
	v_cndmask_b32_e64 v39, v39, v15, s[2:3]
	;; [unrolled: 6-line block ×4, first 2 shown]
	v_cndmask_b32_e64 v42, v42, v22, s[2:3]
	v_cndmask_b32_e32 v39, v39, v25, vcc
	v_cmp_eq_u32_e64 s[2:3], 12, v36
	ds_read_b64 v[40:41], v38
	v_cndmask_b32_e32 v42, v42, v24, vcc
	v_cndmask_b32_e64 v39, v39, v27, s[2:3]
	v_cmp_eq_u32_e32 vcc, 13, v36
	v_cndmask_b32_e64 v42, v42, v26, s[2:3]
	v_cmp_eq_u32_e64 s[2:3], 14, v36
	v_cndmask_b32_e32 v39, v39, v29, vcc
	v_cndmask_b32_e32 v42, v42, v28, vcc
	v_cndmask_b32_e64 v39, v39, v31, s[2:3]
	v_cmp_eq_u32_e32 vcc, 15, v36
	v_add_u32_e32 v38, 8, v38
	s_nop 0
	v_cndmask_b32_e32 v43, v39, v33, vcc
	v_cndmask_b32_e64 v39, v42, v30, s[2:3]
	v_cndmask_b32_e32 v42, v39, v32, vcc
	s_waitcnt lgkmcnt(0)
	v_fmac_f64_e32 v[34:35], v[42:43], v[40:41]
	s_andn2_b64 exec, exec, s[8:9]
	s_cbranch_execnz .LBB79_335
; %bb.336:
	s_or_b64 exec, exec, s[8:9]
.LBB79_337:
	s_or_b64 exec, exec, s[6:7]
	v_mov_b32_e32 v24, 0
	ds_read_b64 v[24:25], v24 offset:88
	s_waitcnt lgkmcnt(0)
	v_mul_f64 v[24:25], v[34:35], v[24:25]
.LBB79_338:
	s_or_b64 exec, exec, s[30:31]
	v_cmp_gt_u32_e32 vcc, 12, v0
	ds_write_b64 v103, v[26:27]
	s_waitcnt lgkmcnt(0)
	; wave barrier
	s_and_saveexec_b64 s[30:31], vcc
	s_cbranch_execz .LBB79_348
; %bb.339:
	s_and_b64 vcc, exec, s[0:1]
	s_cbranch_vccnz .LBB79_341
; %bb.340:
	v_cmp_eq_u32_e32 vcc, 1, v0
	v_cmp_eq_u32_e64 s[2:3], 2, v0
	v_cmp_eq_u32_e64 s[4:5], 3, v0
	v_cndmask_b32_e32 v34, v3, v5, vcc
	v_cndmask_b32_e64 v34, v34, v7, s[2:3]
	v_cndmask_b32_e64 v34, v34, v9, s[4:5]
	v_cmp_eq_u32_e64 s[6:7], 4, v0
	v_cmp_eq_u32_e64 s[8:9], 5, v0
	v_cmp_eq_u32_e64 s[10:11], 6, v0
	v_cndmask_b32_e64 v34, v34, v11, s[6:7]
	v_cndmask_b32_e64 v34, v34, v13, s[8:9]
	v_cndmask_b32_e64 v34, v34, v15, s[10:11]
	v_cmp_eq_u32_e64 s[12:13], 7, v0
	v_cmp_eq_u32_e64 s[14:15], 8, v0
	v_cmp_eq_u32_e64 s[16:17], 9, v0
	v_cndmask_b32_e64 v34, v34, v17, s[12:13]
	;; [unrolled: 6-line block ×4, first 2 shown]
	v_cndmask_b32_e64 v34, v34, v31, s[26:27]
	v_cndmask_b32_e64 v35, v34, v33, s[28:29]
	v_cndmask_b32_e32 v34, v2, v4, vcc
	v_cndmask_b32_e64 v34, v34, v6, s[2:3]
	v_cndmask_b32_e64 v34, v34, v8, s[4:5]
	;; [unrolled: 1-line block ×10, first 2 shown]
	ds_read_b64 v[36:37], v103
	v_cndmask_b32_e64 v34, v34, v26, s[22:23]
	v_cndmask_b32_e64 v34, v34, v28, s[24:25]
	;; [unrolled: 1-line block ×4, first 2 shown]
	s_waitcnt lgkmcnt(0)
	v_mul_f64 v[34:35], v[34:35], v[36:37]
	s_cbranch_execz .LBB79_342
	s_branch .LBB79_343
.LBB79_341:
                                        ; implicit-def: $vgpr34_vgpr35
.LBB79_342:
	ds_read_b64 v[34:35], v103
.LBB79_343:
	v_cmp_ne_u32_e32 vcc, 11, v0
	s_and_saveexec_b64 s[6:7], vcc
	s_cbranch_execz .LBB79_347
; %bb.344:
	v_mov_b32_e32 v36, 0x88
	v_lshl_add_u32 v38, v0, 3, v36
	s_mov_b64 s[8:9], 0
	v_mov_b64_e32 v[36:37], v[0:1]
.LBB79_345:                             ; =>This Inner Loop Header: Depth=1
	v_lshl_add_u64 v[36:37], v[36:37], 0, 1
	v_cmp_eq_u32_e32 vcc, 1, v36
	v_cmp_eq_u32_e64 s[4:5], 2, v36
	v_cmp_lt_u32_e64 s[2:3], 10, v36
	v_cndmask_b32_e32 v39, v3, v5, vcc
	v_cndmask_b32_e64 v39, v39, v7, s[4:5]
	v_cndmask_b32_e32 v42, v2, v4, vcc
	v_cmp_eq_u32_e32 vcc, 3, v36
	s_or_b64 s[8:9], s[2:3], s[8:9]
	v_cndmask_b32_e64 v42, v42, v6, s[4:5]
	v_cndmask_b32_e32 v39, v39, v9, vcc
	v_cmp_eq_u32_e64 s[2:3], 4, v36
	v_cndmask_b32_e32 v42, v42, v8, vcc
	v_cmp_eq_u32_e32 vcc, 5, v36
	v_cndmask_b32_e64 v39, v39, v11, s[2:3]
	v_cndmask_b32_e64 v42, v42, v10, s[2:3]
	v_cndmask_b32_e32 v39, v39, v13, vcc
	v_cmp_eq_u32_e64 s[2:3], 6, v36
	v_cndmask_b32_e32 v42, v42, v12, vcc
	v_cmp_eq_u32_e32 vcc, 7, v36
	v_cndmask_b32_e64 v39, v39, v15, s[2:3]
	;; [unrolled: 6-line block ×4, first 2 shown]
	v_cndmask_b32_e64 v42, v42, v22, s[2:3]
	v_cndmask_b32_e32 v39, v39, v25, vcc
	v_cmp_eq_u32_e64 s[2:3], 12, v36
	ds_read_b64 v[40:41], v38
	v_cndmask_b32_e32 v42, v42, v24, vcc
	v_cndmask_b32_e64 v39, v39, v27, s[2:3]
	v_cmp_eq_u32_e32 vcc, 13, v36
	v_cndmask_b32_e64 v42, v42, v26, s[2:3]
	v_cmp_eq_u32_e64 s[2:3], 14, v36
	v_cndmask_b32_e32 v39, v39, v29, vcc
	v_cndmask_b32_e32 v42, v42, v28, vcc
	v_cndmask_b32_e64 v39, v39, v31, s[2:3]
	v_cmp_eq_u32_e32 vcc, 15, v36
	v_add_u32_e32 v38, 8, v38
	s_nop 0
	v_cndmask_b32_e32 v43, v39, v33, vcc
	v_cndmask_b32_e64 v39, v42, v30, s[2:3]
	v_cndmask_b32_e32 v42, v39, v32, vcc
	s_waitcnt lgkmcnt(0)
	v_fmac_f64_e32 v[34:35], v[42:43], v[40:41]
	s_andn2_b64 exec, exec, s[8:9]
	s_cbranch_execnz .LBB79_345
; %bb.346:
	s_or_b64 exec, exec, s[8:9]
.LBB79_347:
	s_or_b64 exec, exec, s[6:7]
	v_mov_b32_e32 v26, 0
	ds_read_b64 v[26:27], v26 offset:96
	s_waitcnt lgkmcnt(0)
	v_mul_f64 v[26:27], v[34:35], v[26:27]
.LBB79_348:
	s_or_b64 exec, exec, s[30:31]
	v_cmp_gt_u32_e32 vcc, 13, v0
	ds_write_b64 v103, v[28:29]
	s_waitcnt lgkmcnt(0)
	; wave barrier
	s_and_saveexec_b64 s[30:31], vcc
	s_cbranch_execz .LBB79_358
; %bb.349:
	s_and_b64 vcc, exec, s[0:1]
	s_cbranch_vccnz .LBB79_351
; %bb.350:
	v_cmp_eq_u32_e32 vcc, 1, v0
	v_cmp_eq_u32_e64 s[2:3], 2, v0
	v_cmp_eq_u32_e64 s[4:5], 3, v0
	v_cndmask_b32_e32 v34, v3, v5, vcc
	v_cndmask_b32_e64 v34, v34, v7, s[2:3]
	v_cndmask_b32_e64 v34, v34, v9, s[4:5]
	v_cmp_eq_u32_e64 s[6:7], 4, v0
	v_cmp_eq_u32_e64 s[8:9], 5, v0
	v_cmp_eq_u32_e64 s[10:11], 6, v0
	v_cndmask_b32_e64 v34, v34, v11, s[6:7]
	v_cndmask_b32_e64 v34, v34, v13, s[8:9]
	v_cndmask_b32_e64 v34, v34, v15, s[10:11]
	v_cmp_eq_u32_e64 s[12:13], 7, v0
	v_cmp_eq_u32_e64 s[14:15], 8, v0
	v_cmp_eq_u32_e64 s[16:17], 9, v0
	v_cndmask_b32_e64 v34, v34, v17, s[12:13]
	;; [unrolled: 6-line block ×4, first 2 shown]
	v_cndmask_b32_e64 v34, v34, v31, s[26:27]
	v_cndmask_b32_e64 v35, v34, v33, s[28:29]
	v_cndmask_b32_e32 v34, v2, v4, vcc
	v_cndmask_b32_e64 v34, v34, v6, s[2:3]
	v_cndmask_b32_e64 v34, v34, v8, s[4:5]
	;; [unrolled: 1-line block ×10, first 2 shown]
	ds_read_b64 v[36:37], v103
	v_cndmask_b32_e64 v34, v34, v26, s[22:23]
	v_cndmask_b32_e64 v34, v34, v28, s[24:25]
	;; [unrolled: 1-line block ×4, first 2 shown]
	s_waitcnt lgkmcnt(0)
	v_mul_f64 v[34:35], v[34:35], v[36:37]
	s_cbranch_execz .LBB79_352
	s_branch .LBB79_353
.LBB79_351:
                                        ; implicit-def: $vgpr34_vgpr35
.LBB79_352:
	ds_read_b64 v[34:35], v103
.LBB79_353:
	v_cmp_ne_u32_e32 vcc, 12, v0
	s_and_saveexec_b64 s[6:7], vcc
	s_cbranch_execz .LBB79_357
; %bb.354:
	v_mov_b32_e32 v36, 0x88
	v_lshl_add_u32 v38, v0, 3, v36
	s_mov_b64 s[8:9], 0
	v_mov_b64_e32 v[36:37], v[0:1]
.LBB79_355:                             ; =>This Inner Loop Header: Depth=1
	v_lshl_add_u64 v[36:37], v[36:37], 0, 1
	v_cmp_eq_u32_e32 vcc, 1, v36
	v_cmp_eq_u32_e64 s[4:5], 2, v36
	v_cmp_lt_u32_e64 s[2:3], 11, v36
	v_cndmask_b32_e32 v39, v3, v5, vcc
	v_cndmask_b32_e64 v39, v39, v7, s[4:5]
	v_cndmask_b32_e32 v42, v2, v4, vcc
	v_cmp_eq_u32_e32 vcc, 3, v36
	s_or_b64 s[8:9], s[2:3], s[8:9]
	v_cndmask_b32_e64 v42, v42, v6, s[4:5]
	v_cndmask_b32_e32 v39, v39, v9, vcc
	v_cmp_eq_u32_e64 s[2:3], 4, v36
	v_cndmask_b32_e32 v42, v42, v8, vcc
	v_cmp_eq_u32_e32 vcc, 5, v36
	v_cndmask_b32_e64 v39, v39, v11, s[2:3]
	v_cndmask_b32_e64 v42, v42, v10, s[2:3]
	v_cndmask_b32_e32 v39, v39, v13, vcc
	v_cmp_eq_u32_e64 s[2:3], 6, v36
	v_cndmask_b32_e32 v42, v42, v12, vcc
	v_cmp_eq_u32_e32 vcc, 7, v36
	v_cndmask_b32_e64 v39, v39, v15, s[2:3]
	v_cndmask_b32_e64 v42, v42, v14, s[2:3]
	v_cndmask_b32_e32 v39, v39, v17, vcc
	v_cmp_eq_u32_e64 s[2:3], 8, v36
	v_cndmask_b32_e32 v42, v42, v16, vcc
	v_cmp_eq_u32_e32 vcc, 9, v36
	v_cndmask_b32_e64 v39, v39, v19, s[2:3]
	v_cndmask_b32_e64 v42, v42, v18, s[2:3]
	v_cndmask_b32_e32 v39, v39, v21, vcc
	v_cmp_eq_u32_e64 s[2:3], 10, v36
	v_cndmask_b32_e32 v42, v42, v20, vcc
	v_cmp_eq_u32_e32 vcc, 11, v36
	v_cndmask_b32_e64 v39, v39, v23, s[2:3]
	v_cndmask_b32_e64 v42, v42, v22, s[2:3]
	v_cndmask_b32_e32 v39, v39, v25, vcc
	v_cmp_eq_u32_e64 s[2:3], 12, v36
	ds_read_b64 v[40:41], v38
	v_cndmask_b32_e32 v42, v42, v24, vcc
	v_cndmask_b32_e64 v39, v39, v27, s[2:3]
	v_cmp_eq_u32_e32 vcc, 13, v36
	v_cndmask_b32_e64 v42, v42, v26, s[2:3]
	v_cmp_eq_u32_e64 s[2:3], 14, v36
	v_cndmask_b32_e32 v39, v39, v29, vcc
	v_cndmask_b32_e32 v42, v42, v28, vcc
	v_cndmask_b32_e64 v39, v39, v31, s[2:3]
	v_cmp_eq_u32_e32 vcc, 15, v36
	v_add_u32_e32 v38, 8, v38
	s_nop 0
	v_cndmask_b32_e32 v43, v39, v33, vcc
	v_cndmask_b32_e64 v39, v42, v30, s[2:3]
	v_cndmask_b32_e32 v42, v39, v32, vcc
	s_waitcnt lgkmcnt(0)
	v_fmac_f64_e32 v[34:35], v[42:43], v[40:41]
	s_andn2_b64 exec, exec, s[8:9]
	s_cbranch_execnz .LBB79_355
; %bb.356:
	s_or_b64 exec, exec, s[8:9]
.LBB79_357:
	s_or_b64 exec, exec, s[6:7]
	v_mov_b32_e32 v28, 0
	ds_read_b64 v[28:29], v28 offset:104
	s_waitcnt lgkmcnt(0)
	v_mul_f64 v[28:29], v[34:35], v[28:29]
.LBB79_358:
	s_or_b64 exec, exec, s[30:31]
	v_cmp_gt_u32_e64 s[2:3], 14, v0
	ds_write_b64 v103, v[30:31]
	s_waitcnt lgkmcnt(0)
	; wave barrier
	s_and_saveexec_b64 s[34:35], s[2:3]
	s_cbranch_execz .LBB79_368
; %bb.359:
	s_and_b64 vcc, exec, s[0:1]
	s_cbranch_vccnz .LBB79_361
; %bb.360:
	v_cmp_eq_u32_e32 vcc, 1, v0
	v_cmp_eq_u32_e64 s[4:5], 2, v0
	v_cmp_eq_u32_e64 s[6:7], 3, v0
	v_cndmask_b32_e32 v34, v3, v5, vcc
	v_cndmask_b32_e64 v34, v34, v7, s[4:5]
	v_cndmask_b32_e64 v34, v34, v9, s[6:7]
	v_cmp_eq_u32_e64 s[8:9], 4, v0
	v_cmp_eq_u32_e64 s[10:11], 5, v0
	v_cmp_eq_u32_e64 s[12:13], 6, v0
	v_cndmask_b32_e64 v34, v34, v11, s[8:9]
	v_cndmask_b32_e64 v34, v34, v13, s[10:11]
	v_cndmask_b32_e64 v34, v34, v15, s[12:13]
	v_cmp_eq_u32_e64 s[14:15], 7, v0
	v_cmp_eq_u32_e64 s[16:17], 8, v0
	v_cmp_eq_u32_e64 s[18:19], 9, v0
	v_cndmask_b32_e64 v34, v34, v17, s[14:15]
	;; [unrolled: 6-line block ×4, first 2 shown]
	v_cndmask_b32_e64 v34, v34, v31, s[28:29]
	v_cndmask_b32_e64 v35, v34, v33, s[30:31]
	v_cndmask_b32_e32 v34, v2, v4, vcc
	v_cndmask_b32_e64 v34, v34, v6, s[4:5]
	v_cndmask_b32_e64 v34, v34, v8, s[6:7]
	;; [unrolled: 1-line block ×10, first 2 shown]
	ds_read_b64 v[36:37], v103
	v_cndmask_b32_e64 v34, v34, v26, s[24:25]
	v_cndmask_b32_e64 v34, v34, v28, s[26:27]
	;; [unrolled: 1-line block ×4, first 2 shown]
	s_waitcnt lgkmcnt(0)
	v_mul_f64 v[34:35], v[34:35], v[36:37]
	s_cbranch_execz .LBB79_362
	s_branch .LBB79_363
.LBB79_361:
                                        ; implicit-def: $vgpr34_vgpr35
.LBB79_362:
	ds_read_b64 v[34:35], v103
.LBB79_363:
	v_cmp_ne_u32_e32 vcc, 13, v0
	s_and_saveexec_b64 s[8:9], vcc
	s_cbranch_execz .LBB79_367
; %bb.364:
	v_mov_b32_e32 v36, 0x88
	v_lshl_add_u32 v38, v0, 3, v36
	s_mov_b64 s[10:11], 0
	v_mov_b64_e32 v[36:37], v[0:1]
.LBB79_365:                             ; =>This Inner Loop Header: Depth=1
	v_lshl_add_u64 v[36:37], v[36:37], 0, 1
	v_cmp_eq_u32_e32 vcc, 1, v36
	v_cmp_eq_u32_e64 s[6:7], 2, v36
	v_cmp_lt_u32_e64 s[4:5], 12, v36
	v_cndmask_b32_e32 v39, v3, v5, vcc
	v_cndmask_b32_e64 v39, v39, v7, s[6:7]
	v_cndmask_b32_e32 v42, v2, v4, vcc
	v_cmp_eq_u32_e32 vcc, 3, v36
	s_or_b64 s[10:11], s[4:5], s[10:11]
	v_cndmask_b32_e64 v42, v42, v6, s[6:7]
	v_cndmask_b32_e32 v39, v39, v9, vcc
	v_cmp_eq_u32_e64 s[4:5], 4, v36
	v_cndmask_b32_e32 v42, v42, v8, vcc
	v_cmp_eq_u32_e32 vcc, 5, v36
	v_cndmask_b32_e64 v39, v39, v11, s[4:5]
	v_cndmask_b32_e64 v42, v42, v10, s[4:5]
	v_cndmask_b32_e32 v39, v39, v13, vcc
	v_cmp_eq_u32_e64 s[4:5], 6, v36
	v_cndmask_b32_e32 v42, v42, v12, vcc
	v_cmp_eq_u32_e32 vcc, 7, v36
	v_cndmask_b32_e64 v39, v39, v15, s[4:5]
	;; [unrolled: 6-line block ×4, first 2 shown]
	v_cndmask_b32_e64 v42, v42, v22, s[4:5]
	v_cndmask_b32_e32 v39, v39, v25, vcc
	v_cmp_eq_u32_e64 s[4:5], 12, v36
	ds_read_b64 v[40:41], v38
	v_cndmask_b32_e32 v42, v42, v24, vcc
	v_cndmask_b32_e64 v39, v39, v27, s[4:5]
	v_cmp_eq_u32_e32 vcc, 13, v36
	v_cndmask_b32_e64 v42, v42, v26, s[4:5]
	v_cmp_eq_u32_e64 s[4:5], 14, v36
	v_cndmask_b32_e32 v39, v39, v29, vcc
	v_cndmask_b32_e32 v42, v42, v28, vcc
	v_cndmask_b32_e64 v39, v39, v31, s[4:5]
	v_cmp_eq_u32_e32 vcc, 15, v36
	v_add_u32_e32 v38, 8, v38
	s_nop 0
	v_cndmask_b32_e32 v43, v39, v33, vcc
	v_cndmask_b32_e64 v39, v42, v30, s[4:5]
	v_cndmask_b32_e32 v42, v39, v32, vcc
	s_waitcnt lgkmcnt(0)
	v_fmac_f64_e32 v[34:35], v[42:43], v[40:41]
	s_andn2_b64 exec, exec, s[10:11]
	s_cbranch_execnz .LBB79_365
; %bb.366:
	s_or_b64 exec, exec, s[10:11]
.LBB79_367:
	s_or_b64 exec, exec, s[8:9]
	v_mov_b32_e32 v30, 0
	ds_read_b64 v[30:31], v30 offset:112
	s_waitcnt lgkmcnt(0)
	v_mul_f64 v[30:31], v[34:35], v[30:31]
.LBB79_368:
	s_or_b64 exec, exec, s[34:35]
	v_cmp_ne_u32_e32 vcc, 15, v0
	ds_write_b64 v103, v[32:33]
	s_waitcnt lgkmcnt(0)
	; wave barrier
	s_and_saveexec_b64 s[30:31], vcc
	s_cbranch_execz .LBB79_378
; %bb.369:
	s_and_b64 vcc, exec, s[0:1]
	s_cbranch_vccnz .LBB79_371
; %bb.370:
	v_cmp_eq_u32_e32 vcc, 1, v0
	v_cmp_eq_u32_e64 s[0:1], 2, v0
	v_cmp_eq_u32_e64 s[4:5], 3, v0
	v_cndmask_b32_e32 v34, v3, v5, vcc
	v_cndmask_b32_e64 v34, v34, v7, s[0:1]
	v_cndmask_b32_e64 v34, v34, v9, s[4:5]
	v_cmp_eq_u32_e64 s[6:7], 4, v0
	v_cmp_eq_u32_e64 s[8:9], 5, v0
	v_cmp_eq_u32_e64 s[10:11], 6, v0
	v_cndmask_b32_e64 v34, v34, v11, s[6:7]
	v_cndmask_b32_e64 v34, v34, v13, s[8:9]
	v_cndmask_b32_e64 v34, v34, v15, s[10:11]
	v_cmp_eq_u32_e64 s[12:13], 7, v0
	v_cmp_eq_u32_e64 s[14:15], 8, v0
	v_cmp_eq_u32_e64 s[16:17], 9, v0
	v_cndmask_b32_e64 v34, v34, v17, s[12:13]
	v_cndmask_b32_e64 v34, v34, v19, s[14:15]
	v_cndmask_b32_e64 v34, v34, v21, s[16:17]
	v_cmp_eq_u32_e64 s[18:19], 10, v0
	v_cmp_eq_u32_e64 s[20:21], 11, v0
	v_cmp_eq_u32_e64 s[22:23], 12, v0
	v_cndmask_b32_e64 v34, v34, v23, s[18:19]
	v_cndmask_b32_e64 v34, v34, v25, s[20:21]
	v_cndmask_b32_e64 v34, v34, v27, s[22:23]
	v_cmp_eq_u32_e64 s[24:25], 13, v0
	v_cmp_eq_u32_e64 s[26:27], 14, v0
	v_cmp_eq_u32_e64 s[28:29], 15, v0
	v_cndmask_b32_e64 v34, v34, v29, s[24:25]
	v_cndmask_b32_e64 v34, v34, v31, s[26:27]
	v_cndmask_b32_e64 v35, v34, v33, s[28:29]
	v_cndmask_b32_e32 v34, v2, v4, vcc
	v_cndmask_b32_e64 v34, v34, v6, s[0:1]
	v_cndmask_b32_e64 v34, v34, v8, s[4:5]
	v_cndmask_b32_e64 v34, v34, v10, s[6:7]
	v_cndmask_b32_e64 v34, v34, v12, s[8:9]
	v_cndmask_b32_e64 v34, v34, v14, s[10:11]
	v_cndmask_b32_e64 v34, v34, v16, s[12:13]
	v_cndmask_b32_e64 v34, v34, v18, s[14:15]
	v_cndmask_b32_e64 v34, v34, v20, s[16:17]
	v_cndmask_b32_e64 v34, v34, v22, s[18:19]
	v_cndmask_b32_e64 v34, v34, v24, s[20:21]
	ds_read_b64 v[36:37], v103
	v_cndmask_b32_e64 v34, v34, v26, s[22:23]
	v_cndmask_b32_e64 v34, v34, v28, s[24:25]
	;; [unrolled: 1-line block ×4, first 2 shown]
	s_waitcnt lgkmcnt(0)
	v_mul_f64 v[34:35], v[34:35], v[36:37]
	s_cbranch_execz .LBB79_372
	s_branch .LBB79_373
.LBB79_371:
                                        ; implicit-def: $vgpr34_vgpr35
.LBB79_372:
	ds_read_b64 v[34:35], v103
.LBB79_373:
	s_and_saveexec_b64 s[4:5], s[2:3]
	s_cbranch_execz .LBB79_377
; %bb.374:
	v_mov_b32_e32 v36, 0x88
	v_lshl_add_u32 v36, v0, 3, v36
	s_mov_b64 s[6:7], 0
.LBB79_375:                             ; =>This Inner Loop Header: Depth=1
	v_lshl_add_u64 v[0:1], v[0:1], 0, 1
	v_cmp_eq_u32_e32 vcc, 1, v0
	v_cmp_eq_u32_e64 s[2:3], 2, v0
	v_cmp_lt_u32_e64 s[0:1], 13, v0
	v_cndmask_b32_e32 v37, v3, v5, vcc
	v_cndmask_b32_e64 v37, v37, v7, s[2:3]
	v_cndmask_b32_e32 v40, v2, v4, vcc
	v_cmp_eq_u32_e32 vcc, 3, v0
	s_or_b64 s[6:7], s[0:1], s[6:7]
	v_cndmask_b32_e64 v40, v40, v6, s[2:3]
	v_cndmask_b32_e32 v37, v37, v9, vcc
	v_cmp_eq_u32_e64 s[0:1], 4, v0
	v_cndmask_b32_e32 v40, v40, v8, vcc
	v_cmp_eq_u32_e32 vcc, 5, v0
	v_cndmask_b32_e64 v37, v37, v11, s[0:1]
	v_cndmask_b32_e64 v40, v40, v10, s[0:1]
	v_cndmask_b32_e32 v37, v37, v13, vcc
	v_cmp_eq_u32_e64 s[0:1], 6, v0
	v_cndmask_b32_e32 v40, v40, v12, vcc
	v_cmp_eq_u32_e32 vcc, 7, v0
	v_cndmask_b32_e64 v37, v37, v15, s[0:1]
	;; [unrolled: 6-line block ×4, first 2 shown]
	v_cndmask_b32_e64 v40, v40, v22, s[0:1]
	v_cndmask_b32_e32 v37, v37, v25, vcc
	v_cmp_eq_u32_e64 s[0:1], 12, v0
	ds_read_b64 v[38:39], v36
	v_cndmask_b32_e32 v40, v40, v24, vcc
	v_cndmask_b32_e64 v37, v37, v27, s[0:1]
	v_cmp_eq_u32_e32 vcc, 13, v0
	v_cndmask_b32_e64 v40, v40, v26, s[0:1]
	v_cmp_eq_u32_e64 s[0:1], 14, v0
	v_cndmask_b32_e32 v37, v37, v29, vcc
	v_cndmask_b32_e32 v40, v40, v28, vcc
	v_cndmask_b32_e64 v37, v37, v31, s[0:1]
	v_cmp_eq_u32_e32 vcc, 15, v0
	v_add_u32_e32 v36, 8, v36
	s_nop 0
	v_cndmask_b32_e32 v41, v37, v33, vcc
	v_cndmask_b32_e64 v37, v40, v30, s[0:1]
	v_cndmask_b32_e32 v40, v37, v32, vcc
	s_waitcnt lgkmcnt(0)
	v_fmac_f64_e32 v[34:35], v[40:41], v[38:39]
	s_andn2_b64 exec, exec, s[6:7]
	s_cbranch_execnz .LBB79_375
; %bb.376:
	s_or_b64 exec, exec, s[6:7]
.LBB79_377:
	s_or_b64 exec, exec, s[4:5]
	v_mov_b32_e32 v0, 0
	ds_read_b64 v[0:1], v0 offset:120
	s_waitcnt lgkmcnt(0)
	v_mul_f64 v[32:33], v[34:35], v[0:1]
.LBB79_378:
	s_or_b64 exec, exec, s[30:31]
	v_mov_b64_e32 v[64:65], v[32:33]
	v_mov_b64_e32 v[62:63], v[30:31]
	;; [unrolled: 1-line block ×16, first 2 shown]
.LBB79_379:
	flat_store_dwordx2 v[66:67], v[34:35]
	flat_store_dwordx2 v[68:69], v[36:37]
	;; [unrolled: 1-line block ×16, first 2 shown]
.LBB79_380:
	s_endpgm
	.section	.rodata,"a",@progbits
	.p2align	6, 0x0
	.amdhsa_kernel _ZN9rocsolver6v33100L18trti2_kernel_smallILi16EdPKPdEEv13rocblas_fill_17rocblas_diagonal_T1_iil
		.amdhsa_group_segment_fixed_size 256
		.amdhsa_private_segment_fixed_size 0
		.amdhsa_kernarg_size 32
		.amdhsa_user_sgpr_count 2
		.amdhsa_user_sgpr_dispatch_ptr 0
		.amdhsa_user_sgpr_queue_ptr 0
		.amdhsa_user_sgpr_kernarg_segment_ptr 1
		.amdhsa_user_sgpr_dispatch_id 0
		.amdhsa_user_sgpr_kernarg_preload_length 0
		.amdhsa_user_sgpr_kernarg_preload_offset 0
		.amdhsa_user_sgpr_private_segment_size 0
		.amdhsa_uses_dynamic_stack 0
		.amdhsa_enable_private_segment 0
		.amdhsa_system_sgpr_workgroup_id_x 1
		.amdhsa_system_sgpr_workgroup_id_y 0
		.amdhsa_system_sgpr_workgroup_id_z 0
		.amdhsa_system_sgpr_workgroup_info 0
		.amdhsa_system_vgpr_workitem_id 0
		.amdhsa_next_free_vgpr 126
		.amdhsa_next_free_sgpr 50
		.amdhsa_accum_offset 128
		.amdhsa_reserve_vcc 1
		.amdhsa_float_round_mode_32 0
		.amdhsa_float_round_mode_16_64 0
		.amdhsa_float_denorm_mode_32 3
		.amdhsa_float_denorm_mode_16_64 3
		.amdhsa_dx10_clamp 1
		.amdhsa_ieee_mode 1
		.amdhsa_fp16_overflow 0
		.amdhsa_tg_split 0
		.amdhsa_exception_fp_ieee_invalid_op 0
		.amdhsa_exception_fp_denorm_src 0
		.amdhsa_exception_fp_ieee_div_zero 0
		.amdhsa_exception_fp_ieee_overflow 0
		.amdhsa_exception_fp_ieee_underflow 0
		.amdhsa_exception_fp_ieee_inexact 0
		.amdhsa_exception_int_div_zero 0
	.end_amdhsa_kernel
	.section	.text._ZN9rocsolver6v33100L18trti2_kernel_smallILi16EdPKPdEEv13rocblas_fill_17rocblas_diagonal_T1_iil,"axG",@progbits,_ZN9rocsolver6v33100L18trti2_kernel_smallILi16EdPKPdEEv13rocblas_fill_17rocblas_diagonal_T1_iil,comdat
.Lfunc_end79:
	.size	_ZN9rocsolver6v33100L18trti2_kernel_smallILi16EdPKPdEEv13rocblas_fill_17rocblas_diagonal_T1_iil, .Lfunc_end79-_ZN9rocsolver6v33100L18trti2_kernel_smallILi16EdPKPdEEv13rocblas_fill_17rocblas_diagonal_T1_iil
                                        ; -- End function
	.set _ZN9rocsolver6v33100L18trti2_kernel_smallILi16EdPKPdEEv13rocblas_fill_17rocblas_diagonal_T1_iil.num_vgpr, 126
	.set _ZN9rocsolver6v33100L18trti2_kernel_smallILi16EdPKPdEEv13rocblas_fill_17rocblas_diagonal_T1_iil.num_agpr, 0
	.set _ZN9rocsolver6v33100L18trti2_kernel_smallILi16EdPKPdEEv13rocblas_fill_17rocblas_diagonal_T1_iil.numbered_sgpr, 50
	.set _ZN9rocsolver6v33100L18trti2_kernel_smallILi16EdPKPdEEv13rocblas_fill_17rocblas_diagonal_T1_iil.num_named_barrier, 0
	.set _ZN9rocsolver6v33100L18trti2_kernel_smallILi16EdPKPdEEv13rocblas_fill_17rocblas_diagonal_T1_iil.private_seg_size, 0
	.set _ZN9rocsolver6v33100L18trti2_kernel_smallILi16EdPKPdEEv13rocblas_fill_17rocblas_diagonal_T1_iil.uses_vcc, 1
	.set _ZN9rocsolver6v33100L18trti2_kernel_smallILi16EdPKPdEEv13rocblas_fill_17rocblas_diagonal_T1_iil.uses_flat_scratch, 0
	.set _ZN9rocsolver6v33100L18trti2_kernel_smallILi16EdPKPdEEv13rocblas_fill_17rocblas_diagonal_T1_iil.has_dyn_sized_stack, 0
	.set _ZN9rocsolver6v33100L18trti2_kernel_smallILi16EdPKPdEEv13rocblas_fill_17rocblas_diagonal_T1_iil.has_recursion, 0
	.set _ZN9rocsolver6v33100L18trti2_kernel_smallILi16EdPKPdEEv13rocblas_fill_17rocblas_diagonal_T1_iil.has_indirect_call, 0
	.section	.AMDGPU.csdata,"",@progbits
; Kernel info:
; codeLenInByte = 32656
; TotalNumSgprs: 56
; NumVgprs: 126
; NumAgprs: 0
; TotalNumVgprs: 126
; ScratchSize: 0
; MemoryBound: 0
; FloatMode: 240
; IeeeMode: 1
; LDSByteSize: 256 bytes/workgroup (compile time only)
; SGPRBlocks: 6
; VGPRBlocks: 15
; NumSGPRsForWavesPerEU: 56
; NumVGPRsForWavesPerEU: 126
; AccumOffset: 128
; Occupancy: 4
; WaveLimiterHint : 1
; COMPUTE_PGM_RSRC2:SCRATCH_EN: 0
; COMPUTE_PGM_RSRC2:USER_SGPR: 2
; COMPUTE_PGM_RSRC2:TRAP_HANDLER: 0
; COMPUTE_PGM_RSRC2:TGID_X_EN: 1
; COMPUTE_PGM_RSRC2:TGID_Y_EN: 0
; COMPUTE_PGM_RSRC2:TGID_Z_EN: 0
; COMPUTE_PGM_RSRC2:TIDIG_COMP_CNT: 0
; COMPUTE_PGM_RSRC3_GFX90A:ACCUM_OFFSET: 31
; COMPUTE_PGM_RSRC3_GFX90A:TG_SPLIT: 0
	.section	.text._ZN9rocsolver6v33100L18trti2_kernel_smallILi17EdPKPdEEv13rocblas_fill_17rocblas_diagonal_T1_iil,"axG",@progbits,_ZN9rocsolver6v33100L18trti2_kernel_smallILi17EdPKPdEEv13rocblas_fill_17rocblas_diagonal_T1_iil,comdat
	.globl	_ZN9rocsolver6v33100L18trti2_kernel_smallILi17EdPKPdEEv13rocblas_fill_17rocblas_diagonal_T1_iil ; -- Begin function _ZN9rocsolver6v33100L18trti2_kernel_smallILi17EdPKPdEEv13rocblas_fill_17rocblas_diagonal_T1_iil
	.p2align	8
	.type	_ZN9rocsolver6v33100L18trti2_kernel_smallILi17EdPKPdEEv13rocblas_fill_17rocblas_diagonal_T1_iil,@function
_ZN9rocsolver6v33100L18trti2_kernel_smallILi17EdPKPdEEv13rocblas_fill_17rocblas_diagonal_T1_iil: ; @_ZN9rocsolver6v33100L18trti2_kernel_smallILi17EdPKPdEEv13rocblas_fill_17rocblas_diagonal_T1_iil
; %bb.0:
	v_cmp_gt_u32_e32 vcc, 17, v0
	s_and_saveexec_b64 s[4:5], vcc
	s_cbranch_execz .LBB80_310
; %bb.1:
	s_load_dwordx2 s[8:9], s[0:1], 0x10
	s_load_dwordx4 s[4:7], s[0:1], 0x0
	s_ashr_i32 s3, s2, 31
	s_lshl_b64 s[0:1], s[2:3], 3
	v_lshlrev_b32_e32 v18, 3, v0
	s_waitcnt lgkmcnt(0)
	s_ashr_i32 s3, s8, 31
	s_add_u32 s0, s6, s0
	s_addc_u32 s1, s7, s1
	s_load_dwordx2 s[0:1], s[0:1], 0x0
	s_mov_b32 s2, s8
	s_lshl_b64 s[2:3], s[2:3], 3
	v_mov_b32_e32 v19, 0
	s_waitcnt lgkmcnt(0)
	s_add_u32 s0, s0, s2
	s_addc_u32 s1, s1, s3
	v_lshl_add_u64 v[2:3], s[0:1], 0, v[18:19]
	flat_load_dwordx2 v[6:7], v[2:3]
	s_mov_b32 s2, s9
	s_ashr_i32 s3, s9, 31
	v_lshl_add_u64 v[4:5], s[2:3], 3, v[2:3]
	s_add_i32 s2, s9, s9
	v_add_u32_e32 v10, s2, v0
	v_ashrrev_i32_e32 v11, 31, v10
	s_cmpk_lg_i32 s5, 0x84
	s_cselect_b64 s[6:7], -1, 0
	s_cmpk_eq_i32 s5, 0x84
	s_waitcnt vmcnt(0) lgkmcnt(0)
	scratch_store_dwordx2 off, v[6:7], off
	flat_load_dwordx2 v[8:9], v[4:5]
	v_lshl_add_u64 v[6:7], v[10:11], 3, s[0:1]
	v_add_u32_e32 v10, s9, v10
	v_ashrrev_i32_e32 v11, 31, v10
	v_add_u32_e32 v14, s9, v10
	v_ashrrev_i32_e32 v15, 31, v14
	s_waitcnt vmcnt(0) lgkmcnt(0)
	scratch_store_dwordx2 off, v[8:9], off offset:8
	flat_load_dwordx2 v[12:13], v[6:7]
	v_lshl_add_u64 v[8:9], v[10:11], 3, s[0:1]
	v_lshl_add_u64 v[10:11], v[14:15], 3, s[0:1]
	v_add_u32_e32 v14, s9, v14
	v_ashrrev_i32_e32 v15, 31, v14
	v_add_u32_e32 v20, s9, v14
	v_ashrrev_i32_e32 v21, 31, v20
	s_waitcnt vmcnt(0) lgkmcnt(0)
	scratch_store_dwordx2 off, v[12:13], off offset:16
	flat_load_dwordx2 v[12:13], v[8:9]
	s_waitcnt vmcnt(0) lgkmcnt(0)
	scratch_store_dwordx2 off, v[12:13], off offset:24
	flat_load_dwordx2 v[16:17], v[10:11]
	v_lshl_add_u64 v[12:13], v[14:15], 3, s[0:1]
	v_lshl_add_u64 v[14:15], v[20:21], 3, s[0:1]
	v_add_u32_e32 v20, s9, v20
	v_ashrrev_i32_e32 v21, 31, v20
	v_add_u32_e32 v24, s9, v20
	v_ashrrev_i32_e32 v25, 31, v24
	s_waitcnt vmcnt(0) lgkmcnt(0)
	scratch_store_dwordx2 off, v[16:17], off offset:32
	flat_load_dwordx2 v[16:17], v[12:13]
	;; [unrolled: 12-line block ×5, first 2 shown]
	s_waitcnt vmcnt(0) lgkmcnt(0)
	scratch_store_dwordx2 off, v[30:31], off offset:88
	flat_load_dwordx2 v[34:35], v[28:29]
	v_lshl_add_u64 v[30:31], v[32:33], 3, s[0:1]
	v_lshl_add_u64 v[32:33], v[36:37], 3, s[0:1]
	v_add_u32_e32 v36, s9, v36
	v_ashrrev_i32_e32 v37, 31, v36
	s_waitcnt vmcnt(0) lgkmcnt(0)
	scratch_store_dwordx2 off, v[34:35], off offset:96
	flat_load_dwordx2 v[34:35], v[30:31]
	s_waitcnt vmcnt(0) lgkmcnt(0)
	scratch_store_dwordx2 off, v[34:35], off offset:104
	flat_load_dwordx2 v[38:39], v[32:33]
	v_lshl_add_u64 v[34:35], v[36:37], 3, s[0:1]
	v_add_u32_e32 v36, s9, v36
	v_ashrrev_i32_e32 v37, 31, v36
	v_lshl_add_u64 v[36:37], v[36:37], 3, s[0:1]
	s_waitcnt vmcnt(0) lgkmcnt(0)
	scratch_store_dwordx2 off, v[38:39], off offset:112
	flat_load_dwordx2 v[38:39], v[34:35]
	s_waitcnt vmcnt(0) lgkmcnt(0)
	scratch_store_dwordx2 off, v[38:39], off offset:120
	flat_load_dwordx2 v[38:39], v[36:37]
	s_waitcnt vmcnt(0) lgkmcnt(0)
	scratch_store_dwordx2 off, v[38:39], off offset:128
	v_mov_b64_e32 v[38:39], -1.0
	s_cbranch_scc1 .LBB80_3
; %bb.2:
	scratch_load_dwordx2 v[38:39], v18, off
	s_waitcnt vmcnt(0)
	v_div_scale_f64 v[40:41], s[0:1], v[38:39], v[38:39], 1.0
	v_rcp_f64_e32 v[42:43], v[40:41]
	v_div_scale_f64 v[44:45], vcc, 1.0, v[38:39], 1.0
	v_fma_f64 v[46:47], -v[40:41], v[42:43], 1.0
	v_fmac_f64_e32 v[42:43], v[42:43], v[46:47]
	v_fma_f64 v[46:47], -v[40:41], v[42:43], 1.0
	v_fmac_f64_e32 v[42:43], v[42:43], v[46:47]
	v_mul_f64 v[46:47], v[44:45], v[42:43]
	v_fma_f64 v[40:41], -v[40:41], v[46:47], v[44:45]
	v_div_fmas_f64 v[40:41], v[40:41], v[42:43], v[46:47]
	v_div_fixup_f64 v[38:39], v[40:41], v[38:39], 1.0
	scratch_store_dwordx2 v18, v[38:39], off
	v_xor_b32_e32 v39, 0x80000000, v39
.LBB80_3:
	s_cmpk_eq_i32 s4, 0x79
	v_add_u32_e32 v1, 0x90, v18
	v_mov_b32_e32 v19, v18
	s_mov_b64 s[0:1], -1
	ds_write_b64 v18, v[38:39]
	s_cbranch_scc1 .LBB80_157
; %bb.4:
	scratch_load_dwordx2 v[38:39], off, off offset:120
	s_movk_i32 s8, 0x48
	s_movk_i32 s9, 0x50
	s_movk_i32 s20, 0x58
	s_movk_i32 s21, 0x60
	s_movk_i32 s22, 0x68
	s_movk_i32 s23, 0x70
	v_cmp_eq_u32_e64 s[0:1], 16, v0
	s_waitcnt vmcnt(0)
	ds_write_b64 v1, v[38:39]
	s_waitcnt lgkmcnt(0)
	; wave barrier
	s_and_saveexec_b64 s[2:3], s[0:1]
	s_cbranch_execz .LBB80_10
; %bb.5:
	s_and_b64 vcc, exec, s[6:7]
	s_cbranch_vccz .LBB80_7
; %bb.6:
	scratch_load_dwordx2 v[38:39], v19, off
	ds_read_b64 v[40:41], v1
	s_waitcnt vmcnt(0) lgkmcnt(0)
	v_mul_f64 v[38:39], v[38:39], v[40:41]
	s_cbranch_execz .LBB80_8
	s_branch .LBB80_9
.LBB80_7:
                                        ; implicit-def: $vgpr38_vgpr39
.LBB80_8:
	ds_read_b64 v[38:39], v1
.LBB80_9:
	v_mov_b32_e32 v40, 0
	ds_read_b64 v[40:41], v40 offset:120
	s_waitcnt lgkmcnt(0)
	v_mul_f64 v[38:39], v[38:39], v[40:41]
	scratch_store_dwordx2 off, v[38:39], off offset:120
.LBB80_10:
	s_or_b64 exec, exec, s[2:3]
	scratch_load_dwordx2 v[38:39], off, off offset:112
	s_or_b32 s10, 0, 8
	s_mov_b32 s11, 16
	s_mov_b32 s12, 24
	;; [unrolled: 1-line block ×9, first 2 shown]
	v_cmp_lt_u32_e64 s[2:3], 14, v0
	s_waitcnt vmcnt(0)
	ds_write_b64 v1, v[38:39]
	s_waitcnt lgkmcnt(0)
	; wave barrier
	s_and_saveexec_b64 s[4:5], s[2:3]
	s_cbranch_execz .LBB80_16
; %bb.11:
	s_andn2_b64 vcc, exec, s[6:7]
	s_cbranch_vccnz .LBB80_13
; %bb.12:
	scratch_load_dwordx2 v[38:39], v19, off
	ds_read_b64 v[40:41], v1
	s_waitcnt vmcnt(0) lgkmcnt(0)
	v_mul_f64 v[38:39], v[38:39], v[40:41]
	s_cbranch_execz .LBB80_14
	s_branch .LBB80_15
.LBB80_13:
                                        ; implicit-def: $vgpr38_vgpr39
.LBB80_14:
	ds_read_b64 v[38:39], v1
.LBB80_15:
	scratch_load_dwordx2 v[44:45], off, off offset:120
	v_mov_b32_e32 v40, 0
	ds_read2_b64 v[40:43], v40 offset0:14 offset1:33
	s_waitcnt vmcnt(0) lgkmcnt(0)
	v_fma_f64 v[42:43], v[44:45], v[42:43], v[38:39]
	v_cndmask_b32_e64 v39, v39, v43, s[0:1]
	v_cndmask_b32_e64 v38, v38, v42, s[0:1]
	v_mul_f64 v[38:39], v[38:39], v[40:41]
	scratch_store_dwordx2 off, v[38:39], off offset:112
.LBB80_16:
	s_or_b64 exec, exec, s[4:5]
	scratch_load_dwordx2 v[38:39], off, off offset:104
	v_cmp_lt_u32_e64 s[0:1], 13, v0
	s_waitcnt vmcnt(0)
	ds_write_b64 v1, v[38:39]
	s_waitcnt lgkmcnt(0)
	; wave barrier
	s_and_saveexec_b64 s[4:5], s[0:1]
	s_cbranch_execz .LBB80_26
; %bb.17:
	s_andn2_b64 vcc, exec, s[6:7]
	s_cbranch_vccnz .LBB80_19
; %bb.18:
	scratch_load_dwordx2 v[38:39], v19, off
	ds_read_b64 v[40:41], v1
	s_waitcnt vmcnt(0) lgkmcnt(0)
	v_mul_f64 v[38:39], v[38:39], v[40:41]
	s_cbranch_execz .LBB80_20
	s_branch .LBB80_21
.LBB80_19:
                                        ; implicit-def: $vgpr38_vgpr39
.LBB80_20:
	ds_read_b64 v[38:39], v1
.LBB80_21:
	s_and_saveexec_b64 s[8:9], s[2:3]
	s_cbranch_execz .LBB80_25
; %bb.22:
	v_add_u32_e32 v40, -14, v0
	s_movk_i32 s24, 0x100
	s_mov_b64 s[2:3], 0
.LBB80_23:                              ; =>This Inner Loop Header: Depth=1
	scratch_load_dwordx2 v[42:43], off, s23
	v_mov_b32_e32 v41, s24
	ds_read_b64 v[44:45], v41
	v_add_u32_e32 v40, -1, v40
	s_add_i32 s24, s24, 8
	s_add_i32 s23, s23, 8
	v_cmp_eq_u32_e32 vcc, 0, v40
	s_or_b64 s[2:3], vcc, s[2:3]
	s_waitcnt vmcnt(0) lgkmcnt(0)
	v_fmac_f64_e32 v[38:39], v[42:43], v[44:45]
	s_andn2_b64 exec, exec, s[2:3]
	s_cbranch_execnz .LBB80_23
; %bb.24:
	s_or_b64 exec, exec, s[2:3]
.LBB80_25:
	s_or_b64 exec, exec, s[8:9]
	v_mov_b32_e32 v40, 0
	ds_read_b64 v[40:41], v40 offset:104
	s_waitcnt lgkmcnt(0)
	v_mul_f64 v[38:39], v[38:39], v[40:41]
	scratch_store_dwordx2 off, v[38:39], off offset:104
.LBB80_26:
	s_or_b64 exec, exec, s[4:5]
	scratch_load_dwordx2 v[38:39], off, off offset:96
	v_cmp_lt_u32_e64 s[2:3], 12, v0
	s_waitcnt vmcnt(0)
	ds_write_b64 v1, v[38:39]
	s_waitcnt lgkmcnt(0)
	; wave barrier
	s_and_saveexec_b64 s[4:5], s[2:3]
	s_cbranch_execz .LBB80_36
; %bb.27:
	s_andn2_b64 vcc, exec, s[6:7]
	s_cbranch_vccnz .LBB80_29
; %bb.28:
	scratch_load_dwordx2 v[38:39], v19, off
	ds_read_b64 v[40:41], v1
	s_waitcnt vmcnt(0) lgkmcnt(0)
	v_mul_f64 v[38:39], v[38:39], v[40:41]
	s_cbranch_execz .LBB80_30
	s_branch .LBB80_31
.LBB80_29:
                                        ; implicit-def: $vgpr38_vgpr39
.LBB80_30:
	ds_read_b64 v[38:39], v1
.LBB80_31:
	s_and_saveexec_b64 s[8:9], s[0:1]
	s_cbranch_execz .LBB80_35
; %bb.32:
	v_add_u32_e32 v40, -13, v0
	s_movk_i32 s23, 0xf8
	s_mov_b64 s[0:1], 0
.LBB80_33:                              ; =>This Inner Loop Header: Depth=1
	scratch_load_dwordx2 v[42:43], off, s22
	v_mov_b32_e32 v41, s23
	ds_read_b64 v[44:45], v41
	v_add_u32_e32 v40, -1, v40
	s_add_i32 s23, s23, 8
	s_add_i32 s22, s22, 8
	v_cmp_eq_u32_e32 vcc, 0, v40
	s_or_b64 s[0:1], vcc, s[0:1]
	s_waitcnt vmcnt(0) lgkmcnt(0)
	v_fmac_f64_e32 v[38:39], v[42:43], v[44:45]
	s_andn2_b64 exec, exec, s[0:1]
	s_cbranch_execnz .LBB80_33
; %bb.34:
	s_or_b64 exec, exec, s[0:1]
.LBB80_35:
	s_or_b64 exec, exec, s[8:9]
	v_mov_b32_e32 v40, 0
	ds_read_b64 v[40:41], v40 offset:96
	s_waitcnt lgkmcnt(0)
	v_mul_f64 v[38:39], v[38:39], v[40:41]
	scratch_store_dwordx2 off, v[38:39], off offset:96
.LBB80_36:
	s_or_b64 exec, exec, s[4:5]
	scratch_load_dwordx2 v[38:39], off, off offset:88
	v_cmp_lt_u32_e64 s[0:1], 11, v0
	s_waitcnt vmcnt(0)
	ds_write_b64 v1, v[38:39]
	s_waitcnt lgkmcnt(0)
	; wave barrier
	s_and_saveexec_b64 s[4:5], s[0:1]
	s_cbranch_execz .LBB80_46
; %bb.37:
	s_andn2_b64 vcc, exec, s[6:7]
	s_cbranch_vccnz .LBB80_39
; %bb.38:
	scratch_load_dwordx2 v[38:39], v19, off
	ds_read_b64 v[40:41], v1
	s_waitcnt vmcnt(0) lgkmcnt(0)
	v_mul_f64 v[38:39], v[38:39], v[40:41]
	s_cbranch_execz .LBB80_40
	s_branch .LBB80_41
.LBB80_39:
                                        ; implicit-def: $vgpr38_vgpr39
.LBB80_40:
	ds_read_b64 v[38:39], v1
.LBB80_41:
	s_and_saveexec_b64 s[8:9], s[2:3]
	s_cbranch_execz .LBB80_45
; %bb.42:
	v_add_u32_e32 v40, -12, v0
	s_movk_i32 s22, 0xf0
	s_mov_b64 s[2:3], 0
.LBB80_43:                              ; =>This Inner Loop Header: Depth=1
	scratch_load_dwordx2 v[42:43], off, s21
	v_mov_b32_e32 v41, s22
	ds_read_b64 v[44:45], v41
	v_add_u32_e32 v40, -1, v40
	s_add_i32 s22, s22, 8
	s_add_i32 s21, s21, 8
	v_cmp_eq_u32_e32 vcc, 0, v40
	s_or_b64 s[2:3], vcc, s[2:3]
	s_waitcnt vmcnt(0) lgkmcnt(0)
	v_fmac_f64_e32 v[38:39], v[42:43], v[44:45]
	s_andn2_b64 exec, exec, s[2:3]
	s_cbranch_execnz .LBB80_43
; %bb.44:
	s_or_b64 exec, exec, s[2:3]
.LBB80_45:
	s_or_b64 exec, exec, s[8:9]
	v_mov_b32_e32 v40, 0
	ds_read_b64 v[40:41], v40 offset:88
	s_waitcnt lgkmcnt(0)
	v_mul_f64 v[38:39], v[38:39], v[40:41]
	scratch_store_dwordx2 off, v[38:39], off offset:88
.LBB80_46:
	s_or_b64 exec, exec, s[4:5]
	scratch_load_dwordx2 v[38:39], off, off offset:80
	v_cmp_lt_u32_e64 s[2:3], 10, v0
	s_waitcnt vmcnt(0)
	ds_write_b64 v1, v[38:39]
	s_waitcnt lgkmcnt(0)
	; wave barrier
	s_and_saveexec_b64 s[4:5], s[2:3]
	s_cbranch_execz .LBB80_56
; %bb.47:
	s_andn2_b64 vcc, exec, s[6:7]
	s_cbranch_vccnz .LBB80_49
; %bb.48:
	scratch_load_dwordx2 v[38:39], v19, off
	ds_read_b64 v[40:41], v1
	s_waitcnt vmcnt(0) lgkmcnt(0)
	v_mul_f64 v[38:39], v[38:39], v[40:41]
	s_cbranch_execz .LBB80_50
	s_branch .LBB80_51
.LBB80_49:
                                        ; implicit-def: $vgpr38_vgpr39
.LBB80_50:
	ds_read_b64 v[38:39], v1
.LBB80_51:
	s_and_saveexec_b64 s[8:9], s[0:1]
	s_cbranch_execz .LBB80_55
; %bb.52:
	v_add_u32_e32 v40, -11, v0
	s_movk_i32 s21, 0xe8
	s_mov_b64 s[0:1], 0
.LBB80_53:                              ; =>This Inner Loop Header: Depth=1
	scratch_load_dwordx2 v[42:43], off, s20
	v_mov_b32_e32 v41, s21
	ds_read_b64 v[44:45], v41
	v_add_u32_e32 v40, -1, v40
	s_add_i32 s21, s21, 8
	s_add_i32 s20, s20, 8
	v_cmp_eq_u32_e32 vcc, 0, v40
	s_or_b64 s[0:1], vcc, s[0:1]
	s_waitcnt vmcnt(0) lgkmcnt(0)
	v_fmac_f64_e32 v[38:39], v[42:43], v[44:45]
	s_andn2_b64 exec, exec, s[0:1]
	s_cbranch_execnz .LBB80_53
; %bb.54:
	s_or_b64 exec, exec, s[0:1]
.LBB80_55:
	s_or_b64 exec, exec, s[8:9]
	v_mov_b32_e32 v40, 0
	ds_read_b64 v[40:41], v40 offset:80
	s_waitcnt lgkmcnt(0)
	v_mul_f64 v[38:39], v[38:39], v[40:41]
	scratch_store_dwordx2 off, v[38:39], off offset:80
.LBB80_56:
	s_or_b64 exec, exec, s[4:5]
	scratch_load_dwordx2 v[38:39], off, off offset:72
	v_cmp_lt_u32_e64 s[0:1], 9, v0
	s_waitcnt vmcnt(0)
	ds_write_b64 v1, v[38:39]
	s_waitcnt lgkmcnt(0)
	; wave barrier
	s_and_saveexec_b64 s[4:5], s[0:1]
	s_cbranch_execz .LBB80_66
; %bb.57:
	s_andn2_b64 vcc, exec, s[6:7]
	s_cbranch_vccnz .LBB80_59
; %bb.58:
	scratch_load_dwordx2 v[38:39], v19, off
	ds_read_b64 v[40:41], v1
	s_waitcnt vmcnt(0) lgkmcnt(0)
	v_mul_f64 v[38:39], v[38:39], v[40:41]
	s_cbranch_execz .LBB80_60
	s_branch .LBB80_61
.LBB80_59:
                                        ; implicit-def: $vgpr38_vgpr39
.LBB80_60:
	ds_read_b64 v[38:39], v1
.LBB80_61:
	s_and_saveexec_b64 s[8:9], s[2:3]
	s_cbranch_execz .LBB80_65
; %bb.62:
	v_add_u32_e32 v40, -10, v0
	s_movk_i32 s20, 0xe0
	s_mov_b64 s[2:3], 0
.LBB80_63:                              ; =>This Inner Loop Header: Depth=1
	scratch_load_dwordx2 v[42:43], off, s19
	v_mov_b32_e32 v41, s20
	ds_read_b64 v[44:45], v41
	v_add_u32_e32 v40, -1, v40
	s_add_i32 s20, s20, 8
	s_add_i32 s19, s19, 8
	v_cmp_eq_u32_e32 vcc, 0, v40
	s_or_b64 s[2:3], vcc, s[2:3]
	s_waitcnt vmcnt(0) lgkmcnt(0)
	v_fmac_f64_e32 v[38:39], v[42:43], v[44:45]
	s_andn2_b64 exec, exec, s[2:3]
	s_cbranch_execnz .LBB80_63
; %bb.64:
	s_or_b64 exec, exec, s[2:3]
.LBB80_65:
	s_or_b64 exec, exec, s[8:9]
	v_mov_b32_e32 v40, 0
	ds_read_b64 v[40:41], v40 offset:72
	s_waitcnt lgkmcnt(0)
	v_mul_f64 v[38:39], v[38:39], v[40:41]
	scratch_store_dwordx2 off, v[38:39], off offset:72
.LBB80_66:
	s_or_b64 exec, exec, s[4:5]
	scratch_load_dwordx2 v[38:39], off, off offset:64
	v_cmp_lt_u32_e64 s[2:3], 8, v0
	s_waitcnt vmcnt(0)
	ds_write_b64 v1, v[38:39]
	s_waitcnt lgkmcnt(0)
	; wave barrier
	s_and_saveexec_b64 s[4:5], s[2:3]
	s_cbranch_execz .LBB80_76
; %bb.67:
	s_andn2_b64 vcc, exec, s[6:7]
	s_cbranch_vccnz .LBB80_69
; %bb.68:
	scratch_load_dwordx2 v[38:39], v19, off
	ds_read_b64 v[40:41], v1
	s_waitcnt vmcnt(0) lgkmcnt(0)
	v_mul_f64 v[38:39], v[38:39], v[40:41]
	s_cbranch_execz .LBB80_70
	s_branch .LBB80_71
.LBB80_69:
                                        ; implicit-def: $vgpr38_vgpr39
.LBB80_70:
	ds_read_b64 v[38:39], v1
.LBB80_71:
	s_and_saveexec_b64 s[8:9], s[0:1]
	s_cbranch_execz .LBB80_75
; %bb.72:
	v_add_u32_e32 v40, -9, v0
	s_movk_i32 s19, 0xd8
	s_mov_b64 s[0:1], 0
.LBB80_73:                              ; =>This Inner Loop Header: Depth=1
	scratch_load_dwordx2 v[42:43], off, s18
	v_mov_b32_e32 v41, s19
	ds_read_b64 v[44:45], v41
	v_add_u32_e32 v40, -1, v40
	s_add_i32 s19, s19, 8
	s_add_i32 s18, s18, 8
	v_cmp_eq_u32_e32 vcc, 0, v40
	s_or_b64 s[0:1], vcc, s[0:1]
	s_waitcnt vmcnt(0) lgkmcnt(0)
	v_fmac_f64_e32 v[38:39], v[42:43], v[44:45]
	s_andn2_b64 exec, exec, s[0:1]
	s_cbranch_execnz .LBB80_73
; %bb.74:
	s_or_b64 exec, exec, s[0:1]
.LBB80_75:
	s_or_b64 exec, exec, s[8:9]
	v_mov_b32_e32 v40, 0
	ds_read_b64 v[40:41], v40 offset:64
	s_waitcnt lgkmcnt(0)
	v_mul_f64 v[38:39], v[38:39], v[40:41]
	scratch_store_dwordx2 off, v[38:39], off offset:64
.LBB80_76:
	s_or_b64 exec, exec, s[4:5]
	scratch_load_dwordx2 v[38:39], off, off offset:56
	v_cmp_lt_u32_e64 s[0:1], 7, v0
	s_waitcnt vmcnt(0)
	ds_write_b64 v1, v[38:39]
	s_waitcnt lgkmcnt(0)
	; wave barrier
	s_and_saveexec_b64 s[4:5], s[0:1]
	s_cbranch_execz .LBB80_86
; %bb.77:
	s_andn2_b64 vcc, exec, s[6:7]
	s_cbranch_vccnz .LBB80_79
; %bb.78:
	scratch_load_dwordx2 v[38:39], v19, off
	ds_read_b64 v[40:41], v1
	s_waitcnt vmcnt(0) lgkmcnt(0)
	v_mul_f64 v[38:39], v[38:39], v[40:41]
	s_cbranch_execz .LBB80_80
	s_branch .LBB80_81
.LBB80_79:
                                        ; implicit-def: $vgpr38_vgpr39
.LBB80_80:
	ds_read_b64 v[38:39], v1
.LBB80_81:
	s_and_saveexec_b64 s[8:9], s[2:3]
	s_cbranch_execz .LBB80_85
; %bb.82:
	v_add_u32_e32 v40, -8, v0
	s_movk_i32 s18, 0xd0
	s_mov_b64 s[2:3], 0
.LBB80_83:                              ; =>This Inner Loop Header: Depth=1
	scratch_load_dwordx2 v[42:43], off, s17
	v_mov_b32_e32 v41, s18
	ds_read_b64 v[44:45], v41
	v_add_u32_e32 v40, -1, v40
	s_add_i32 s18, s18, 8
	s_add_i32 s17, s17, 8
	v_cmp_eq_u32_e32 vcc, 0, v40
	s_or_b64 s[2:3], vcc, s[2:3]
	s_waitcnt vmcnt(0) lgkmcnt(0)
	v_fmac_f64_e32 v[38:39], v[42:43], v[44:45]
	s_andn2_b64 exec, exec, s[2:3]
	s_cbranch_execnz .LBB80_83
; %bb.84:
	s_or_b64 exec, exec, s[2:3]
.LBB80_85:
	s_or_b64 exec, exec, s[8:9]
	v_mov_b32_e32 v40, 0
	ds_read_b64 v[40:41], v40 offset:56
	s_waitcnt lgkmcnt(0)
	v_mul_f64 v[38:39], v[38:39], v[40:41]
	scratch_store_dwordx2 off, v[38:39], off offset:56
.LBB80_86:
	s_or_b64 exec, exec, s[4:5]
	scratch_load_dwordx2 v[38:39], off, off offset:48
	v_cmp_lt_u32_e64 s[2:3], 6, v0
	s_waitcnt vmcnt(0)
	ds_write_b64 v1, v[38:39]
	s_waitcnt lgkmcnt(0)
	; wave barrier
	s_and_saveexec_b64 s[4:5], s[2:3]
	s_cbranch_execz .LBB80_96
; %bb.87:
	s_andn2_b64 vcc, exec, s[6:7]
	s_cbranch_vccnz .LBB80_89
; %bb.88:
	scratch_load_dwordx2 v[38:39], v19, off
	ds_read_b64 v[40:41], v1
	s_waitcnt vmcnt(0) lgkmcnt(0)
	v_mul_f64 v[38:39], v[38:39], v[40:41]
	s_cbranch_execz .LBB80_90
	s_branch .LBB80_91
.LBB80_89:
                                        ; implicit-def: $vgpr38_vgpr39
.LBB80_90:
	ds_read_b64 v[38:39], v1
.LBB80_91:
	s_and_saveexec_b64 s[8:9], s[0:1]
	s_cbranch_execz .LBB80_95
; %bb.92:
	v_add_u32_e32 v40, -7, v0
	s_movk_i32 s17, 0xc8
	s_mov_b64 s[0:1], 0
.LBB80_93:                              ; =>This Inner Loop Header: Depth=1
	scratch_load_dwordx2 v[42:43], off, s16
	v_mov_b32_e32 v41, s17
	ds_read_b64 v[44:45], v41
	v_add_u32_e32 v40, -1, v40
	s_add_i32 s17, s17, 8
	s_add_i32 s16, s16, 8
	v_cmp_eq_u32_e32 vcc, 0, v40
	s_or_b64 s[0:1], vcc, s[0:1]
	s_waitcnt vmcnt(0) lgkmcnt(0)
	v_fmac_f64_e32 v[38:39], v[42:43], v[44:45]
	s_andn2_b64 exec, exec, s[0:1]
	s_cbranch_execnz .LBB80_93
; %bb.94:
	s_or_b64 exec, exec, s[0:1]
.LBB80_95:
	s_or_b64 exec, exec, s[8:9]
	v_mov_b32_e32 v40, 0
	ds_read_b64 v[40:41], v40 offset:48
	s_waitcnt lgkmcnt(0)
	v_mul_f64 v[38:39], v[38:39], v[40:41]
	scratch_store_dwordx2 off, v[38:39], off offset:48
.LBB80_96:
	s_or_b64 exec, exec, s[4:5]
	scratch_load_dwordx2 v[38:39], off, off offset:40
	v_cmp_lt_u32_e64 s[0:1], 5, v0
	s_waitcnt vmcnt(0)
	ds_write_b64 v1, v[38:39]
	s_waitcnt lgkmcnt(0)
	; wave barrier
	s_and_saveexec_b64 s[4:5], s[0:1]
	s_cbranch_execz .LBB80_106
; %bb.97:
	s_andn2_b64 vcc, exec, s[6:7]
	s_cbranch_vccnz .LBB80_99
; %bb.98:
	scratch_load_dwordx2 v[38:39], v19, off
	ds_read_b64 v[40:41], v1
	s_waitcnt vmcnt(0) lgkmcnt(0)
	v_mul_f64 v[38:39], v[38:39], v[40:41]
	s_cbranch_execz .LBB80_100
	s_branch .LBB80_101
.LBB80_99:
                                        ; implicit-def: $vgpr38_vgpr39
.LBB80_100:
	ds_read_b64 v[38:39], v1
.LBB80_101:
	s_and_saveexec_b64 s[8:9], s[2:3]
	s_cbranch_execz .LBB80_105
; %bb.102:
	v_add_u32_e32 v40, -6, v0
	s_movk_i32 s16, 0xc0
	s_mov_b64 s[2:3], 0
.LBB80_103:                             ; =>This Inner Loop Header: Depth=1
	scratch_load_dwordx2 v[42:43], off, s15
	v_mov_b32_e32 v41, s16
	ds_read_b64 v[44:45], v41
	v_add_u32_e32 v40, -1, v40
	s_add_i32 s16, s16, 8
	s_add_i32 s15, s15, 8
	v_cmp_eq_u32_e32 vcc, 0, v40
	s_or_b64 s[2:3], vcc, s[2:3]
	s_waitcnt vmcnt(0) lgkmcnt(0)
	v_fmac_f64_e32 v[38:39], v[42:43], v[44:45]
	s_andn2_b64 exec, exec, s[2:3]
	s_cbranch_execnz .LBB80_103
; %bb.104:
	s_or_b64 exec, exec, s[2:3]
.LBB80_105:
	s_or_b64 exec, exec, s[8:9]
	v_mov_b32_e32 v40, 0
	ds_read_b64 v[40:41], v40 offset:40
	s_waitcnt lgkmcnt(0)
	v_mul_f64 v[38:39], v[38:39], v[40:41]
	scratch_store_dwordx2 off, v[38:39], off offset:40
.LBB80_106:
	s_or_b64 exec, exec, s[4:5]
	scratch_load_dwordx2 v[38:39], off, off offset:32
	v_cmp_lt_u32_e64 s[2:3], 4, v0
	s_waitcnt vmcnt(0)
	ds_write_b64 v1, v[38:39]
	s_waitcnt lgkmcnt(0)
	; wave barrier
	s_and_saveexec_b64 s[4:5], s[2:3]
	s_cbranch_execz .LBB80_116
; %bb.107:
	s_andn2_b64 vcc, exec, s[6:7]
	s_cbranch_vccnz .LBB80_109
; %bb.108:
	scratch_load_dwordx2 v[38:39], v19, off
	ds_read_b64 v[40:41], v1
	s_waitcnt vmcnt(0) lgkmcnt(0)
	v_mul_f64 v[38:39], v[38:39], v[40:41]
	s_cbranch_execz .LBB80_110
	s_branch .LBB80_111
.LBB80_109:
                                        ; implicit-def: $vgpr38_vgpr39
.LBB80_110:
	ds_read_b64 v[38:39], v1
.LBB80_111:
	s_and_saveexec_b64 s[8:9], s[0:1]
	s_cbranch_execz .LBB80_115
; %bb.112:
	v_add_u32_e32 v40, -5, v0
	s_movk_i32 s15, 0xb8
	s_mov_b64 s[0:1], 0
.LBB80_113:                             ; =>This Inner Loop Header: Depth=1
	scratch_load_dwordx2 v[42:43], off, s14
	v_mov_b32_e32 v41, s15
	ds_read_b64 v[44:45], v41
	v_add_u32_e32 v40, -1, v40
	s_add_i32 s15, s15, 8
	s_add_i32 s14, s14, 8
	v_cmp_eq_u32_e32 vcc, 0, v40
	s_or_b64 s[0:1], vcc, s[0:1]
	s_waitcnt vmcnt(0) lgkmcnt(0)
	v_fmac_f64_e32 v[38:39], v[42:43], v[44:45]
	s_andn2_b64 exec, exec, s[0:1]
	s_cbranch_execnz .LBB80_113
; %bb.114:
	s_or_b64 exec, exec, s[0:1]
.LBB80_115:
	s_or_b64 exec, exec, s[8:9]
	v_mov_b32_e32 v40, 0
	ds_read_b64 v[40:41], v40 offset:32
	s_waitcnt lgkmcnt(0)
	v_mul_f64 v[38:39], v[38:39], v[40:41]
	scratch_store_dwordx2 off, v[38:39], off offset:32
.LBB80_116:
	;; [unrolled: 53-line block ×5, first 2 shown]
	s_or_b64 exec, exec, s[4:5]
	scratch_load_dwordx2 v[38:39], off, off
	v_cmp_ne_u32_e32 vcc, 0, v0
	s_waitcnt vmcnt(0)
	ds_write_b64 v1, v[38:39]
	s_waitcnt lgkmcnt(0)
	; wave barrier
	s_and_saveexec_b64 s[2:3], vcc
	s_cbranch_execz .LBB80_156
; %bb.147:
	s_andn2_b64 vcc, exec, s[6:7]
	s_cbranch_vccnz .LBB80_149
; %bb.148:
	scratch_load_dwordx2 v[38:39], v19, off
	ds_read_b64 v[40:41], v1
	s_waitcnt vmcnt(0) lgkmcnt(0)
	v_mul_f64 v[38:39], v[38:39], v[40:41]
	s_cbranch_execz .LBB80_150
	s_branch .LBB80_151
.LBB80_149:
                                        ; implicit-def: $vgpr38_vgpr39
.LBB80_150:
	ds_read_b64 v[38:39], v1
.LBB80_151:
	s_and_saveexec_b64 s[4:5], s[0:1]
	s_cbranch_execz .LBB80_155
; %bb.152:
	v_add_u32_e32 v40, -1, v0
	s_movk_i32 s8, 0x98
	s_mov_b64 s[0:1], 0
.LBB80_153:                             ; =>This Inner Loop Header: Depth=1
	scratch_load_dwordx2 v[42:43], off, s10
	v_mov_b32_e32 v41, s8
	ds_read_b64 v[44:45], v41
	v_add_u32_e32 v40, -1, v40
	s_add_i32 s8, s8, 8
	s_add_i32 s10, s10, 8
	v_cmp_eq_u32_e32 vcc, 0, v40
	s_or_b64 s[0:1], vcc, s[0:1]
	s_waitcnt vmcnt(0) lgkmcnt(0)
	v_fmac_f64_e32 v[38:39], v[42:43], v[44:45]
	s_andn2_b64 exec, exec, s[0:1]
	s_cbranch_execnz .LBB80_153
; %bb.154:
	s_or_b64 exec, exec, s[0:1]
.LBB80_155:
	s_or_b64 exec, exec, s[4:5]
	v_mov_b32_e32 v40, 0
	ds_read_b64 v[40:41], v40
	s_waitcnt lgkmcnt(0)
	v_mul_f64 v[38:39], v[38:39], v[40:41]
	scratch_store_dwordx2 off, v[38:39], off
.LBB80_156:
	s_or_b64 exec, exec, s[2:3]
	s_mov_b64 s[0:1], 0
.LBB80_157:
	s_and_b64 vcc, exec, s[0:1]
	s_cbranch_vccz .LBB80_309
; %bb.158:
	scratch_load_dwordx2 v[38:39], off, off offset:8
	v_cmp_eq_u32_e64 s[2:3], 0, v0
	s_waitcnt vmcnt(0)
	ds_write_b64 v1, v[38:39]
	s_waitcnt lgkmcnt(0)
	; wave barrier
	s_and_saveexec_b64 s[0:1], s[2:3]
	s_cbranch_execz .LBB80_164
; %bb.159:
	s_and_b64 vcc, exec, s[6:7]
	s_cbranch_vccz .LBB80_161
; %bb.160:
	scratch_load_dwordx2 v[38:39], v19, off
	ds_read_b64 v[40:41], v1
	s_waitcnt vmcnt(0) lgkmcnt(0)
	v_mul_f64 v[38:39], v[38:39], v[40:41]
	s_cbranch_execz .LBB80_162
	s_branch .LBB80_163
.LBB80_161:
                                        ; implicit-def: $vgpr38_vgpr39
.LBB80_162:
	ds_read_b64 v[38:39], v1
.LBB80_163:
	v_mov_b32_e32 v40, 0
	ds_read_b64 v[40:41], v40 offset:8
	s_waitcnt lgkmcnt(0)
	v_mul_f64 v[38:39], v[38:39], v[40:41]
	scratch_store_dwordx2 off, v[38:39], off offset:8
.LBB80_164:
	s_or_b64 exec, exec, s[0:1]
	scratch_load_dwordx2 v[38:39], off, off offset:16
	v_cndmask_b32_e64 v40, 0, 1, s[6:7]
	v_cmp_gt_u32_e32 vcc, 2, v0
	v_cmp_ne_u32_e64 s[0:1], 1, v40
	s_waitcnt vmcnt(0)
	ds_write_b64 v1, v[38:39]
	s_waitcnt lgkmcnt(0)
	; wave barrier
	s_and_saveexec_b64 s[4:5], vcc
	s_cbranch_execz .LBB80_170
; %bb.165:
	s_and_b64 vcc, exec, s[0:1]
	s_cbranch_vccnz .LBB80_167
; %bb.166:
	scratch_load_dwordx2 v[38:39], v19, off
	ds_read_b64 v[40:41], v1
	s_waitcnt vmcnt(0) lgkmcnt(0)
	v_mul_f64 v[38:39], v[38:39], v[40:41]
	s_cbranch_execz .LBB80_168
	s_branch .LBB80_169
.LBB80_167:
                                        ; implicit-def: $vgpr38_vgpr39
.LBB80_168:
	ds_read_b64 v[38:39], v1
.LBB80_169:
	scratch_load_dwordx2 v[44:45], off, off offset:8
	v_mov_b32_e32 v40, 0
	ds_read2_b64 v[40:43], v40 offset0:2 offset1:19
	s_waitcnt vmcnt(0) lgkmcnt(0)
	v_fma_f64 v[42:43], v[44:45], v[42:43], v[38:39]
	v_cndmask_b32_e64 v39, v39, v43, s[2:3]
	v_cndmask_b32_e64 v38, v38, v42, s[2:3]
	v_mul_f64 v[38:39], v[38:39], v[40:41]
	scratch_store_dwordx2 off, v[38:39], off offset:16
.LBB80_170:
	s_or_b64 exec, exec, s[4:5]
	scratch_load_dwordx2 v[38:39], off, off offset:24
	v_cmp_gt_u32_e32 vcc, 3, v0
	s_waitcnt vmcnt(0)
	ds_write_b64 v1, v[38:39]
	s_waitcnt lgkmcnt(0)
	; wave barrier
	s_and_saveexec_b64 s[4:5], vcc
	s_cbranch_execz .LBB80_178
; %bb.171:
	s_and_b64 vcc, exec, s[0:1]
	s_cbranch_vccnz .LBB80_173
; %bb.172:
	scratch_load_dwordx2 v[38:39], v19, off
	ds_read_b64 v[40:41], v1
	s_waitcnt vmcnt(0) lgkmcnt(0)
	v_mul_f64 v[38:39], v[38:39], v[40:41]
	s_cbranch_execz .LBB80_174
	s_branch .LBB80_175
.LBB80_173:
                                        ; implicit-def: $vgpr38_vgpr39
.LBB80_174:
	ds_read_b64 v[38:39], v1
.LBB80_175:
	v_cmp_ne_u32_e32 vcc, 2, v0
	s_and_saveexec_b64 s[6:7], vcc
	s_cbranch_execz .LBB80_177
; %bb.176:
	scratch_load_dwordx2 v[40:41], v19, off offset:8
	scratch_load_dwordx2 v[42:43], off, off offset:16
	ds_read_b64 v[44:45], v1 offset:8
	v_mov_b32_e32 v46, 0
	ds_read_b64 v[46:47], v46 offset:160
	s_waitcnt vmcnt(1) lgkmcnt(1)
	v_fmac_f64_e32 v[38:39], v[40:41], v[44:45]
	s_waitcnt vmcnt(0) lgkmcnt(0)
	v_fma_f64 v[40:41], v[42:43], v[46:47], v[38:39]
	v_cndmask_b32_e64 v39, v39, v41, s[2:3]
	v_cndmask_b32_e64 v38, v38, v40, s[2:3]
.LBB80_177:
	s_or_b64 exec, exec, s[6:7]
	v_mov_b32_e32 v40, 0
	ds_read_b64 v[40:41], v40 offset:24
	s_waitcnt lgkmcnt(0)
	v_mul_f64 v[38:39], v[38:39], v[40:41]
	scratch_store_dwordx2 off, v[38:39], off offset:24
.LBB80_178:
	s_or_b64 exec, exec, s[4:5]
	scratch_load_dwordx2 v[38:39], off, off offset:32
	v_cmp_gt_u32_e32 vcc, 4, v0
	s_waitcnt vmcnt(0)
	ds_write_b64 v1, v[38:39]
	s_waitcnt lgkmcnt(0)
	; wave barrier
	s_and_saveexec_b64 s[2:3], vcc
	s_cbranch_execz .LBB80_188
; %bb.179:
	s_and_b64 vcc, exec, s[0:1]
	s_cbranch_vccnz .LBB80_181
; %bb.180:
	scratch_load_dwordx2 v[38:39], v19, off
	ds_read_b64 v[40:41], v1
	s_waitcnt vmcnt(0) lgkmcnt(0)
	v_mul_f64 v[38:39], v[38:39], v[40:41]
	s_cbranch_execz .LBB80_182
	s_branch .LBB80_183
.LBB80_181:
                                        ; implicit-def: $vgpr38_vgpr39
.LBB80_182:
	ds_read_b64 v[38:39], v1
.LBB80_183:
	v_cmp_ne_u32_e32 vcc, 3, v0
	s_and_saveexec_b64 s[4:5], vcc
	s_cbranch_execz .LBB80_187
; %bb.184:
	s_mov_b32 s6, 0
	v_add_u32_e32 v40, 0x98, v18
	v_add3_u32 v41, v18, s6, 8
	s_mov_b64 s[6:7], 0
	v_mov_b32_e32 v42, v0
.LBB80_185:                             ; =>This Inner Loop Header: Depth=1
	scratch_load_dwordx2 v[44:45], v41, off
	ds_read_b64 v[46:47], v40
	v_add_u32_e32 v42, 1, v42
	v_cmp_lt_u32_e32 vcc, 2, v42
	v_add_u32_e32 v40, 8, v40
	v_add_u32_e32 v41, 8, v41
	s_or_b64 s[6:7], vcc, s[6:7]
	s_waitcnt vmcnt(0) lgkmcnt(0)
	v_fmac_f64_e32 v[38:39], v[44:45], v[46:47]
	s_andn2_b64 exec, exec, s[6:7]
	s_cbranch_execnz .LBB80_185
; %bb.186:
	s_or_b64 exec, exec, s[6:7]
.LBB80_187:
	s_or_b64 exec, exec, s[4:5]
	v_mov_b32_e32 v40, 0
	ds_read_b64 v[40:41], v40 offset:32
	s_waitcnt lgkmcnt(0)
	v_mul_f64 v[38:39], v[38:39], v[40:41]
	scratch_store_dwordx2 off, v[38:39], off offset:32
.LBB80_188:
	s_or_b64 exec, exec, s[2:3]
	scratch_load_dwordx2 v[38:39], off, off offset:40
	v_cmp_gt_u32_e32 vcc, 5, v0
	s_waitcnt vmcnt(0)
	ds_write_b64 v1, v[38:39]
	s_waitcnt lgkmcnt(0)
	; wave barrier
	s_and_saveexec_b64 s[2:3], vcc
	s_cbranch_execz .LBB80_198
; %bb.189:
	s_and_b64 vcc, exec, s[0:1]
	s_cbranch_vccnz .LBB80_191
; %bb.190:
	scratch_load_dwordx2 v[38:39], v19, off
	ds_read_b64 v[40:41], v1
	s_waitcnt vmcnt(0) lgkmcnt(0)
	v_mul_f64 v[38:39], v[38:39], v[40:41]
	s_cbranch_execz .LBB80_192
	s_branch .LBB80_193
.LBB80_191:
                                        ; implicit-def: $vgpr38_vgpr39
.LBB80_192:
	ds_read_b64 v[38:39], v1
.LBB80_193:
	v_cmp_ne_u32_e32 vcc, 4, v0
	s_and_saveexec_b64 s[4:5], vcc
	s_cbranch_execz .LBB80_197
; %bb.194:
	s_mov_b32 s6, 0
	v_add_u32_e32 v40, 0x98, v18
	v_add3_u32 v41, v18, s6, 8
	s_mov_b64 s[6:7], 0
	v_mov_b32_e32 v42, v0
.LBB80_195:                             ; =>This Inner Loop Header: Depth=1
	scratch_load_dwordx2 v[44:45], v41, off
	ds_read_b64 v[46:47], v40
	v_add_u32_e32 v42, 1, v42
	v_cmp_lt_u32_e32 vcc, 3, v42
	v_add_u32_e32 v40, 8, v40
	v_add_u32_e32 v41, 8, v41
	s_or_b64 s[6:7], vcc, s[6:7]
	s_waitcnt vmcnt(0) lgkmcnt(0)
	v_fmac_f64_e32 v[38:39], v[44:45], v[46:47]
	s_andn2_b64 exec, exec, s[6:7]
	s_cbranch_execnz .LBB80_195
; %bb.196:
	s_or_b64 exec, exec, s[6:7]
.LBB80_197:
	s_or_b64 exec, exec, s[4:5]
	v_mov_b32_e32 v40, 0
	ds_read_b64 v[40:41], v40 offset:40
	s_waitcnt lgkmcnt(0)
	v_mul_f64 v[38:39], v[38:39], v[40:41]
	scratch_store_dwordx2 off, v[38:39], off offset:40
.LBB80_198:
	;; [unrolled: 55-line block ×11, first 2 shown]
	s_or_b64 exec, exec, s[2:3]
	scratch_load_dwordx2 v[38:39], off, off offset:120
	v_cmp_gt_u32_e64 s[2:3], 15, v0
	s_waitcnt vmcnt(0)
	ds_write_b64 v1, v[38:39]
	s_waitcnt lgkmcnt(0)
	; wave barrier
	s_and_saveexec_b64 s[4:5], s[2:3]
	s_cbranch_execz .LBB80_298
; %bb.289:
	s_and_b64 vcc, exec, s[0:1]
	s_cbranch_vccnz .LBB80_291
; %bb.290:
	scratch_load_dwordx2 v[38:39], v19, off
	ds_read_b64 v[40:41], v1
	s_waitcnt vmcnt(0) lgkmcnt(0)
	v_mul_f64 v[38:39], v[38:39], v[40:41]
	s_cbranch_execz .LBB80_292
	s_branch .LBB80_293
.LBB80_291:
                                        ; implicit-def: $vgpr38_vgpr39
.LBB80_292:
	ds_read_b64 v[38:39], v1
.LBB80_293:
	v_cmp_ne_u32_e32 vcc, 14, v0
	s_and_saveexec_b64 s[6:7], vcc
	s_cbranch_execz .LBB80_297
; %bb.294:
	s_mov_b32 s8, 0
	v_add_u32_e32 v40, 0x98, v18
	v_add3_u32 v41, v18, s8, 8
	s_mov_b64 s[8:9], 0
	v_mov_b32_e32 v42, v0
.LBB80_295:                             ; =>This Inner Loop Header: Depth=1
	scratch_load_dwordx2 v[44:45], v41, off
	ds_read_b64 v[46:47], v40
	v_add_u32_e32 v42, 1, v42
	v_cmp_lt_u32_e32 vcc, 13, v42
	v_add_u32_e32 v40, 8, v40
	v_add_u32_e32 v41, 8, v41
	s_or_b64 s[8:9], vcc, s[8:9]
	s_waitcnt vmcnt(0) lgkmcnt(0)
	v_fmac_f64_e32 v[38:39], v[44:45], v[46:47]
	s_andn2_b64 exec, exec, s[8:9]
	s_cbranch_execnz .LBB80_295
; %bb.296:
	s_or_b64 exec, exec, s[8:9]
.LBB80_297:
	s_or_b64 exec, exec, s[6:7]
	v_mov_b32_e32 v40, 0
	ds_read_b64 v[40:41], v40 offset:120
	s_waitcnt lgkmcnt(0)
	v_mul_f64 v[38:39], v[38:39], v[40:41]
	scratch_store_dwordx2 off, v[38:39], off offset:120
.LBB80_298:
	s_or_b64 exec, exec, s[4:5]
	scratch_load_dwordx2 v[38:39], off, off offset:128
	v_cmp_ne_u32_e32 vcc, 16, v0
	s_waitcnt vmcnt(0)
	ds_write_b64 v1, v[38:39]
	s_waitcnt lgkmcnt(0)
	; wave barrier
	s_and_saveexec_b64 s[4:5], vcc
	s_cbranch_execz .LBB80_308
; %bb.299:
	s_and_b64 vcc, exec, s[0:1]
	s_cbranch_vccnz .LBB80_301
; %bb.300:
	scratch_load_dwordx2 v[38:39], v19, off
	ds_read_b64 v[40:41], v1
	s_waitcnt vmcnt(0) lgkmcnt(0)
	v_mul_f64 v[38:39], v[38:39], v[40:41]
	s_cbranch_execz .LBB80_302
	s_branch .LBB80_303
.LBB80_301:
                                        ; implicit-def: $vgpr38_vgpr39
.LBB80_302:
	ds_read_b64 v[38:39], v1
.LBB80_303:
	s_and_saveexec_b64 s[0:1], s[2:3]
	s_cbranch_execz .LBB80_307
; %bb.304:
	s_mov_b32 s2, 0
	v_add_u32_e32 v1, 0x98, v18
	v_add3_u32 v18, v18, s2, 8
	s_mov_b64 s[2:3], 0
.LBB80_305:                             ; =>This Inner Loop Header: Depth=1
	scratch_load_dwordx2 v[40:41], v18, off
	ds_read_b64 v[42:43], v1
	v_add_u32_e32 v0, 1, v0
	v_cmp_lt_u32_e32 vcc, 14, v0
	v_add_u32_e32 v1, 8, v1
	v_add_u32_e32 v18, 8, v18
	s_or_b64 s[2:3], vcc, s[2:3]
	s_waitcnt vmcnt(0) lgkmcnt(0)
	v_fmac_f64_e32 v[38:39], v[40:41], v[42:43]
	s_andn2_b64 exec, exec, s[2:3]
	s_cbranch_execnz .LBB80_305
; %bb.306:
	s_or_b64 exec, exec, s[2:3]
.LBB80_307:
	s_or_b64 exec, exec, s[0:1]
	v_mov_b32_e32 v0, 0
	ds_read_b64 v[0:1], v0 offset:128
	s_waitcnt lgkmcnt(0)
	v_mul_f64 v[0:1], v[38:39], v[0:1]
	scratch_store_dwordx2 off, v[0:1], off offset:128
.LBB80_308:
	s_or_b64 exec, exec, s[4:5]
.LBB80_309:
	scratch_load_dwordx2 v[0:1], off, off
	s_waitcnt vmcnt(0)
	flat_store_dwordx2 v[2:3], v[0:1]
	scratch_load_dwordx2 v[0:1], off, off offset:8
	s_waitcnt vmcnt(0)
	flat_store_dwordx2 v[4:5], v[0:1]
	scratch_load_dwordx2 v[0:1], off, off offset:16
	;; [unrolled: 3-line block ×16, first 2 shown]
	s_waitcnt vmcnt(0)
	flat_store_dwordx2 v[36:37], v[0:1]
.LBB80_310:
	s_endpgm
	.section	.rodata,"a",@progbits
	.p2align	6, 0x0
	.amdhsa_kernel _ZN9rocsolver6v33100L18trti2_kernel_smallILi17EdPKPdEEv13rocblas_fill_17rocblas_diagonal_T1_iil
		.amdhsa_group_segment_fixed_size 280
		.amdhsa_private_segment_fixed_size 144
		.amdhsa_kernarg_size 32
		.amdhsa_user_sgpr_count 2
		.amdhsa_user_sgpr_dispatch_ptr 0
		.amdhsa_user_sgpr_queue_ptr 0
		.amdhsa_user_sgpr_kernarg_segment_ptr 1
		.amdhsa_user_sgpr_dispatch_id 0
		.amdhsa_user_sgpr_kernarg_preload_length 0
		.amdhsa_user_sgpr_kernarg_preload_offset 0
		.amdhsa_user_sgpr_private_segment_size 0
		.amdhsa_uses_dynamic_stack 0
		.amdhsa_enable_private_segment 1
		.amdhsa_system_sgpr_workgroup_id_x 1
		.amdhsa_system_sgpr_workgroup_id_y 0
		.amdhsa_system_sgpr_workgroup_id_z 0
		.amdhsa_system_sgpr_workgroup_info 0
		.amdhsa_system_vgpr_workitem_id 0
		.amdhsa_next_free_vgpr 48
		.amdhsa_next_free_sgpr 25
		.amdhsa_accum_offset 48
		.amdhsa_reserve_vcc 1
		.amdhsa_float_round_mode_32 0
		.amdhsa_float_round_mode_16_64 0
		.amdhsa_float_denorm_mode_32 3
		.amdhsa_float_denorm_mode_16_64 3
		.amdhsa_dx10_clamp 1
		.amdhsa_ieee_mode 1
		.amdhsa_fp16_overflow 0
		.amdhsa_tg_split 0
		.amdhsa_exception_fp_ieee_invalid_op 0
		.amdhsa_exception_fp_denorm_src 0
		.amdhsa_exception_fp_ieee_div_zero 0
		.amdhsa_exception_fp_ieee_overflow 0
		.amdhsa_exception_fp_ieee_underflow 0
		.amdhsa_exception_fp_ieee_inexact 0
		.amdhsa_exception_int_div_zero 0
	.end_amdhsa_kernel
	.section	.text._ZN9rocsolver6v33100L18trti2_kernel_smallILi17EdPKPdEEv13rocblas_fill_17rocblas_diagonal_T1_iil,"axG",@progbits,_ZN9rocsolver6v33100L18trti2_kernel_smallILi17EdPKPdEEv13rocblas_fill_17rocblas_diagonal_T1_iil,comdat
.Lfunc_end80:
	.size	_ZN9rocsolver6v33100L18trti2_kernel_smallILi17EdPKPdEEv13rocblas_fill_17rocblas_diagonal_T1_iil, .Lfunc_end80-_ZN9rocsolver6v33100L18trti2_kernel_smallILi17EdPKPdEEv13rocblas_fill_17rocblas_diagonal_T1_iil
                                        ; -- End function
	.set _ZN9rocsolver6v33100L18trti2_kernel_smallILi17EdPKPdEEv13rocblas_fill_17rocblas_diagonal_T1_iil.num_vgpr, 48
	.set _ZN9rocsolver6v33100L18trti2_kernel_smallILi17EdPKPdEEv13rocblas_fill_17rocblas_diagonal_T1_iil.num_agpr, 0
	.set _ZN9rocsolver6v33100L18trti2_kernel_smallILi17EdPKPdEEv13rocblas_fill_17rocblas_diagonal_T1_iil.numbered_sgpr, 25
	.set _ZN9rocsolver6v33100L18trti2_kernel_smallILi17EdPKPdEEv13rocblas_fill_17rocblas_diagonal_T1_iil.num_named_barrier, 0
	.set _ZN9rocsolver6v33100L18trti2_kernel_smallILi17EdPKPdEEv13rocblas_fill_17rocblas_diagonal_T1_iil.private_seg_size, 144
	.set _ZN9rocsolver6v33100L18trti2_kernel_smallILi17EdPKPdEEv13rocblas_fill_17rocblas_diagonal_T1_iil.uses_vcc, 1
	.set _ZN9rocsolver6v33100L18trti2_kernel_smallILi17EdPKPdEEv13rocblas_fill_17rocblas_diagonal_T1_iil.uses_flat_scratch, 0
	.set _ZN9rocsolver6v33100L18trti2_kernel_smallILi17EdPKPdEEv13rocblas_fill_17rocblas_diagonal_T1_iil.has_dyn_sized_stack, 0
	.set _ZN9rocsolver6v33100L18trti2_kernel_smallILi17EdPKPdEEv13rocblas_fill_17rocblas_diagonal_T1_iil.has_recursion, 0
	.set _ZN9rocsolver6v33100L18trti2_kernel_smallILi17EdPKPdEEv13rocblas_fill_17rocblas_diagonal_T1_iil.has_indirect_call, 0
	.section	.AMDGPU.csdata,"",@progbits
; Kernel info:
; codeLenInByte = 7944
; TotalNumSgprs: 31
; NumVgprs: 48
; NumAgprs: 0
; TotalNumVgprs: 48
; ScratchSize: 144
; MemoryBound: 0
; FloatMode: 240
; IeeeMode: 1
; LDSByteSize: 280 bytes/workgroup (compile time only)
; SGPRBlocks: 3
; VGPRBlocks: 5
; NumSGPRsForWavesPerEU: 31
; NumVGPRsForWavesPerEU: 48
; AccumOffset: 48
; Occupancy: 8
; WaveLimiterHint : 1
; COMPUTE_PGM_RSRC2:SCRATCH_EN: 1
; COMPUTE_PGM_RSRC2:USER_SGPR: 2
; COMPUTE_PGM_RSRC2:TRAP_HANDLER: 0
; COMPUTE_PGM_RSRC2:TGID_X_EN: 1
; COMPUTE_PGM_RSRC2:TGID_Y_EN: 0
; COMPUTE_PGM_RSRC2:TGID_Z_EN: 0
; COMPUTE_PGM_RSRC2:TIDIG_COMP_CNT: 0
; COMPUTE_PGM_RSRC3_GFX90A:ACCUM_OFFSET: 11
; COMPUTE_PGM_RSRC3_GFX90A:TG_SPLIT: 0
	.section	.text._ZN9rocsolver6v33100L18trti2_kernel_smallILi18EdPKPdEEv13rocblas_fill_17rocblas_diagonal_T1_iil,"axG",@progbits,_ZN9rocsolver6v33100L18trti2_kernel_smallILi18EdPKPdEEv13rocblas_fill_17rocblas_diagonal_T1_iil,comdat
	.globl	_ZN9rocsolver6v33100L18trti2_kernel_smallILi18EdPKPdEEv13rocblas_fill_17rocblas_diagonal_T1_iil ; -- Begin function _ZN9rocsolver6v33100L18trti2_kernel_smallILi18EdPKPdEEv13rocblas_fill_17rocblas_diagonal_T1_iil
	.p2align	8
	.type	_ZN9rocsolver6v33100L18trti2_kernel_smallILi18EdPKPdEEv13rocblas_fill_17rocblas_diagonal_T1_iil,@function
_ZN9rocsolver6v33100L18trti2_kernel_smallILi18EdPKPdEEv13rocblas_fill_17rocblas_diagonal_T1_iil: ; @_ZN9rocsolver6v33100L18trti2_kernel_smallILi18EdPKPdEEv13rocblas_fill_17rocblas_diagonal_T1_iil
; %bb.0:
	v_cmp_gt_u32_e32 vcc, 18, v0
	s_and_saveexec_b64 s[4:5], vcc
	s_cbranch_execz .LBB81_330
; %bb.1:
	s_load_dwordx2 s[8:9], s[0:1], 0x10
	s_load_dwordx4 s[4:7], s[0:1], 0x0
	s_ashr_i32 s3, s2, 31
	s_lshl_b64 s[0:1], s[2:3], 3
	v_lshlrev_b32_e32 v18, 3, v0
	s_waitcnt lgkmcnt(0)
	s_ashr_i32 s3, s8, 31
	s_add_u32 s0, s6, s0
	s_addc_u32 s1, s7, s1
	s_load_dwordx2 s[0:1], s[0:1], 0x0
	s_mov_b32 s2, s8
	s_lshl_b64 s[2:3], s[2:3], 3
	v_mov_b32_e32 v19, 0
	s_waitcnt lgkmcnt(0)
	s_add_u32 s0, s0, s2
	s_addc_u32 s1, s1, s3
	v_lshl_add_u64 v[2:3], s[0:1], 0, v[18:19]
	flat_load_dwordx2 v[6:7], v[2:3]
	s_mov_b32 s2, s9
	s_ashr_i32 s3, s9, 31
	v_lshl_add_u64 v[4:5], s[2:3], 3, v[2:3]
	s_add_i32 s2, s9, s9
	v_add_u32_e32 v10, s2, v0
	v_ashrrev_i32_e32 v11, 31, v10
	s_cmpk_lg_i32 s5, 0x84
	s_cselect_b64 s[6:7], -1, 0
	s_cmpk_eq_i32 s5, 0x84
	s_waitcnt vmcnt(0) lgkmcnt(0)
	scratch_store_dwordx2 off, v[6:7], off
	flat_load_dwordx2 v[8:9], v[4:5]
	v_lshl_add_u64 v[6:7], v[10:11], 3, s[0:1]
	v_add_u32_e32 v10, s9, v10
	v_ashrrev_i32_e32 v11, 31, v10
	v_add_u32_e32 v14, s9, v10
	v_ashrrev_i32_e32 v15, 31, v14
	s_waitcnt vmcnt(0) lgkmcnt(0)
	scratch_store_dwordx2 off, v[8:9], off offset:8
	flat_load_dwordx2 v[12:13], v[6:7]
	v_lshl_add_u64 v[8:9], v[10:11], 3, s[0:1]
	v_lshl_add_u64 v[10:11], v[14:15], 3, s[0:1]
	v_add_u32_e32 v14, s9, v14
	v_ashrrev_i32_e32 v15, 31, v14
	v_add_u32_e32 v20, s9, v14
	v_ashrrev_i32_e32 v21, 31, v20
	s_waitcnt vmcnt(0) lgkmcnt(0)
	scratch_store_dwordx2 off, v[12:13], off offset:16
	flat_load_dwordx2 v[12:13], v[8:9]
	s_waitcnt vmcnt(0) lgkmcnt(0)
	scratch_store_dwordx2 off, v[12:13], off offset:24
	flat_load_dwordx2 v[16:17], v[10:11]
	v_lshl_add_u64 v[12:13], v[14:15], 3, s[0:1]
	v_lshl_add_u64 v[14:15], v[20:21], 3, s[0:1]
	v_add_u32_e32 v20, s9, v20
	v_ashrrev_i32_e32 v21, 31, v20
	v_add_u32_e32 v24, s9, v20
	v_ashrrev_i32_e32 v25, 31, v24
	s_waitcnt vmcnt(0) lgkmcnt(0)
	scratch_store_dwordx2 off, v[16:17], off offset:32
	flat_load_dwordx2 v[16:17], v[12:13]
	;; [unrolled: 12-line block ×6, first 2 shown]
	s_waitcnt vmcnt(0) lgkmcnt(0)
	scratch_store_dwordx2 off, v[34:35], off offset:104
	flat_load_dwordx2 v[38:39], v[32:33]
	v_lshl_add_u64 v[34:35], v[36:37], 3, s[0:1]
	v_lshl_add_u64 v[36:37], v[40:41], 3, s[0:1]
	s_waitcnt vmcnt(0) lgkmcnt(0)
	scratch_store_dwordx2 off, v[38:39], off offset:112
	flat_load_dwordx2 v[38:39], v[34:35]
	s_waitcnt vmcnt(0) lgkmcnt(0)
	scratch_store_dwordx2 off, v[38:39], off offset:120
	flat_load_dwordx2 v[42:43], v[36:37]
	v_add_u32_e32 v38, s9, v40
	v_ashrrev_i32_e32 v39, 31, v38
	v_lshl_add_u64 v[38:39], v[38:39], 3, s[0:1]
	s_waitcnt vmcnt(0) lgkmcnt(0)
	scratch_store_dwordx2 off, v[42:43], off offset:128
	flat_load_dwordx2 v[40:41], v[38:39]
	s_waitcnt vmcnt(0) lgkmcnt(0)
	scratch_store_dwordx2 off, v[40:41], off offset:136
	v_mov_b64_e32 v[40:41], -1.0
	s_cbranch_scc1 .LBB81_3
; %bb.2:
	scratch_load_dwordx2 v[40:41], v18, off
	s_waitcnt vmcnt(0)
	v_div_scale_f64 v[42:43], s[0:1], v[40:41], v[40:41], 1.0
	v_rcp_f64_e32 v[44:45], v[42:43]
	v_div_scale_f64 v[46:47], vcc, 1.0, v[40:41], 1.0
	v_fma_f64 v[48:49], -v[42:43], v[44:45], 1.0
	v_fmac_f64_e32 v[44:45], v[44:45], v[48:49]
	v_fma_f64 v[48:49], -v[42:43], v[44:45], 1.0
	v_fmac_f64_e32 v[44:45], v[44:45], v[48:49]
	v_mul_f64 v[48:49], v[46:47], v[44:45]
	v_fma_f64 v[42:43], -v[42:43], v[48:49], v[46:47]
	v_div_fmas_f64 v[42:43], v[42:43], v[44:45], v[48:49]
	v_div_fixup_f64 v[40:41], v[42:43], v[40:41], 1.0
	scratch_store_dwordx2 v18, v[40:41], off
	v_xor_b32_e32 v41, 0x80000000, v41
.LBB81_3:
	s_cmpk_eq_i32 s4, 0x79
	v_add_u32_e32 v1, 0x90, v18
	v_mov_b32_e32 v19, v18
	s_mov_b64 s[0:1], -1
	ds_write_b64 v18, v[40:41]
	s_cbranch_scc1 .LBB81_167
; %bb.4:
	scratch_load_dwordx2 v[40:41], off, off offset:128
	s_movk_i32 s8, 0x48
	s_movk_i32 s9, 0x50
	;; [unrolled: 1-line block ×7, first 2 shown]
	v_cmp_eq_u32_e64 s[0:1], 17, v0
	s_waitcnt vmcnt(0)
	ds_write_b64 v1, v[40:41]
	s_waitcnt lgkmcnt(0)
	; wave barrier
	s_and_saveexec_b64 s[2:3], s[0:1]
	s_cbranch_execz .LBB81_10
; %bb.5:
	s_and_b64 vcc, exec, s[6:7]
	s_cbranch_vccz .LBB81_7
; %bb.6:
	scratch_load_dwordx2 v[40:41], v19, off
	ds_read_b64 v[42:43], v1
	s_waitcnt vmcnt(0) lgkmcnt(0)
	v_mul_f64 v[40:41], v[40:41], v[42:43]
	s_cbranch_execz .LBB81_8
	s_branch .LBB81_9
.LBB81_7:
                                        ; implicit-def: $vgpr40_vgpr41
.LBB81_8:
	ds_read_b64 v[40:41], v1
.LBB81_9:
	v_mov_b32_e32 v42, 0
	ds_read_b64 v[42:43], v42 offset:128
	s_waitcnt lgkmcnt(0)
	v_mul_f64 v[40:41], v[40:41], v[42:43]
	scratch_store_dwordx2 off, v[40:41], off offset:128
.LBB81_10:
	s_or_b64 exec, exec, s[2:3]
	scratch_load_dwordx2 v[40:41], off, off offset:120
	s_or_b32 s10, 0, 8
	s_mov_b32 s11, 16
	s_mov_b32 s12, 24
	s_mov_b32 s13, 32
	s_mov_b32 s14, 40
	s_mov_b32 s15, 48
	s_mov_b32 s16, 56
	s_mov_b32 s17, 64
	s_mov_b32 s18, s8
	s_mov_b32 s19, s9
	v_cmp_lt_u32_e64 s[2:3], 15, v0
	s_waitcnt vmcnt(0)
	ds_write_b64 v1, v[40:41]
	s_waitcnt lgkmcnt(0)
	; wave barrier
	s_and_saveexec_b64 s[4:5], s[2:3]
	s_cbranch_execz .LBB81_16
; %bb.11:
	s_andn2_b64 vcc, exec, s[6:7]
	s_cbranch_vccnz .LBB81_13
; %bb.12:
	scratch_load_dwordx2 v[40:41], v19, off
	ds_read_b64 v[42:43], v1
	s_waitcnt vmcnt(0) lgkmcnt(0)
	v_mul_f64 v[40:41], v[40:41], v[42:43]
	s_cbranch_execz .LBB81_14
	s_branch .LBB81_15
.LBB81_13:
                                        ; implicit-def: $vgpr40_vgpr41
.LBB81_14:
	ds_read_b64 v[40:41], v1
.LBB81_15:
	scratch_load_dwordx2 v[46:47], off, off offset:128
	v_mov_b32_e32 v42, 0
	ds_read2_b64 v[42:45], v42 offset0:15 offset1:34
	s_waitcnt vmcnt(0) lgkmcnt(0)
	v_fma_f64 v[44:45], v[46:47], v[44:45], v[40:41]
	v_cndmask_b32_e64 v41, v41, v45, s[0:1]
	v_cndmask_b32_e64 v40, v40, v44, s[0:1]
	v_mul_f64 v[40:41], v[40:41], v[42:43]
	scratch_store_dwordx2 off, v[40:41], off offset:120
.LBB81_16:
	s_or_b64 exec, exec, s[4:5]
	scratch_load_dwordx2 v[40:41], off, off offset:112
	v_cmp_lt_u32_e64 s[0:1], 14, v0
	s_waitcnt vmcnt(0)
	ds_write_b64 v1, v[40:41]
	s_waitcnt lgkmcnt(0)
	; wave barrier
	s_and_saveexec_b64 s[4:5], s[0:1]
	s_cbranch_execz .LBB81_26
; %bb.17:
	s_andn2_b64 vcc, exec, s[6:7]
	s_cbranch_vccnz .LBB81_19
; %bb.18:
	scratch_load_dwordx2 v[40:41], v19, off
	ds_read_b64 v[42:43], v1
	s_waitcnt vmcnt(0) lgkmcnt(0)
	v_mul_f64 v[40:41], v[40:41], v[42:43]
	s_cbranch_execz .LBB81_20
	s_branch .LBB81_21
.LBB81_19:
                                        ; implicit-def: $vgpr40_vgpr41
.LBB81_20:
	ds_read_b64 v[40:41], v1
.LBB81_21:
	s_and_saveexec_b64 s[8:9], s[2:3]
	s_cbranch_execz .LBB81_25
; %bb.22:
	v_add_u32_e32 v42, -15, v0
	s_movk_i32 s25, 0x108
	s_mov_b64 s[2:3], 0
.LBB81_23:                              ; =>This Inner Loop Header: Depth=1
	scratch_load_dwordx2 v[44:45], off, s24
	v_mov_b32_e32 v43, s25
	ds_read_b64 v[46:47], v43
	v_add_u32_e32 v42, -1, v42
	s_add_i32 s25, s25, 8
	s_add_i32 s24, s24, 8
	v_cmp_eq_u32_e32 vcc, 0, v42
	s_or_b64 s[2:3], vcc, s[2:3]
	s_waitcnt vmcnt(0) lgkmcnt(0)
	v_fmac_f64_e32 v[40:41], v[44:45], v[46:47]
	s_andn2_b64 exec, exec, s[2:3]
	s_cbranch_execnz .LBB81_23
; %bb.24:
	s_or_b64 exec, exec, s[2:3]
.LBB81_25:
	s_or_b64 exec, exec, s[8:9]
	v_mov_b32_e32 v42, 0
	ds_read_b64 v[42:43], v42 offset:112
	s_waitcnt lgkmcnt(0)
	v_mul_f64 v[40:41], v[40:41], v[42:43]
	scratch_store_dwordx2 off, v[40:41], off offset:112
.LBB81_26:
	s_or_b64 exec, exec, s[4:5]
	scratch_load_dwordx2 v[40:41], off, off offset:104
	v_cmp_lt_u32_e64 s[2:3], 13, v0
	s_waitcnt vmcnt(0)
	ds_write_b64 v1, v[40:41]
	s_waitcnt lgkmcnt(0)
	; wave barrier
	s_and_saveexec_b64 s[4:5], s[2:3]
	s_cbranch_execz .LBB81_36
; %bb.27:
	s_andn2_b64 vcc, exec, s[6:7]
	s_cbranch_vccnz .LBB81_29
; %bb.28:
	scratch_load_dwordx2 v[40:41], v19, off
	ds_read_b64 v[42:43], v1
	s_waitcnt vmcnt(0) lgkmcnt(0)
	v_mul_f64 v[40:41], v[40:41], v[42:43]
	s_cbranch_execz .LBB81_30
	s_branch .LBB81_31
.LBB81_29:
                                        ; implicit-def: $vgpr40_vgpr41
.LBB81_30:
	ds_read_b64 v[40:41], v1
.LBB81_31:
	s_and_saveexec_b64 s[8:9], s[0:1]
	s_cbranch_execz .LBB81_35
; %bb.32:
	v_add_u32_e32 v42, -14, v0
	s_movk_i32 s24, 0x100
	s_mov_b64 s[0:1], 0
.LBB81_33:                              ; =>This Inner Loop Header: Depth=1
	scratch_load_dwordx2 v[44:45], off, s23
	v_mov_b32_e32 v43, s24
	ds_read_b64 v[46:47], v43
	v_add_u32_e32 v42, -1, v42
	s_add_i32 s24, s24, 8
	s_add_i32 s23, s23, 8
	v_cmp_eq_u32_e32 vcc, 0, v42
	s_or_b64 s[0:1], vcc, s[0:1]
	s_waitcnt vmcnt(0) lgkmcnt(0)
	v_fmac_f64_e32 v[40:41], v[44:45], v[46:47]
	s_andn2_b64 exec, exec, s[0:1]
	s_cbranch_execnz .LBB81_33
; %bb.34:
	s_or_b64 exec, exec, s[0:1]
.LBB81_35:
	s_or_b64 exec, exec, s[8:9]
	v_mov_b32_e32 v42, 0
	ds_read_b64 v[42:43], v42 offset:104
	s_waitcnt lgkmcnt(0)
	v_mul_f64 v[40:41], v[40:41], v[42:43]
	scratch_store_dwordx2 off, v[40:41], off offset:104
.LBB81_36:
	;; [unrolled: 53-line block ×8, first 2 shown]
	s_or_b64 exec, exec, s[4:5]
	scratch_load_dwordx2 v[40:41], off, off offset:48
	v_cmp_lt_u32_e64 s[0:1], 6, v0
	s_waitcnt vmcnt(0)
	ds_write_b64 v1, v[40:41]
	s_waitcnt lgkmcnt(0)
	; wave barrier
	s_and_saveexec_b64 s[4:5], s[0:1]
	s_cbranch_execz .LBB81_106
; %bb.97:
	s_andn2_b64 vcc, exec, s[6:7]
	s_cbranch_vccnz .LBB81_99
; %bb.98:
	scratch_load_dwordx2 v[40:41], v19, off
	ds_read_b64 v[42:43], v1
	s_waitcnt vmcnt(0) lgkmcnt(0)
	v_mul_f64 v[40:41], v[40:41], v[42:43]
	s_cbranch_execz .LBB81_100
	s_branch .LBB81_101
.LBB81_99:
                                        ; implicit-def: $vgpr40_vgpr41
.LBB81_100:
	ds_read_b64 v[40:41], v1
.LBB81_101:
	s_and_saveexec_b64 s[8:9], s[2:3]
	s_cbranch_execz .LBB81_105
; %bb.102:
	v_add_u32_e32 v42, -7, v0
	s_movk_i32 s17, 0xc8
	s_mov_b64 s[2:3], 0
.LBB81_103:                             ; =>This Inner Loop Header: Depth=1
	scratch_load_dwordx2 v[44:45], off, s16
	v_mov_b32_e32 v43, s17
	ds_read_b64 v[46:47], v43
	v_add_u32_e32 v42, -1, v42
	s_add_i32 s17, s17, 8
	s_add_i32 s16, s16, 8
	v_cmp_eq_u32_e32 vcc, 0, v42
	s_or_b64 s[2:3], vcc, s[2:3]
	s_waitcnt vmcnt(0) lgkmcnt(0)
	v_fmac_f64_e32 v[40:41], v[44:45], v[46:47]
	s_andn2_b64 exec, exec, s[2:3]
	s_cbranch_execnz .LBB81_103
; %bb.104:
	s_or_b64 exec, exec, s[2:3]
.LBB81_105:
	s_or_b64 exec, exec, s[8:9]
	v_mov_b32_e32 v42, 0
	ds_read_b64 v[42:43], v42 offset:48
	s_waitcnt lgkmcnt(0)
	v_mul_f64 v[40:41], v[40:41], v[42:43]
	scratch_store_dwordx2 off, v[40:41], off offset:48
.LBB81_106:
	s_or_b64 exec, exec, s[4:5]
	scratch_load_dwordx2 v[40:41], off, off offset:40
	v_cmp_lt_u32_e64 s[2:3], 5, v0
	s_waitcnt vmcnt(0)
	ds_write_b64 v1, v[40:41]
	s_waitcnt lgkmcnt(0)
	; wave barrier
	s_and_saveexec_b64 s[4:5], s[2:3]
	s_cbranch_execz .LBB81_116
; %bb.107:
	s_andn2_b64 vcc, exec, s[6:7]
	s_cbranch_vccnz .LBB81_109
; %bb.108:
	scratch_load_dwordx2 v[40:41], v19, off
	ds_read_b64 v[42:43], v1
	s_waitcnt vmcnt(0) lgkmcnt(0)
	v_mul_f64 v[40:41], v[40:41], v[42:43]
	s_cbranch_execz .LBB81_110
	s_branch .LBB81_111
.LBB81_109:
                                        ; implicit-def: $vgpr40_vgpr41
.LBB81_110:
	ds_read_b64 v[40:41], v1
.LBB81_111:
	s_and_saveexec_b64 s[8:9], s[0:1]
	s_cbranch_execz .LBB81_115
; %bb.112:
	v_add_u32_e32 v42, -6, v0
	s_movk_i32 s16, 0xc0
	s_mov_b64 s[0:1], 0
.LBB81_113:                             ; =>This Inner Loop Header: Depth=1
	scratch_load_dwordx2 v[44:45], off, s15
	v_mov_b32_e32 v43, s16
	ds_read_b64 v[46:47], v43
	v_add_u32_e32 v42, -1, v42
	s_add_i32 s16, s16, 8
	s_add_i32 s15, s15, 8
	v_cmp_eq_u32_e32 vcc, 0, v42
	s_or_b64 s[0:1], vcc, s[0:1]
	s_waitcnt vmcnt(0) lgkmcnt(0)
	v_fmac_f64_e32 v[40:41], v[44:45], v[46:47]
	s_andn2_b64 exec, exec, s[0:1]
	s_cbranch_execnz .LBB81_113
; %bb.114:
	s_or_b64 exec, exec, s[0:1]
.LBB81_115:
	s_or_b64 exec, exec, s[8:9]
	v_mov_b32_e32 v42, 0
	ds_read_b64 v[42:43], v42 offset:40
	s_waitcnt lgkmcnt(0)
	v_mul_f64 v[40:41], v[40:41], v[42:43]
	scratch_store_dwordx2 off, v[40:41], off offset:40
.LBB81_116:
	;; [unrolled: 53-line block ×6, first 2 shown]
	s_or_b64 exec, exec, s[4:5]
	scratch_load_dwordx2 v[40:41], off, off
	v_cmp_ne_u32_e32 vcc, 0, v0
	s_waitcnt vmcnt(0)
	ds_write_b64 v1, v[40:41]
	s_waitcnt lgkmcnt(0)
	; wave barrier
	s_and_saveexec_b64 s[0:1], vcc
	s_cbranch_execz .LBB81_166
; %bb.157:
	s_andn2_b64 vcc, exec, s[6:7]
	s_cbranch_vccnz .LBB81_159
; %bb.158:
	scratch_load_dwordx2 v[40:41], v19, off
	ds_read_b64 v[42:43], v1
	s_waitcnt vmcnt(0) lgkmcnt(0)
	v_mul_f64 v[40:41], v[40:41], v[42:43]
	s_cbranch_execz .LBB81_160
	s_branch .LBB81_161
.LBB81_159:
                                        ; implicit-def: $vgpr40_vgpr41
.LBB81_160:
	ds_read_b64 v[40:41], v1
.LBB81_161:
	s_and_saveexec_b64 s[4:5], s[2:3]
	s_cbranch_execz .LBB81_165
; %bb.162:
	v_add_u32_e32 v42, -1, v0
	s_movk_i32 s8, 0x98
	s_mov_b64 s[2:3], 0
.LBB81_163:                             ; =>This Inner Loop Header: Depth=1
	scratch_load_dwordx2 v[44:45], off, s10
	v_mov_b32_e32 v43, s8
	ds_read_b64 v[46:47], v43
	v_add_u32_e32 v42, -1, v42
	s_add_i32 s8, s8, 8
	s_add_i32 s10, s10, 8
	v_cmp_eq_u32_e32 vcc, 0, v42
	s_or_b64 s[2:3], vcc, s[2:3]
	s_waitcnt vmcnt(0) lgkmcnt(0)
	v_fmac_f64_e32 v[40:41], v[44:45], v[46:47]
	s_andn2_b64 exec, exec, s[2:3]
	s_cbranch_execnz .LBB81_163
; %bb.164:
	s_or_b64 exec, exec, s[2:3]
.LBB81_165:
	s_or_b64 exec, exec, s[4:5]
	v_mov_b32_e32 v42, 0
	ds_read_b64 v[42:43], v42
	s_waitcnt lgkmcnt(0)
	v_mul_f64 v[40:41], v[40:41], v[42:43]
	scratch_store_dwordx2 off, v[40:41], off
.LBB81_166:
	s_or_b64 exec, exec, s[0:1]
	s_mov_b64 s[0:1], 0
.LBB81_167:
	s_and_b64 vcc, exec, s[0:1]
	s_cbranch_vccz .LBB81_329
; %bb.168:
	scratch_load_dwordx2 v[40:41], off, off offset:8
	v_cmp_eq_u32_e64 s[2:3], 0, v0
	s_waitcnt vmcnt(0)
	ds_write_b64 v1, v[40:41]
	s_waitcnt lgkmcnt(0)
	; wave barrier
	s_and_saveexec_b64 s[0:1], s[2:3]
	s_cbranch_execz .LBB81_174
; %bb.169:
	s_and_b64 vcc, exec, s[6:7]
	s_cbranch_vccz .LBB81_171
; %bb.170:
	scratch_load_dwordx2 v[40:41], v19, off
	ds_read_b64 v[42:43], v1
	s_waitcnt vmcnt(0) lgkmcnt(0)
	v_mul_f64 v[40:41], v[40:41], v[42:43]
	s_cbranch_execz .LBB81_172
	s_branch .LBB81_173
.LBB81_171:
                                        ; implicit-def: $vgpr40_vgpr41
.LBB81_172:
	ds_read_b64 v[40:41], v1
.LBB81_173:
	v_mov_b32_e32 v42, 0
	ds_read_b64 v[42:43], v42 offset:8
	s_waitcnt lgkmcnt(0)
	v_mul_f64 v[40:41], v[40:41], v[42:43]
	scratch_store_dwordx2 off, v[40:41], off offset:8
.LBB81_174:
	s_or_b64 exec, exec, s[0:1]
	scratch_load_dwordx2 v[40:41], off, off offset:16
	v_cndmask_b32_e64 v42, 0, 1, s[6:7]
	v_cmp_gt_u32_e32 vcc, 2, v0
	v_cmp_ne_u32_e64 s[0:1], 1, v42
	s_waitcnt vmcnt(0)
	ds_write_b64 v1, v[40:41]
	s_waitcnt lgkmcnt(0)
	; wave barrier
	s_and_saveexec_b64 s[4:5], vcc
	s_cbranch_execz .LBB81_180
; %bb.175:
	s_and_b64 vcc, exec, s[0:1]
	s_cbranch_vccnz .LBB81_177
; %bb.176:
	scratch_load_dwordx2 v[40:41], v19, off
	ds_read_b64 v[42:43], v1
	s_waitcnt vmcnt(0) lgkmcnt(0)
	v_mul_f64 v[40:41], v[40:41], v[42:43]
	s_cbranch_execz .LBB81_178
	s_branch .LBB81_179
.LBB81_177:
                                        ; implicit-def: $vgpr40_vgpr41
.LBB81_178:
	ds_read_b64 v[40:41], v1
.LBB81_179:
	scratch_load_dwordx2 v[46:47], off, off offset:8
	v_mov_b32_e32 v42, 0
	ds_read2_b64 v[42:45], v42 offset0:2 offset1:19
	s_waitcnt vmcnt(0) lgkmcnt(0)
	v_fma_f64 v[44:45], v[46:47], v[44:45], v[40:41]
	v_cndmask_b32_e64 v41, v41, v45, s[2:3]
	v_cndmask_b32_e64 v40, v40, v44, s[2:3]
	v_mul_f64 v[40:41], v[40:41], v[42:43]
	scratch_store_dwordx2 off, v[40:41], off offset:16
.LBB81_180:
	s_or_b64 exec, exec, s[4:5]
	scratch_load_dwordx2 v[40:41], off, off offset:24
	v_cmp_gt_u32_e32 vcc, 3, v0
	s_waitcnt vmcnt(0)
	ds_write_b64 v1, v[40:41]
	s_waitcnt lgkmcnt(0)
	; wave barrier
	s_and_saveexec_b64 s[4:5], vcc
	s_cbranch_execz .LBB81_188
; %bb.181:
	s_and_b64 vcc, exec, s[0:1]
	s_cbranch_vccnz .LBB81_183
; %bb.182:
	scratch_load_dwordx2 v[40:41], v19, off
	ds_read_b64 v[42:43], v1
	s_waitcnt vmcnt(0) lgkmcnt(0)
	v_mul_f64 v[40:41], v[40:41], v[42:43]
	s_cbranch_execz .LBB81_184
	s_branch .LBB81_185
.LBB81_183:
                                        ; implicit-def: $vgpr40_vgpr41
.LBB81_184:
	ds_read_b64 v[40:41], v1
.LBB81_185:
	v_cmp_ne_u32_e32 vcc, 2, v0
	s_and_saveexec_b64 s[6:7], vcc
	s_cbranch_execz .LBB81_187
; %bb.186:
	scratch_load_dwordx2 v[42:43], v19, off offset:8
	scratch_load_dwordx2 v[44:45], off, off offset:16
	ds_read_b64 v[46:47], v1 offset:8
	v_mov_b32_e32 v48, 0
	ds_read_b64 v[48:49], v48 offset:160
	s_waitcnt vmcnt(1) lgkmcnt(1)
	v_fmac_f64_e32 v[40:41], v[42:43], v[46:47]
	s_waitcnt vmcnt(0) lgkmcnt(0)
	v_fma_f64 v[42:43], v[44:45], v[48:49], v[40:41]
	v_cndmask_b32_e64 v41, v41, v43, s[2:3]
	v_cndmask_b32_e64 v40, v40, v42, s[2:3]
.LBB81_187:
	s_or_b64 exec, exec, s[6:7]
	v_mov_b32_e32 v42, 0
	ds_read_b64 v[42:43], v42 offset:24
	s_waitcnt lgkmcnt(0)
	v_mul_f64 v[40:41], v[40:41], v[42:43]
	scratch_store_dwordx2 off, v[40:41], off offset:24
.LBB81_188:
	s_or_b64 exec, exec, s[4:5]
	scratch_load_dwordx2 v[40:41], off, off offset:32
	v_cmp_gt_u32_e32 vcc, 4, v0
	s_waitcnt vmcnt(0)
	ds_write_b64 v1, v[40:41]
	s_waitcnt lgkmcnt(0)
	; wave barrier
	s_and_saveexec_b64 s[2:3], vcc
	s_cbranch_execz .LBB81_198
; %bb.189:
	s_and_b64 vcc, exec, s[0:1]
	s_cbranch_vccnz .LBB81_191
; %bb.190:
	scratch_load_dwordx2 v[40:41], v19, off
	ds_read_b64 v[42:43], v1
	s_waitcnt vmcnt(0) lgkmcnt(0)
	v_mul_f64 v[40:41], v[40:41], v[42:43]
	s_cbranch_execz .LBB81_192
	s_branch .LBB81_193
.LBB81_191:
                                        ; implicit-def: $vgpr40_vgpr41
.LBB81_192:
	ds_read_b64 v[40:41], v1
.LBB81_193:
	v_cmp_ne_u32_e32 vcc, 3, v0
	s_and_saveexec_b64 s[4:5], vcc
	s_cbranch_execz .LBB81_197
; %bb.194:
	s_mov_b32 s6, 0
	v_add_u32_e32 v42, 0x98, v18
	v_add3_u32 v43, v18, s6, 8
	s_mov_b64 s[6:7], 0
	v_mov_b32_e32 v44, v0
.LBB81_195:                             ; =>This Inner Loop Header: Depth=1
	scratch_load_dwordx2 v[46:47], v43, off
	ds_read_b64 v[48:49], v42
	v_add_u32_e32 v44, 1, v44
	v_cmp_lt_u32_e32 vcc, 2, v44
	v_add_u32_e32 v42, 8, v42
	v_add_u32_e32 v43, 8, v43
	s_or_b64 s[6:7], vcc, s[6:7]
	s_waitcnt vmcnt(0) lgkmcnt(0)
	v_fmac_f64_e32 v[40:41], v[46:47], v[48:49]
	s_andn2_b64 exec, exec, s[6:7]
	s_cbranch_execnz .LBB81_195
; %bb.196:
	s_or_b64 exec, exec, s[6:7]
.LBB81_197:
	s_or_b64 exec, exec, s[4:5]
	v_mov_b32_e32 v42, 0
	ds_read_b64 v[42:43], v42 offset:32
	s_waitcnt lgkmcnt(0)
	v_mul_f64 v[40:41], v[40:41], v[42:43]
	scratch_store_dwordx2 off, v[40:41], off offset:32
.LBB81_198:
	s_or_b64 exec, exec, s[2:3]
	scratch_load_dwordx2 v[40:41], off, off offset:40
	v_cmp_gt_u32_e32 vcc, 5, v0
	s_waitcnt vmcnt(0)
	ds_write_b64 v1, v[40:41]
	s_waitcnt lgkmcnt(0)
	; wave barrier
	s_and_saveexec_b64 s[2:3], vcc
	s_cbranch_execz .LBB81_208
; %bb.199:
	s_and_b64 vcc, exec, s[0:1]
	s_cbranch_vccnz .LBB81_201
; %bb.200:
	scratch_load_dwordx2 v[40:41], v19, off
	ds_read_b64 v[42:43], v1
	s_waitcnt vmcnt(0) lgkmcnt(0)
	v_mul_f64 v[40:41], v[40:41], v[42:43]
	s_cbranch_execz .LBB81_202
	s_branch .LBB81_203
.LBB81_201:
                                        ; implicit-def: $vgpr40_vgpr41
.LBB81_202:
	ds_read_b64 v[40:41], v1
.LBB81_203:
	v_cmp_ne_u32_e32 vcc, 4, v0
	s_and_saveexec_b64 s[4:5], vcc
	s_cbranch_execz .LBB81_207
; %bb.204:
	s_mov_b32 s6, 0
	v_add_u32_e32 v42, 0x98, v18
	v_add3_u32 v43, v18, s6, 8
	s_mov_b64 s[6:7], 0
	v_mov_b32_e32 v44, v0
.LBB81_205:                             ; =>This Inner Loop Header: Depth=1
	scratch_load_dwordx2 v[46:47], v43, off
	ds_read_b64 v[48:49], v42
	v_add_u32_e32 v44, 1, v44
	v_cmp_lt_u32_e32 vcc, 3, v44
	v_add_u32_e32 v42, 8, v42
	v_add_u32_e32 v43, 8, v43
	s_or_b64 s[6:7], vcc, s[6:7]
	s_waitcnt vmcnt(0) lgkmcnt(0)
	v_fmac_f64_e32 v[40:41], v[46:47], v[48:49]
	s_andn2_b64 exec, exec, s[6:7]
	s_cbranch_execnz .LBB81_205
; %bb.206:
	s_or_b64 exec, exec, s[6:7]
.LBB81_207:
	s_or_b64 exec, exec, s[4:5]
	v_mov_b32_e32 v42, 0
	ds_read_b64 v[42:43], v42 offset:40
	s_waitcnt lgkmcnt(0)
	v_mul_f64 v[40:41], v[40:41], v[42:43]
	scratch_store_dwordx2 off, v[40:41], off offset:40
.LBB81_208:
	;; [unrolled: 55-line block ×12, first 2 shown]
	s_or_b64 exec, exec, s[2:3]
	scratch_load_dwordx2 v[40:41], off, off offset:128
	v_cmp_gt_u32_e64 s[2:3], 16, v0
	s_waitcnt vmcnt(0)
	ds_write_b64 v1, v[40:41]
	s_waitcnt lgkmcnt(0)
	; wave barrier
	s_and_saveexec_b64 s[4:5], s[2:3]
	s_cbranch_execz .LBB81_318
; %bb.309:
	s_and_b64 vcc, exec, s[0:1]
	s_cbranch_vccnz .LBB81_311
; %bb.310:
	scratch_load_dwordx2 v[40:41], v19, off
	ds_read_b64 v[42:43], v1
	s_waitcnt vmcnt(0) lgkmcnt(0)
	v_mul_f64 v[40:41], v[40:41], v[42:43]
	s_cbranch_execz .LBB81_312
	s_branch .LBB81_313
.LBB81_311:
                                        ; implicit-def: $vgpr40_vgpr41
.LBB81_312:
	ds_read_b64 v[40:41], v1
.LBB81_313:
	v_cmp_ne_u32_e32 vcc, 15, v0
	s_and_saveexec_b64 s[6:7], vcc
	s_cbranch_execz .LBB81_317
; %bb.314:
	s_mov_b32 s8, 0
	v_add_u32_e32 v42, 0x98, v18
	v_add3_u32 v43, v18, s8, 8
	s_mov_b64 s[8:9], 0
	v_mov_b32_e32 v44, v0
.LBB81_315:                             ; =>This Inner Loop Header: Depth=1
	scratch_load_dwordx2 v[46:47], v43, off
	ds_read_b64 v[48:49], v42
	v_add_u32_e32 v44, 1, v44
	v_cmp_lt_u32_e32 vcc, 14, v44
	v_add_u32_e32 v42, 8, v42
	v_add_u32_e32 v43, 8, v43
	s_or_b64 s[8:9], vcc, s[8:9]
	s_waitcnt vmcnt(0) lgkmcnt(0)
	v_fmac_f64_e32 v[40:41], v[46:47], v[48:49]
	s_andn2_b64 exec, exec, s[8:9]
	s_cbranch_execnz .LBB81_315
; %bb.316:
	s_or_b64 exec, exec, s[8:9]
.LBB81_317:
	s_or_b64 exec, exec, s[6:7]
	v_mov_b32_e32 v42, 0
	ds_read_b64 v[42:43], v42 offset:128
	s_waitcnt lgkmcnt(0)
	v_mul_f64 v[40:41], v[40:41], v[42:43]
	scratch_store_dwordx2 off, v[40:41], off offset:128
.LBB81_318:
	s_or_b64 exec, exec, s[4:5]
	scratch_load_dwordx2 v[40:41], off, off offset:136
	v_cmp_ne_u32_e32 vcc, 17, v0
	s_waitcnt vmcnt(0)
	ds_write_b64 v1, v[40:41]
	s_waitcnt lgkmcnt(0)
	; wave barrier
	s_and_saveexec_b64 s[4:5], vcc
	s_cbranch_execz .LBB81_328
; %bb.319:
	s_and_b64 vcc, exec, s[0:1]
	s_cbranch_vccnz .LBB81_321
; %bb.320:
	scratch_load_dwordx2 v[40:41], v19, off
	ds_read_b64 v[42:43], v1
	s_waitcnt vmcnt(0) lgkmcnt(0)
	v_mul_f64 v[40:41], v[40:41], v[42:43]
	s_cbranch_execz .LBB81_322
	s_branch .LBB81_323
.LBB81_321:
                                        ; implicit-def: $vgpr40_vgpr41
.LBB81_322:
	ds_read_b64 v[40:41], v1
.LBB81_323:
	s_and_saveexec_b64 s[0:1], s[2:3]
	s_cbranch_execz .LBB81_327
; %bb.324:
	s_mov_b32 s2, 0
	v_add_u32_e32 v1, 0x98, v18
	v_add3_u32 v18, v18, s2, 8
	s_mov_b64 s[2:3], 0
.LBB81_325:                             ; =>This Inner Loop Header: Depth=1
	scratch_load_dwordx2 v[42:43], v18, off
	ds_read_b64 v[44:45], v1
	v_add_u32_e32 v0, 1, v0
	v_cmp_lt_u32_e32 vcc, 15, v0
	v_add_u32_e32 v1, 8, v1
	v_add_u32_e32 v18, 8, v18
	s_or_b64 s[2:3], vcc, s[2:3]
	s_waitcnt vmcnt(0) lgkmcnt(0)
	v_fmac_f64_e32 v[40:41], v[42:43], v[44:45]
	s_andn2_b64 exec, exec, s[2:3]
	s_cbranch_execnz .LBB81_325
; %bb.326:
	s_or_b64 exec, exec, s[2:3]
.LBB81_327:
	s_or_b64 exec, exec, s[0:1]
	v_mov_b32_e32 v0, 0
	ds_read_b64 v[0:1], v0 offset:136
	s_waitcnt lgkmcnt(0)
	v_mul_f64 v[0:1], v[40:41], v[0:1]
	scratch_store_dwordx2 off, v[0:1], off offset:136
.LBB81_328:
	s_or_b64 exec, exec, s[4:5]
.LBB81_329:
	scratch_load_dwordx2 v[0:1], off, off
	s_waitcnt vmcnt(0)
	flat_store_dwordx2 v[2:3], v[0:1]
	scratch_load_dwordx2 v[0:1], off, off offset:8
	s_waitcnt vmcnt(0)
	flat_store_dwordx2 v[4:5], v[0:1]
	scratch_load_dwordx2 v[0:1], off, off offset:16
	;; [unrolled: 3-line block ×17, first 2 shown]
	s_waitcnt vmcnt(0)
	flat_store_dwordx2 v[38:39], v[0:1]
.LBB81_330:
	s_endpgm
	.section	.rodata,"a",@progbits
	.p2align	6, 0x0
	.amdhsa_kernel _ZN9rocsolver6v33100L18trti2_kernel_smallILi18EdPKPdEEv13rocblas_fill_17rocblas_diagonal_T1_iil
		.amdhsa_group_segment_fixed_size 288
		.amdhsa_private_segment_fixed_size 160
		.amdhsa_kernarg_size 32
		.amdhsa_user_sgpr_count 2
		.amdhsa_user_sgpr_dispatch_ptr 0
		.amdhsa_user_sgpr_queue_ptr 0
		.amdhsa_user_sgpr_kernarg_segment_ptr 1
		.amdhsa_user_sgpr_dispatch_id 0
		.amdhsa_user_sgpr_kernarg_preload_length 0
		.amdhsa_user_sgpr_kernarg_preload_offset 0
		.amdhsa_user_sgpr_private_segment_size 0
		.amdhsa_uses_dynamic_stack 0
		.amdhsa_enable_private_segment 1
		.amdhsa_system_sgpr_workgroup_id_x 1
		.amdhsa_system_sgpr_workgroup_id_y 0
		.amdhsa_system_sgpr_workgroup_id_z 0
		.amdhsa_system_sgpr_workgroup_info 0
		.amdhsa_system_vgpr_workitem_id 0
		.amdhsa_next_free_vgpr 50
		.amdhsa_next_free_sgpr 26
		.amdhsa_accum_offset 52
		.amdhsa_reserve_vcc 1
		.amdhsa_float_round_mode_32 0
		.amdhsa_float_round_mode_16_64 0
		.amdhsa_float_denorm_mode_32 3
		.amdhsa_float_denorm_mode_16_64 3
		.amdhsa_dx10_clamp 1
		.amdhsa_ieee_mode 1
		.amdhsa_fp16_overflow 0
		.amdhsa_tg_split 0
		.amdhsa_exception_fp_ieee_invalid_op 0
		.amdhsa_exception_fp_denorm_src 0
		.amdhsa_exception_fp_ieee_div_zero 0
		.amdhsa_exception_fp_ieee_overflow 0
		.amdhsa_exception_fp_ieee_underflow 0
		.amdhsa_exception_fp_ieee_inexact 0
		.amdhsa_exception_int_div_zero 0
	.end_amdhsa_kernel
	.section	.text._ZN9rocsolver6v33100L18trti2_kernel_smallILi18EdPKPdEEv13rocblas_fill_17rocblas_diagonal_T1_iil,"axG",@progbits,_ZN9rocsolver6v33100L18trti2_kernel_smallILi18EdPKPdEEv13rocblas_fill_17rocblas_diagonal_T1_iil,comdat
.Lfunc_end81:
	.size	_ZN9rocsolver6v33100L18trti2_kernel_smallILi18EdPKPdEEv13rocblas_fill_17rocblas_diagonal_T1_iil, .Lfunc_end81-_ZN9rocsolver6v33100L18trti2_kernel_smallILi18EdPKPdEEv13rocblas_fill_17rocblas_diagonal_T1_iil
                                        ; -- End function
	.set _ZN9rocsolver6v33100L18trti2_kernel_smallILi18EdPKPdEEv13rocblas_fill_17rocblas_diagonal_T1_iil.num_vgpr, 50
	.set _ZN9rocsolver6v33100L18trti2_kernel_smallILi18EdPKPdEEv13rocblas_fill_17rocblas_diagonal_T1_iil.num_agpr, 0
	.set _ZN9rocsolver6v33100L18trti2_kernel_smallILi18EdPKPdEEv13rocblas_fill_17rocblas_diagonal_T1_iil.numbered_sgpr, 26
	.set _ZN9rocsolver6v33100L18trti2_kernel_smallILi18EdPKPdEEv13rocblas_fill_17rocblas_diagonal_T1_iil.num_named_barrier, 0
	.set _ZN9rocsolver6v33100L18trti2_kernel_smallILi18EdPKPdEEv13rocblas_fill_17rocblas_diagonal_T1_iil.private_seg_size, 160
	.set _ZN9rocsolver6v33100L18trti2_kernel_smallILi18EdPKPdEEv13rocblas_fill_17rocblas_diagonal_T1_iil.uses_vcc, 1
	.set _ZN9rocsolver6v33100L18trti2_kernel_smallILi18EdPKPdEEv13rocblas_fill_17rocblas_diagonal_T1_iil.uses_flat_scratch, 0
	.set _ZN9rocsolver6v33100L18trti2_kernel_smallILi18EdPKPdEEv13rocblas_fill_17rocblas_diagonal_T1_iil.has_dyn_sized_stack, 0
	.set _ZN9rocsolver6v33100L18trti2_kernel_smallILi18EdPKPdEEv13rocblas_fill_17rocblas_diagonal_T1_iil.has_recursion, 0
	.set _ZN9rocsolver6v33100L18trti2_kernel_smallILi18EdPKPdEEv13rocblas_fill_17rocblas_diagonal_T1_iil.has_indirect_call, 0
	.section	.AMDGPU.csdata,"",@progbits
; Kernel info:
; codeLenInByte = 8440
; TotalNumSgprs: 32
; NumVgprs: 50
; NumAgprs: 0
; TotalNumVgprs: 50
; ScratchSize: 160
; MemoryBound: 0
; FloatMode: 240
; IeeeMode: 1
; LDSByteSize: 288 bytes/workgroup (compile time only)
; SGPRBlocks: 3
; VGPRBlocks: 6
; NumSGPRsForWavesPerEU: 32
; NumVGPRsForWavesPerEU: 50
; AccumOffset: 52
; Occupancy: 8
; WaveLimiterHint : 1
; COMPUTE_PGM_RSRC2:SCRATCH_EN: 1
; COMPUTE_PGM_RSRC2:USER_SGPR: 2
; COMPUTE_PGM_RSRC2:TRAP_HANDLER: 0
; COMPUTE_PGM_RSRC2:TGID_X_EN: 1
; COMPUTE_PGM_RSRC2:TGID_Y_EN: 0
; COMPUTE_PGM_RSRC2:TGID_Z_EN: 0
; COMPUTE_PGM_RSRC2:TIDIG_COMP_CNT: 0
; COMPUTE_PGM_RSRC3_GFX90A:ACCUM_OFFSET: 12
; COMPUTE_PGM_RSRC3_GFX90A:TG_SPLIT: 0
	.section	.text._ZN9rocsolver6v33100L18trti2_kernel_smallILi19EdPKPdEEv13rocblas_fill_17rocblas_diagonal_T1_iil,"axG",@progbits,_ZN9rocsolver6v33100L18trti2_kernel_smallILi19EdPKPdEEv13rocblas_fill_17rocblas_diagonal_T1_iil,comdat
	.globl	_ZN9rocsolver6v33100L18trti2_kernel_smallILi19EdPKPdEEv13rocblas_fill_17rocblas_diagonal_T1_iil ; -- Begin function _ZN9rocsolver6v33100L18trti2_kernel_smallILi19EdPKPdEEv13rocblas_fill_17rocblas_diagonal_T1_iil
	.p2align	8
	.type	_ZN9rocsolver6v33100L18trti2_kernel_smallILi19EdPKPdEEv13rocblas_fill_17rocblas_diagonal_T1_iil,@function
_ZN9rocsolver6v33100L18trti2_kernel_smallILi19EdPKPdEEv13rocblas_fill_17rocblas_diagonal_T1_iil: ; @_ZN9rocsolver6v33100L18trti2_kernel_smallILi19EdPKPdEEv13rocblas_fill_17rocblas_diagonal_T1_iil
; %bb.0:
	v_cmp_gt_u32_e32 vcc, 19, v0
	s_and_saveexec_b64 s[4:5], vcc
	s_cbranch_execz .LBB82_350
; %bb.1:
	s_load_dwordx2 s[8:9], s[0:1], 0x10
	s_load_dwordx4 s[4:7], s[0:1], 0x0
	s_ashr_i32 s3, s2, 31
	s_lshl_b64 s[0:1], s[2:3], 3
	v_lshlrev_b32_e32 v18, 3, v0
	s_waitcnt lgkmcnt(0)
	s_ashr_i32 s3, s8, 31
	s_add_u32 s0, s6, s0
	s_addc_u32 s1, s7, s1
	s_load_dwordx2 s[0:1], s[0:1], 0x0
	s_mov_b32 s2, s8
	s_lshl_b64 s[2:3], s[2:3], 3
	v_mov_b32_e32 v19, 0
	s_waitcnt lgkmcnt(0)
	s_add_u32 s0, s0, s2
	s_addc_u32 s1, s1, s3
	v_lshl_add_u64 v[2:3], s[0:1], 0, v[18:19]
	flat_load_dwordx2 v[6:7], v[2:3]
	s_mov_b32 s2, s9
	s_ashr_i32 s3, s9, 31
	v_lshl_add_u64 v[4:5], s[2:3], 3, v[2:3]
	s_add_i32 s2, s9, s9
	v_add_u32_e32 v10, s2, v0
	v_ashrrev_i32_e32 v11, 31, v10
	s_cmpk_lg_i32 s5, 0x84
	s_cselect_b64 s[6:7], -1, 0
	s_cmpk_eq_i32 s5, 0x84
	s_waitcnt vmcnt(0) lgkmcnt(0)
	scratch_store_dwordx2 off, v[6:7], off
	flat_load_dwordx2 v[8:9], v[4:5]
	v_lshl_add_u64 v[6:7], v[10:11], 3, s[0:1]
	v_add_u32_e32 v10, s9, v10
	v_ashrrev_i32_e32 v11, 31, v10
	v_add_u32_e32 v14, s9, v10
	v_ashrrev_i32_e32 v15, 31, v14
	s_waitcnt vmcnt(0) lgkmcnt(0)
	scratch_store_dwordx2 off, v[8:9], off offset:8
	flat_load_dwordx2 v[12:13], v[6:7]
	v_lshl_add_u64 v[8:9], v[10:11], 3, s[0:1]
	v_lshl_add_u64 v[10:11], v[14:15], 3, s[0:1]
	v_add_u32_e32 v14, s9, v14
	v_ashrrev_i32_e32 v15, 31, v14
	v_add_u32_e32 v20, s9, v14
	v_ashrrev_i32_e32 v21, 31, v20
	s_waitcnt vmcnt(0) lgkmcnt(0)
	scratch_store_dwordx2 off, v[12:13], off offset:16
	flat_load_dwordx2 v[12:13], v[8:9]
	s_waitcnt vmcnt(0) lgkmcnt(0)
	scratch_store_dwordx2 off, v[12:13], off offset:24
	flat_load_dwordx2 v[16:17], v[10:11]
	v_lshl_add_u64 v[12:13], v[14:15], 3, s[0:1]
	v_lshl_add_u64 v[14:15], v[20:21], 3, s[0:1]
	v_add_u32_e32 v20, s9, v20
	v_ashrrev_i32_e32 v21, 31, v20
	v_add_u32_e32 v24, s9, v20
	v_ashrrev_i32_e32 v25, 31, v24
	s_waitcnt vmcnt(0) lgkmcnt(0)
	scratch_store_dwordx2 off, v[16:17], off offset:32
	flat_load_dwordx2 v[16:17], v[12:13]
	;; [unrolled: 12-line block ×6, first 2 shown]
	s_waitcnt vmcnt(0) lgkmcnt(0)
	scratch_store_dwordx2 off, v[34:35], off offset:104
	flat_load_dwordx2 v[38:39], v[32:33]
	v_lshl_add_u64 v[34:35], v[36:37], 3, s[0:1]
	v_lshl_add_u64 v[36:37], v[40:41], 3, s[0:1]
	v_add_u32_e32 v40, s9, v40
	v_ashrrev_i32_e32 v41, 31, v40
	s_waitcnt vmcnt(0) lgkmcnt(0)
	scratch_store_dwordx2 off, v[38:39], off offset:112
	flat_load_dwordx2 v[38:39], v[34:35]
	s_waitcnt vmcnt(0) lgkmcnt(0)
	scratch_store_dwordx2 off, v[38:39], off offset:120
	flat_load_dwordx2 v[42:43], v[36:37]
	v_lshl_add_u64 v[38:39], v[40:41], 3, s[0:1]
	v_add_u32_e32 v40, s9, v40
	v_ashrrev_i32_e32 v41, 31, v40
	v_lshl_add_u64 v[40:41], v[40:41], 3, s[0:1]
	s_waitcnt vmcnt(0) lgkmcnt(0)
	scratch_store_dwordx2 off, v[42:43], off offset:128
	flat_load_dwordx2 v[42:43], v[38:39]
	s_waitcnt vmcnt(0) lgkmcnt(0)
	scratch_store_dwordx2 off, v[42:43], off offset:136
	flat_load_dwordx2 v[42:43], v[40:41]
	s_waitcnt vmcnt(0) lgkmcnt(0)
	scratch_store_dwordx2 off, v[42:43], off offset:144
	v_mov_b64_e32 v[42:43], -1.0
	s_cbranch_scc1 .LBB82_3
; %bb.2:
	scratch_load_dwordx2 v[42:43], v18, off
	s_waitcnt vmcnt(0)
	v_div_scale_f64 v[44:45], s[0:1], v[42:43], v[42:43], 1.0
	v_rcp_f64_e32 v[46:47], v[44:45]
	v_div_scale_f64 v[48:49], vcc, 1.0, v[42:43], 1.0
	v_fma_f64 v[50:51], -v[44:45], v[46:47], 1.0
	v_fmac_f64_e32 v[46:47], v[46:47], v[50:51]
	v_fma_f64 v[50:51], -v[44:45], v[46:47], 1.0
	v_fmac_f64_e32 v[46:47], v[46:47], v[50:51]
	v_mul_f64 v[50:51], v[48:49], v[46:47]
	v_fma_f64 v[44:45], -v[44:45], v[50:51], v[48:49]
	v_div_fmas_f64 v[44:45], v[44:45], v[46:47], v[50:51]
	v_div_fixup_f64 v[42:43], v[44:45], v[42:43], 1.0
	scratch_store_dwordx2 v18, v[42:43], off
	v_xor_b32_e32 v43, 0x80000000, v43
.LBB82_3:
	s_cmpk_eq_i32 s4, 0x79
	v_add_u32_e32 v1, 0xa0, v18
	v_mov_b32_e32 v19, v18
	s_mov_b64 s[0:1], -1
	ds_write_b64 v18, v[42:43]
	s_cbranch_scc1 .LBB82_177
; %bb.4:
	scratch_load_dwordx2 v[42:43], off, off offset:136
	s_movk_i32 s8, 0x48
	s_movk_i32 s9, 0x50
	;; [unrolled: 1-line block ×8, first 2 shown]
	v_cmp_eq_u32_e64 s[0:1], 18, v0
	s_waitcnt vmcnt(0)
	ds_write_b64 v1, v[42:43]
	s_waitcnt lgkmcnt(0)
	; wave barrier
	s_and_saveexec_b64 s[2:3], s[0:1]
	s_cbranch_execz .LBB82_10
; %bb.5:
	s_and_b64 vcc, exec, s[6:7]
	s_cbranch_vccz .LBB82_7
; %bb.6:
	scratch_load_dwordx2 v[42:43], v19, off
	ds_read_b64 v[44:45], v1
	s_waitcnt vmcnt(0) lgkmcnt(0)
	v_mul_f64 v[42:43], v[42:43], v[44:45]
	s_cbranch_execz .LBB82_8
	s_branch .LBB82_9
.LBB82_7:
                                        ; implicit-def: $vgpr42_vgpr43
.LBB82_8:
	ds_read_b64 v[42:43], v1
.LBB82_9:
	v_mov_b32_e32 v44, 0
	ds_read_b64 v[44:45], v44 offset:136
	s_waitcnt lgkmcnt(0)
	v_mul_f64 v[42:43], v[42:43], v[44:45]
	scratch_store_dwordx2 off, v[42:43], off offset:136
.LBB82_10:
	s_or_b64 exec, exec, s[2:3]
	scratch_load_dwordx2 v[42:43], off, off offset:128
	s_or_b32 s10, 0, 8
	s_mov_b32 s11, 16
	s_mov_b32 s12, 24
	;; [unrolled: 1-line block ×9, first 2 shown]
	v_cmp_lt_u32_e64 s[2:3], 16, v0
	s_waitcnt vmcnt(0)
	ds_write_b64 v1, v[42:43]
	s_waitcnt lgkmcnt(0)
	; wave barrier
	s_and_saveexec_b64 s[4:5], s[2:3]
	s_cbranch_execz .LBB82_16
; %bb.11:
	s_andn2_b64 vcc, exec, s[6:7]
	s_cbranch_vccnz .LBB82_13
; %bb.12:
	scratch_load_dwordx2 v[42:43], v19, off
	ds_read_b64 v[44:45], v1
	s_waitcnt vmcnt(0) lgkmcnt(0)
	v_mul_f64 v[42:43], v[42:43], v[44:45]
	s_cbranch_execz .LBB82_14
	s_branch .LBB82_15
.LBB82_13:
                                        ; implicit-def: $vgpr42_vgpr43
.LBB82_14:
	ds_read_b64 v[42:43], v1
.LBB82_15:
	scratch_load_dwordx2 v[48:49], off, off offset:136
	v_mov_b32_e32 v44, 0
	ds_read2_b64 v[44:47], v44 offset0:16 offset1:37
	s_waitcnt vmcnt(0) lgkmcnt(0)
	v_fma_f64 v[46:47], v[48:49], v[46:47], v[42:43]
	v_cndmask_b32_e64 v43, v43, v47, s[0:1]
	v_cndmask_b32_e64 v42, v42, v46, s[0:1]
	v_mul_f64 v[42:43], v[42:43], v[44:45]
	scratch_store_dwordx2 off, v[42:43], off offset:128
.LBB82_16:
	s_or_b64 exec, exec, s[4:5]
	scratch_load_dwordx2 v[42:43], off, off offset:120
	v_cmp_lt_u32_e64 s[0:1], 15, v0
	s_waitcnt vmcnt(0)
	ds_write_b64 v1, v[42:43]
	s_waitcnt lgkmcnt(0)
	; wave barrier
	s_and_saveexec_b64 s[4:5], s[0:1]
	s_cbranch_execz .LBB82_26
; %bb.17:
	s_andn2_b64 vcc, exec, s[6:7]
	s_cbranch_vccnz .LBB82_19
; %bb.18:
	scratch_load_dwordx2 v[42:43], v19, off
	ds_read_b64 v[44:45], v1
	s_waitcnt vmcnt(0) lgkmcnt(0)
	v_mul_f64 v[42:43], v[42:43], v[44:45]
	s_cbranch_execz .LBB82_20
	s_branch .LBB82_21
.LBB82_19:
                                        ; implicit-def: $vgpr42_vgpr43
.LBB82_20:
	ds_read_b64 v[42:43], v1
.LBB82_21:
	s_and_saveexec_b64 s[8:9], s[2:3]
	s_cbranch_execz .LBB82_25
; %bb.22:
	v_add_u32_e32 v44, -16, v0
	s_movk_i32 s26, 0x120
	s_mov_b64 s[2:3], 0
.LBB82_23:                              ; =>This Inner Loop Header: Depth=1
	scratch_load_dwordx2 v[46:47], off, s25
	v_mov_b32_e32 v45, s26
	ds_read_b64 v[48:49], v45
	v_add_u32_e32 v44, -1, v44
	s_add_i32 s26, s26, 8
	s_add_i32 s25, s25, 8
	v_cmp_eq_u32_e32 vcc, 0, v44
	s_or_b64 s[2:3], vcc, s[2:3]
	s_waitcnt vmcnt(0) lgkmcnt(0)
	v_fmac_f64_e32 v[42:43], v[46:47], v[48:49]
	s_andn2_b64 exec, exec, s[2:3]
	s_cbranch_execnz .LBB82_23
; %bb.24:
	s_or_b64 exec, exec, s[2:3]
.LBB82_25:
	s_or_b64 exec, exec, s[8:9]
	v_mov_b32_e32 v44, 0
	ds_read_b64 v[44:45], v44 offset:120
	s_waitcnt lgkmcnt(0)
	v_mul_f64 v[42:43], v[42:43], v[44:45]
	scratch_store_dwordx2 off, v[42:43], off offset:120
.LBB82_26:
	s_or_b64 exec, exec, s[4:5]
	scratch_load_dwordx2 v[42:43], off, off offset:112
	v_cmp_lt_u32_e64 s[2:3], 14, v0
	s_waitcnt vmcnt(0)
	ds_write_b64 v1, v[42:43]
	s_waitcnt lgkmcnt(0)
	; wave barrier
	s_and_saveexec_b64 s[4:5], s[2:3]
	s_cbranch_execz .LBB82_36
; %bb.27:
	s_andn2_b64 vcc, exec, s[6:7]
	s_cbranch_vccnz .LBB82_29
; %bb.28:
	scratch_load_dwordx2 v[42:43], v19, off
	ds_read_b64 v[44:45], v1
	s_waitcnt vmcnt(0) lgkmcnt(0)
	v_mul_f64 v[42:43], v[42:43], v[44:45]
	s_cbranch_execz .LBB82_30
	s_branch .LBB82_31
.LBB82_29:
                                        ; implicit-def: $vgpr42_vgpr43
.LBB82_30:
	ds_read_b64 v[42:43], v1
.LBB82_31:
	s_and_saveexec_b64 s[8:9], s[0:1]
	s_cbranch_execz .LBB82_35
; %bb.32:
	v_add_u32_e32 v44, -15, v0
	s_movk_i32 s25, 0x118
	s_mov_b64 s[0:1], 0
.LBB82_33:                              ; =>This Inner Loop Header: Depth=1
	scratch_load_dwordx2 v[46:47], off, s24
	v_mov_b32_e32 v45, s25
	ds_read_b64 v[48:49], v45
	v_add_u32_e32 v44, -1, v44
	s_add_i32 s25, s25, 8
	s_add_i32 s24, s24, 8
	v_cmp_eq_u32_e32 vcc, 0, v44
	s_or_b64 s[0:1], vcc, s[0:1]
	s_waitcnt vmcnt(0) lgkmcnt(0)
	v_fmac_f64_e32 v[42:43], v[46:47], v[48:49]
	s_andn2_b64 exec, exec, s[0:1]
	s_cbranch_execnz .LBB82_33
; %bb.34:
	s_or_b64 exec, exec, s[0:1]
.LBB82_35:
	s_or_b64 exec, exec, s[8:9]
	v_mov_b32_e32 v44, 0
	ds_read_b64 v[44:45], v44 offset:112
	s_waitcnt lgkmcnt(0)
	v_mul_f64 v[42:43], v[42:43], v[44:45]
	scratch_store_dwordx2 off, v[42:43], off offset:112
.LBB82_36:
	;; [unrolled: 53-line block ×8, first 2 shown]
	s_or_b64 exec, exec, s[4:5]
	scratch_load_dwordx2 v[42:43], off, off offset:56
	v_cmp_lt_u32_e64 s[0:1], 7, v0
	s_waitcnt vmcnt(0)
	ds_write_b64 v1, v[42:43]
	s_waitcnt lgkmcnt(0)
	; wave barrier
	s_and_saveexec_b64 s[4:5], s[0:1]
	s_cbranch_execz .LBB82_106
; %bb.97:
	s_andn2_b64 vcc, exec, s[6:7]
	s_cbranch_vccnz .LBB82_99
; %bb.98:
	scratch_load_dwordx2 v[42:43], v19, off
	ds_read_b64 v[44:45], v1
	s_waitcnt vmcnt(0) lgkmcnt(0)
	v_mul_f64 v[42:43], v[42:43], v[44:45]
	s_cbranch_execz .LBB82_100
	s_branch .LBB82_101
.LBB82_99:
                                        ; implicit-def: $vgpr42_vgpr43
.LBB82_100:
	ds_read_b64 v[42:43], v1
.LBB82_101:
	s_and_saveexec_b64 s[8:9], s[2:3]
	s_cbranch_execz .LBB82_105
; %bb.102:
	v_add_u32_e32 v44, -8, v0
	s_movk_i32 s18, 0xe0
	s_mov_b64 s[2:3], 0
.LBB82_103:                             ; =>This Inner Loop Header: Depth=1
	scratch_load_dwordx2 v[46:47], off, s17
	v_mov_b32_e32 v45, s18
	ds_read_b64 v[48:49], v45
	v_add_u32_e32 v44, -1, v44
	s_add_i32 s18, s18, 8
	s_add_i32 s17, s17, 8
	v_cmp_eq_u32_e32 vcc, 0, v44
	s_or_b64 s[2:3], vcc, s[2:3]
	s_waitcnt vmcnt(0) lgkmcnt(0)
	v_fmac_f64_e32 v[42:43], v[46:47], v[48:49]
	s_andn2_b64 exec, exec, s[2:3]
	s_cbranch_execnz .LBB82_103
; %bb.104:
	s_or_b64 exec, exec, s[2:3]
.LBB82_105:
	s_or_b64 exec, exec, s[8:9]
	v_mov_b32_e32 v44, 0
	ds_read_b64 v[44:45], v44 offset:56
	s_waitcnt lgkmcnt(0)
	v_mul_f64 v[42:43], v[42:43], v[44:45]
	scratch_store_dwordx2 off, v[42:43], off offset:56
.LBB82_106:
	s_or_b64 exec, exec, s[4:5]
	scratch_load_dwordx2 v[42:43], off, off offset:48
	v_cmp_lt_u32_e64 s[2:3], 6, v0
	s_waitcnt vmcnt(0)
	ds_write_b64 v1, v[42:43]
	s_waitcnt lgkmcnt(0)
	; wave barrier
	s_and_saveexec_b64 s[4:5], s[2:3]
	s_cbranch_execz .LBB82_116
; %bb.107:
	s_andn2_b64 vcc, exec, s[6:7]
	s_cbranch_vccnz .LBB82_109
; %bb.108:
	scratch_load_dwordx2 v[42:43], v19, off
	ds_read_b64 v[44:45], v1
	s_waitcnt vmcnt(0) lgkmcnt(0)
	v_mul_f64 v[42:43], v[42:43], v[44:45]
	s_cbranch_execz .LBB82_110
	s_branch .LBB82_111
.LBB82_109:
                                        ; implicit-def: $vgpr42_vgpr43
.LBB82_110:
	ds_read_b64 v[42:43], v1
.LBB82_111:
	s_and_saveexec_b64 s[8:9], s[0:1]
	s_cbranch_execz .LBB82_115
; %bb.112:
	v_add_u32_e32 v44, -7, v0
	s_movk_i32 s17, 0xd8
	s_mov_b64 s[0:1], 0
.LBB82_113:                             ; =>This Inner Loop Header: Depth=1
	scratch_load_dwordx2 v[46:47], off, s16
	v_mov_b32_e32 v45, s17
	ds_read_b64 v[48:49], v45
	v_add_u32_e32 v44, -1, v44
	s_add_i32 s17, s17, 8
	s_add_i32 s16, s16, 8
	v_cmp_eq_u32_e32 vcc, 0, v44
	s_or_b64 s[0:1], vcc, s[0:1]
	s_waitcnt vmcnt(0) lgkmcnt(0)
	v_fmac_f64_e32 v[42:43], v[46:47], v[48:49]
	s_andn2_b64 exec, exec, s[0:1]
	s_cbranch_execnz .LBB82_113
; %bb.114:
	s_or_b64 exec, exec, s[0:1]
.LBB82_115:
	s_or_b64 exec, exec, s[8:9]
	v_mov_b32_e32 v44, 0
	ds_read_b64 v[44:45], v44 offset:48
	s_waitcnt lgkmcnt(0)
	v_mul_f64 v[42:43], v[42:43], v[44:45]
	scratch_store_dwordx2 off, v[42:43], off offset:48
.LBB82_116:
	s_or_b64 exec, exec, s[4:5]
	scratch_load_dwordx2 v[42:43], off, off offset:40
	v_cmp_lt_u32_e64 s[0:1], 5, v0
	s_waitcnt vmcnt(0)
	ds_write_b64 v1, v[42:43]
	s_waitcnt lgkmcnt(0)
	; wave barrier
	s_and_saveexec_b64 s[4:5], s[0:1]
	s_cbranch_execz .LBB82_126
; %bb.117:
	s_andn2_b64 vcc, exec, s[6:7]
	s_cbranch_vccnz .LBB82_119
; %bb.118:
	scratch_load_dwordx2 v[42:43], v19, off
	ds_read_b64 v[44:45], v1
	s_waitcnt vmcnt(0) lgkmcnt(0)
	v_mul_f64 v[42:43], v[42:43], v[44:45]
	s_cbranch_execz .LBB82_120
	s_branch .LBB82_121
.LBB82_119:
                                        ; implicit-def: $vgpr42_vgpr43
.LBB82_120:
	ds_read_b64 v[42:43], v1
.LBB82_121:
	s_and_saveexec_b64 s[8:9], s[2:3]
	s_cbranch_execz .LBB82_125
; %bb.122:
	v_add_u32_e32 v44, -6, v0
	s_movk_i32 s16, 0xd0
	s_mov_b64 s[2:3], 0
.LBB82_123:                             ; =>This Inner Loop Header: Depth=1
	scratch_load_dwordx2 v[46:47], off, s15
	v_mov_b32_e32 v45, s16
	ds_read_b64 v[48:49], v45
	v_add_u32_e32 v44, -1, v44
	s_add_i32 s16, s16, 8
	s_add_i32 s15, s15, 8
	v_cmp_eq_u32_e32 vcc, 0, v44
	s_or_b64 s[2:3], vcc, s[2:3]
	s_waitcnt vmcnt(0) lgkmcnt(0)
	v_fmac_f64_e32 v[42:43], v[46:47], v[48:49]
	s_andn2_b64 exec, exec, s[2:3]
	s_cbranch_execnz .LBB82_123
; %bb.124:
	s_or_b64 exec, exec, s[2:3]
.LBB82_125:
	s_or_b64 exec, exec, s[8:9]
	v_mov_b32_e32 v44, 0
	ds_read_b64 v[44:45], v44 offset:40
	s_waitcnt lgkmcnt(0)
	v_mul_f64 v[42:43], v[42:43], v[44:45]
	scratch_store_dwordx2 off, v[42:43], off offset:40
.LBB82_126:
	s_or_b64 exec, exec, s[4:5]
	scratch_load_dwordx2 v[42:43], off, off offset:32
	v_cmp_lt_u32_e64 s[2:3], 4, v0
	s_waitcnt vmcnt(0)
	ds_write_b64 v1, v[42:43]
	s_waitcnt lgkmcnt(0)
	; wave barrier
	s_and_saveexec_b64 s[4:5], s[2:3]
	s_cbranch_execz .LBB82_136
; %bb.127:
	s_andn2_b64 vcc, exec, s[6:7]
	s_cbranch_vccnz .LBB82_129
; %bb.128:
	scratch_load_dwordx2 v[42:43], v19, off
	ds_read_b64 v[44:45], v1
	s_waitcnt vmcnt(0) lgkmcnt(0)
	v_mul_f64 v[42:43], v[42:43], v[44:45]
	s_cbranch_execz .LBB82_130
	s_branch .LBB82_131
.LBB82_129:
                                        ; implicit-def: $vgpr42_vgpr43
.LBB82_130:
	ds_read_b64 v[42:43], v1
.LBB82_131:
	s_and_saveexec_b64 s[8:9], s[0:1]
	s_cbranch_execz .LBB82_135
; %bb.132:
	v_add_u32_e32 v44, -5, v0
	s_movk_i32 s15, 0xc8
	s_mov_b64 s[0:1], 0
.LBB82_133:                             ; =>This Inner Loop Header: Depth=1
	scratch_load_dwordx2 v[46:47], off, s14
	v_mov_b32_e32 v45, s15
	ds_read_b64 v[48:49], v45
	v_add_u32_e32 v44, -1, v44
	s_add_i32 s15, s15, 8
	s_add_i32 s14, s14, 8
	v_cmp_eq_u32_e32 vcc, 0, v44
	s_or_b64 s[0:1], vcc, s[0:1]
	s_waitcnt vmcnt(0) lgkmcnt(0)
	v_fmac_f64_e32 v[42:43], v[46:47], v[48:49]
	s_andn2_b64 exec, exec, s[0:1]
	s_cbranch_execnz .LBB82_133
; %bb.134:
	s_or_b64 exec, exec, s[0:1]
.LBB82_135:
	s_or_b64 exec, exec, s[8:9]
	v_mov_b32_e32 v44, 0
	ds_read_b64 v[44:45], v44 offset:32
	s_waitcnt lgkmcnt(0)
	v_mul_f64 v[42:43], v[42:43], v[44:45]
	scratch_store_dwordx2 off, v[42:43], off offset:32
.LBB82_136:
	s_or_b64 exec, exec, s[4:5]
	scratch_load_dwordx2 v[42:43], off, off offset:24
	v_cmp_lt_u32_e64 s[0:1], 3, v0
	s_waitcnt vmcnt(0)
	ds_write_b64 v1, v[42:43]
	s_waitcnt lgkmcnt(0)
	; wave barrier
	s_and_saveexec_b64 s[4:5], s[0:1]
	s_cbranch_execz .LBB82_146
; %bb.137:
	s_andn2_b64 vcc, exec, s[6:7]
	s_cbranch_vccnz .LBB82_139
; %bb.138:
	scratch_load_dwordx2 v[42:43], v19, off
	ds_read_b64 v[44:45], v1
	s_waitcnt vmcnt(0) lgkmcnt(0)
	v_mul_f64 v[42:43], v[42:43], v[44:45]
	s_cbranch_execz .LBB82_140
	s_branch .LBB82_141
.LBB82_139:
                                        ; implicit-def: $vgpr42_vgpr43
.LBB82_140:
	ds_read_b64 v[42:43], v1
.LBB82_141:
	s_and_saveexec_b64 s[8:9], s[2:3]
	s_cbranch_execz .LBB82_145
; %bb.142:
	v_add_u32_e32 v44, -4, v0
	s_movk_i32 s14, 0xc0
	s_mov_b64 s[2:3], 0
.LBB82_143:                             ; =>This Inner Loop Header: Depth=1
	scratch_load_dwordx2 v[46:47], off, s13
	v_mov_b32_e32 v45, s14
	ds_read_b64 v[48:49], v45
	v_add_u32_e32 v44, -1, v44
	s_add_i32 s14, s14, 8
	s_add_i32 s13, s13, 8
	v_cmp_eq_u32_e32 vcc, 0, v44
	s_or_b64 s[2:3], vcc, s[2:3]
	s_waitcnt vmcnt(0) lgkmcnt(0)
	v_fmac_f64_e32 v[42:43], v[46:47], v[48:49]
	s_andn2_b64 exec, exec, s[2:3]
	s_cbranch_execnz .LBB82_143
; %bb.144:
	s_or_b64 exec, exec, s[2:3]
.LBB82_145:
	s_or_b64 exec, exec, s[8:9]
	v_mov_b32_e32 v44, 0
	ds_read_b64 v[44:45], v44 offset:24
	s_waitcnt lgkmcnt(0)
	v_mul_f64 v[42:43], v[42:43], v[44:45]
	scratch_store_dwordx2 off, v[42:43], off offset:24
.LBB82_146:
	s_or_b64 exec, exec, s[4:5]
	scratch_load_dwordx2 v[42:43], off, off offset:16
	v_cmp_lt_u32_e64 s[2:3], 2, v0
	s_waitcnt vmcnt(0)
	ds_write_b64 v1, v[42:43]
	s_waitcnt lgkmcnt(0)
	; wave barrier
	s_and_saveexec_b64 s[4:5], s[2:3]
	s_cbranch_execz .LBB82_156
; %bb.147:
	s_andn2_b64 vcc, exec, s[6:7]
	s_cbranch_vccnz .LBB82_149
; %bb.148:
	scratch_load_dwordx2 v[42:43], v19, off
	ds_read_b64 v[44:45], v1
	s_waitcnt vmcnt(0) lgkmcnt(0)
	v_mul_f64 v[42:43], v[42:43], v[44:45]
	s_cbranch_execz .LBB82_150
	s_branch .LBB82_151
.LBB82_149:
                                        ; implicit-def: $vgpr42_vgpr43
.LBB82_150:
	ds_read_b64 v[42:43], v1
.LBB82_151:
	s_and_saveexec_b64 s[8:9], s[0:1]
	s_cbranch_execz .LBB82_155
; %bb.152:
	v_add_u32_e32 v44, -3, v0
	s_movk_i32 s13, 0xb8
	s_mov_b64 s[0:1], 0
.LBB82_153:                             ; =>This Inner Loop Header: Depth=1
	scratch_load_dwordx2 v[46:47], off, s12
	v_mov_b32_e32 v45, s13
	ds_read_b64 v[48:49], v45
	v_add_u32_e32 v44, -1, v44
	s_add_i32 s13, s13, 8
	s_add_i32 s12, s12, 8
	v_cmp_eq_u32_e32 vcc, 0, v44
	s_or_b64 s[0:1], vcc, s[0:1]
	s_waitcnt vmcnt(0) lgkmcnt(0)
	v_fmac_f64_e32 v[42:43], v[46:47], v[48:49]
	s_andn2_b64 exec, exec, s[0:1]
	s_cbranch_execnz .LBB82_153
; %bb.154:
	s_or_b64 exec, exec, s[0:1]
.LBB82_155:
	s_or_b64 exec, exec, s[8:9]
	v_mov_b32_e32 v44, 0
	ds_read_b64 v[44:45], v44 offset:16
	s_waitcnt lgkmcnt(0)
	v_mul_f64 v[42:43], v[42:43], v[44:45]
	scratch_store_dwordx2 off, v[42:43], off offset:16
.LBB82_156:
	s_or_b64 exec, exec, s[4:5]
	scratch_load_dwordx2 v[42:43], off, off offset:8
	v_cmp_lt_u32_e64 s[0:1], 1, v0
	s_waitcnt vmcnt(0)
	ds_write_b64 v1, v[42:43]
	s_waitcnt lgkmcnt(0)
	; wave barrier
	s_and_saveexec_b64 s[4:5], s[0:1]
	s_cbranch_execz .LBB82_166
; %bb.157:
	s_andn2_b64 vcc, exec, s[6:7]
	s_cbranch_vccnz .LBB82_159
; %bb.158:
	scratch_load_dwordx2 v[42:43], v19, off
	ds_read_b64 v[44:45], v1
	s_waitcnt vmcnt(0) lgkmcnt(0)
	v_mul_f64 v[42:43], v[42:43], v[44:45]
	s_cbranch_execz .LBB82_160
	s_branch .LBB82_161
.LBB82_159:
                                        ; implicit-def: $vgpr42_vgpr43
.LBB82_160:
	ds_read_b64 v[42:43], v1
.LBB82_161:
	s_and_saveexec_b64 s[8:9], s[2:3]
	s_cbranch_execz .LBB82_165
; %bb.162:
	v_add_u32_e32 v44, -2, v0
	s_movk_i32 s12, 0xb0
	s_mov_b64 s[2:3], 0
.LBB82_163:                             ; =>This Inner Loop Header: Depth=1
	scratch_load_dwordx2 v[46:47], off, s11
	v_mov_b32_e32 v45, s12
	ds_read_b64 v[48:49], v45
	v_add_u32_e32 v44, -1, v44
	s_add_i32 s12, s12, 8
	s_add_i32 s11, s11, 8
	v_cmp_eq_u32_e32 vcc, 0, v44
	s_or_b64 s[2:3], vcc, s[2:3]
	s_waitcnt vmcnt(0) lgkmcnt(0)
	v_fmac_f64_e32 v[42:43], v[46:47], v[48:49]
	s_andn2_b64 exec, exec, s[2:3]
	s_cbranch_execnz .LBB82_163
; %bb.164:
	s_or_b64 exec, exec, s[2:3]
.LBB82_165:
	s_or_b64 exec, exec, s[8:9]
	v_mov_b32_e32 v44, 0
	ds_read_b64 v[44:45], v44 offset:8
	s_waitcnt lgkmcnt(0)
	v_mul_f64 v[42:43], v[42:43], v[44:45]
	scratch_store_dwordx2 off, v[42:43], off offset:8
.LBB82_166:
	s_or_b64 exec, exec, s[4:5]
	scratch_load_dwordx2 v[42:43], off, off
	v_cmp_ne_u32_e32 vcc, 0, v0
	s_waitcnt vmcnt(0)
	ds_write_b64 v1, v[42:43]
	s_waitcnt lgkmcnt(0)
	; wave barrier
	s_and_saveexec_b64 s[2:3], vcc
	s_cbranch_execz .LBB82_176
; %bb.167:
	s_andn2_b64 vcc, exec, s[6:7]
	s_cbranch_vccnz .LBB82_169
; %bb.168:
	scratch_load_dwordx2 v[42:43], v19, off
	ds_read_b64 v[44:45], v1
	s_waitcnt vmcnt(0) lgkmcnt(0)
	v_mul_f64 v[42:43], v[42:43], v[44:45]
	s_cbranch_execz .LBB82_170
	s_branch .LBB82_171
.LBB82_169:
                                        ; implicit-def: $vgpr42_vgpr43
.LBB82_170:
	ds_read_b64 v[42:43], v1
.LBB82_171:
	s_and_saveexec_b64 s[4:5], s[0:1]
	s_cbranch_execz .LBB82_175
; %bb.172:
	v_add_u32_e32 v44, -1, v0
	s_movk_i32 s8, 0xa8
	s_mov_b64 s[0:1], 0
.LBB82_173:                             ; =>This Inner Loop Header: Depth=1
	scratch_load_dwordx2 v[46:47], off, s10
	v_mov_b32_e32 v45, s8
	ds_read_b64 v[48:49], v45
	v_add_u32_e32 v44, -1, v44
	s_add_i32 s8, s8, 8
	s_add_i32 s10, s10, 8
	v_cmp_eq_u32_e32 vcc, 0, v44
	s_or_b64 s[0:1], vcc, s[0:1]
	s_waitcnt vmcnt(0) lgkmcnt(0)
	v_fmac_f64_e32 v[42:43], v[46:47], v[48:49]
	s_andn2_b64 exec, exec, s[0:1]
	s_cbranch_execnz .LBB82_173
; %bb.174:
	s_or_b64 exec, exec, s[0:1]
.LBB82_175:
	s_or_b64 exec, exec, s[4:5]
	v_mov_b32_e32 v44, 0
	ds_read_b64 v[44:45], v44
	s_waitcnt lgkmcnt(0)
	v_mul_f64 v[42:43], v[42:43], v[44:45]
	scratch_store_dwordx2 off, v[42:43], off
.LBB82_176:
	s_or_b64 exec, exec, s[2:3]
	s_mov_b64 s[0:1], 0
.LBB82_177:
	s_and_b64 vcc, exec, s[0:1]
	s_cbranch_vccz .LBB82_349
; %bb.178:
	scratch_load_dwordx2 v[42:43], off, off offset:8
	v_cmp_eq_u32_e64 s[2:3], 0, v0
	s_waitcnt vmcnt(0)
	ds_write_b64 v1, v[42:43]
	s_waitcnt lgkmcnt(0)
	; wave barrier
	s_and_saveexec_b64 s[0:1], s[2:3]
	s_cbranch_execz .LBB82_184
; %bb.179:
	s_and_b64 vcc, exec, s[6:7]
	s_cbranch_vccz .LBB82_181
; %bb.180:
	scratch_load_dwordx2 v[42:43], v19, off
	ds_read_b64 v[44:45], v1
	s_waitcnt vmcnt(0) lgkmcnt(0)
	v_mul_f64 v[42:43], v[42:43], v[44:45]
	s_cbranch_execz .LBB82_182
	s_branch .LBB82_183
.LBB82_181:
                                        ; implicit-def: $vgpr42_vgpr43
.LBB82_182:
	ds_read_b64 v[42:43], v1
.LBB82_183:
	v_mov_b32_e32 v44, 0
	ds_read_b64 v[44:45], v44 offset:8
	s_waitcnt lgkmcnt(0)
	v_mul_f64 v[42:43], v[42:43], v[44:45]
	scratch_store_dwordx2 off, v[42:43], off offset:8
.LBB82_184:
	s_or_b64 exec, exec, s[0:1]
	scratch_load_dwordx2 v[42:43], off, off offset:16
	v_cndmask_b32_e64 v44, 0, 1, s[6:7]
	v_cmp_gt_u32_e32 vcc, 2, v0
	v_cmp_ne_u32_e64 s[0:1], 1, v44
	s_waitcnt vmcnt(0)
	ds_write_b64 v1, v[42:43]
	s_waitcnt lgkmcnt(0)
	; wave barrier
	s_and_saveexec_b64 s[4:5], vcc
	s_cbranch_execz .LBB82_190
; %bb.185:
	s_and_b64 vcc, exec, s[0:1]
	s_cbranch_vccnz .LBB82_187
; %bb.186:
	scratch_load_dwordx2 v[42:43], v19, off
	ds_read_b64 v[44:45], v1
	s_waitcnt vmcnt(0) lgkmcnt(0)
	v_mul_f64 v[42:43], v[42:43], v[44:45]
	s_cbranch_execz .LBB82_188
	s_branch .LBB82_189
.LBB82_187:
                                        ; implicit-def: $vgpr42_vgpr43
.LBB82_188:
	ds_read_b64 v[42:43], v1
.LBB82_189:
	scratch_load_dwordx2 v[48:49], off, off offset:8
	v_mov_b32_e32 v44, 0
	ds_read2_b64 v[44:47], v44 offset0:2 offset1:21
	s_waitcnt vmcnt(0) lgkmcnt(0)
	v_fma_f64 v[46:47], v[48:49], v[46:47], v[42:43]
	v_cndmask_b32_e64 v43, v43, v47, s[2:3]
	v_cndmask_b32_e64 v42, v42, v46, s[2:3]
	v_mul_f64 v[42:43], v[42:43], v[44:45]
	scratch_store_dwordx2 off, v[42:43], off offset:16
.LBB82_190:
	s_or_b64 exec, exec, s[4:5]
	scratch_load_dwordx2 v[42:43], off, off offset:24
	v_cmp_gt_u32_e32 vcc, 3, v0
	s_waitcnt vmcnt(0)
	ds_write_b64 v1, v[42:43]
	s_waitcnt lgkmcnt(0)
	; wave barrier
	s_and_saveexec_b64 s[4:5], vcc
	s_cbranch_execz .LBB82_198
; %bb.191:
	s_and_b64 vcc, exec, s[0:1]
	s_cbranch_vccnz .LBB82_193
; %bb.192:
	scratch_load_dwordx2 v[42:43], v19, off
	ds_read_b64 v[44:45], v1
	s_waitcnt vmcnt(0) lgkmcnt(0)
	v_mul_f64 v[42:43], v[42:43], v[44:45]
	s_cbranch_execz .LBB82_194
	s_branch .LBB82_195
.LBB82_193:
                                        ; implicit-def: $vgpr42_vgpr43
.LBB82_194:
	ds_read_b64 v[42:43], v1
.LBB82_195:
	v_cmp_ne_u32_e32 vcc, 2, v0
	s_and_saveexec_b64 s[6:7], vcc
	s_cbranch_execz .LBB82_197
; %bb.196:
	scratch_load_dwordx2 v[44:45], v19, off offset:8
	scratch_load_dwordx2 v[46:47], off, off offset:16
	ds_read_b64 v[48:49], v1 offset:8
	v_mov_b32_e32 v50, 0
	ds_read_b64 v[50:51], v50 offset:176
	s_waitcnt vmcnt(1) lgkmcnt(1)
	v_fmac_f64_e32 v[42:43], v[44:45], v[48:49]
	s_waitcnt vmcnt(0) lgkmcnt(0)
	v_fma_f64 v[44:45], v[46:47], v[50:51], v[42:43]
	v_cndmask_b32_e64 v43, v43, v45, s[2:3]
	v_cndmask_b32_e64 v42, v42, v44, s[2:3]
.LBB82_197:
	s_or_b64 exec, exec, s[6:7]
	v_mov_b32_e32 v44, 0
	ds_read_b64 v[44:45], v44 offset:24
	s_waitcnt lgkmcnt(0)
	v_mul_f64 v[42:43], v[42:43], v[44:45]
	scratch_store_dwordx2 off, v[42:43], off offset:24
.LBB82_198:
	s_or_b64 exec, exec, s[4:5]
	scratch_load_dwordx2 v[42:43], off, off offset:32
	v_cmp_gt_u32_e32 vcc, 4, v0
	s_waitcnt vmcnt(0)
	ds_write_b64 v1, v[42:43]
	s_waitcnt lgkmcnt(0)
	; wave barrier
	s_and_saveexec_b64 s[2:3], vcc
	s_cbranch_execz .LBB82_208
; %bb.199:
	s_and_b64 vcc, exec, s[0:1]
	s_cbranch_vccnz .LBB82_201
; %bb.200:
	scratch_load_dwordx2 v[42:43], v19, off
	ds_read_b64 v[44:45], v1
	s_waitcnt vmcnt(0) lgkmcnt(0)
	v_mul_f64 v[42:43], v[42:43], v[44:45]
	s_cbranch_execz .LBB82_202
	s_branch .LBB82_203
.LBB82_201:
                                        ; implicit-def: $vgpr42_vgpr43
.LBB82_202:
	ds_read_b64 v[42:43], v1
.LBB82_203:
	v_cmp_ne_u32_e32 vcc, 3, v0
	s_and_saveexec_b64 s[4:5], vcc
	s_cbranch_execz .LBB82_207
; %bb.204:
	s_mov_b32 s6, 0
	v_add_u32_e32 v44, 0xa8, v18
	v_add3_u32 v45, v18, s6, 8
	s_mov_b64 s[6:7], 0
	v_mov_b32_e32 v46, v0
.LBB82_205:                             ; =>This Inner Loop Header: Depth=1
	scratch_load_dwordx2 v[48:49], v45, off
	ds_read_b64 v[50:51], v44
	v_add_u32_e32 v46, 1, v46
	v_cmp_lt_u32_e32 vcc, 2, v46
	v_add_u32_e32 v44, 8, v44
	v_add_u32_e32 v45, 8, v45
	s_or_b64 s[6:7], vcc, s[6:7]
	s_waitcnt vmcnt(0) lgkmcnt(0)
	v_fmac_f64_e32 v[42:43], v[48:49], v[50:51]
	s_andn2_b64 exec, exec, s[6:7]
	s_cbranch_execnz .LBB82_205
; %bb.206:
	s_or_b64 exec, exec, s[6:7]
.LBB82_207:
	s_or_b64 exec, exec, s[4:5]
	v_mov_b32_e32 v44, 0
	ds_read_b64 v[44:45], v44 offset:32
	s_waitcnt lgkmcnt(0)
	v_mul_f64 v[42:43], v[42:43], v[44:45]
	scratch_store_dwordx2 off, v[42:43], off offset:32
.LBB82_208:
	s_or_b64 exec, exec, s[2:3]
	scratch_load_dwordx2 v[42:43], off, off offset:40
	v_cmp_gt_u32_e32 vcc, 5, v0
	s_waitcnt vmcnt(0)
	ds_write_b64 v1, v[42:43]
	s_waitcnt lgkmcnt(0)
	; wave barrier
	s_and_saveexec_b64 s[2:3], vcc
	s_cbranch_execz .LBB82_218
; %bb.209:
	s_and_b64 vcc, exec, s[0:1]
	s_cbranch_vccnz .LBB82_211
; %bb.210:
	scratch_load_dwordx2 v[42:43], v19, off
	ds_read_b64 v[44:45], v1
	s_waitcnt vmcnt(0) lgkmcnt(0)
	v_mul_f64 v[42:43], v[42:43], v[44:45]
	s_cbranch_execz .LBB82_212
	s_branch .LBB82_213
.LBB82_211:
                                        ; implicit-def: $vgpr42_vgpr43
.LBB82_212:
	ds_read_b64 v[42:43], v1
.LBB82_213:
	v_cmp_ne_u32_e32 vcc, 4, v0
	s_and_saveexec_b64 s[4:5], vcc
	s_cbranch_execz .LBB82_217
; %bb.214:
	s_mov_b32 s6, 0
	v_add_u32_e32 v44, 0xa8, v18
	v_add3_u32 v45, v18, s6, 8
	s_mov_b64 s[6:7], 0
	v_mov_b32_e32 v46, v0
.LBB82_215:                             ; =>This Inner Loop Header: Depth=1
	scratch_load_dwordx2 v[48:49], v45, off
	ds_read_b64 v[50:51], v44
	v_add_u32_e32 v46, 1, v46
	v_cmp_lt_u32_e32 vcc, 3, v46
	v_add_u32_e32 v44, 8, v44
	v_add_u32_e32 v45, 8, v45
	s_or_b64 s[6:7], vcc, s[6:7]
	s_waitcnt vmcnt(0) lgkmcnt(0)
	v_fmac_f64_e32 v[42:43], v[48:49], v[50:51]
	s_andn2_b64 exec, exec, s[6:7]
	s_cbranch_execnz .LBB82_215
; %bb.216:
	s_or_b64 exec, exec, s[6:7]
.LBB82_217:
	s_or_b64 exec, exec, s[4:5]
	v_mov_b32_e32 v44, 0
	ds_read_b64 v[44:45], v44 offset:40
	s_waitcnt lgkmcnt(0)
	v_mul_f64 v[42:43], v[42:43], v[44:45]
	scratch_store_dwordx2 off, v[42:43], off offset:40
.LBB82_218:
	;; [unrolled: 55-line block ×13, first 2 shown]
	s_or_b64 exec, exec, s[2:3]
	scratch_load_dwordx2 v[42:43], off, off offset:136
	v_cmp_gt_u32_e64 s[2:3], 17, v0
	s_waitcnt vmcnt(0)
	ds_write_b64 v1, v[42:43]
	s_waitcnt lgkmcnt(0)
	; wave barrier
	s_and_saveexec_b64 s[4:5], s[2:3]
	s_cbranch_execz .LBB82_338
; %bb.329:
	s_and_b64 vcc, exec, s[0:1]
	s_cbranch_vccnz .LBB82_331
; %bb.330:
	scratch_load_dwordx2 v[42:43], v19, off
	ds_read_b64 v[44:45], v1
	s_waitcnt vmcnt(0) lgkmcnt(0)
	v_mul_f64 v[42:43], v[42:43], v[44:45]
	s_cbranch_execz .LBB82_332
	s_branch .LBB82_333
.LBB82_331:
                                        ; implicit-def: $vgpr42_vgpr43
.LBB82_332:
	ds_read_b64 v[42:43], v1
.LBB82_333:
	v_cmp_ne_u32_e32 vcc, 16, v0
	s_and_saveexec_b64 s[6:7], vcc
	s_cbranch_execz .LBB82_337
; %bb.334:
	s_mov_b32 s8, 0
	v_add_u32_e32 v44, 0xa8, v18
	v_add3_u32 v45, v18, s8, 8
	s_mov_b64 s[8:9], 0
	v_mov_b32_e32 v46, v0
.LBB82_335:                             ; =>This Inner Loop Header: Depth=1
	scratch_load_dwordx2 v[48:49], v45, off
	ds_read_b64 v[50:51], v44
	v_add_u32_e32 v46, 1, v46
	v_cmp_lt_u32_e32 vcc, 15, v46
	v_add_u32_e32 v44, 8, v44
	v_add_u32_e32 v45, 8, v45
	s_or_b64 s[8:9], vcc, s[8:9]
	s_waitcnt vmcnt(0) lgkmcnt(0)
	v_fmac_f64_e32 v[42:43], v[48:49], v[50:51]
	s_andn2_b64 exec, exec, s[8:9]
	s_cbranch_execnz .LBB82_335
; %bb.336:
	s_or_b64 exec, exec, s[8:9]
.LBB82_337:
	s_or_b64 exec, exec, s[6:7]
	v_mov_b32_e32 v44, 0
	ds_read_b64 v[44:45], v44 offset:136
	s_waitcnt lgkmcnt(0)
	v_mul_f64 v[42:43], v[42:43], v[44:45]
	scratch_store_dwordx2 off, v[42:43], off offset:136
.LBB82_338:
	s_or_b64 exec, exec, s[4:5]
	scratch_load_dwordx2 v[42:43], off, off offset:144
	v_cmp_ne_u32_e32 vcc, 18, v0
	s_waitcnt vmcnt(0)
	ds_write_b64 v1, v[42:43]
	s_waitcnt lgkmcnt(0)
	; wave barrier
	s_and_saveexec_b64 s[4:5], vcc
	s_cbranch_execz .LBB82_348
; %bb.339:
	s_and_b64 vcc, exec, s[0:1]
	s_cbranch_vccnz .LBB82_341
; %bb.340:
	scratch_load_dwordx2 v[42:43], v19, off
	ds_read_b64 v[44:45], v1
	s_waitcnt vmcnt(0) lgkmcnt(0)
	v_mul_f64 v[42:43], v[42:43], v[44:45]
	s_cbranch_execz .LBB82_342
	s_branch .LBB82_343
.LBB82_341:
                                        ; implicit-def: $vgpr42_vgpr43
.LBB82_342:
	ds_read_b64 v[42:43], v1
.LBB82_343:
	s_and_saveexec_b64 s[0:1], s[2:3]
	s_cbranch_execz .LBB82_347
; %bb.344:
	s_mov_b32 s2, 0
	v_add_u32_e32 v1, 0xa8, v18
	v_add3_u32 v18, v18, s2, 8
	s_mov_b64 s[2:3], 0
.LBB82_345:                             ; =>This Inner Loop Header: Depth=1
	scratch_load_dwordx2 v[44:45], v18, off
	ds_read_b64 v[46:47], v1
	v_add_u32_e32 v0, 1, v0
	v_cmp_lt_u32_e32 vcc, 16, v0
	v_add_u32_e32 v1, 8, v1
	v_add_u32_e32 v18, 8, v18
	s_or_b64 s[2:3], vcc, s[2:3]
	s_waitcnt vmcnt(0) lgkmcnt(0)
	v_fmac_f64_e32 v[42:43], v[44:45], v[46:47]
	s_andn2_b64 exec, exec, s[2:3]
	s_cbranch_execnz .LBB82_345
; %bb.346:
	s_or_b64 exec, exec, s[2:3]
.LBB82_347:
	s_or_b64 exec, exec, s[0:1]
	v_mov_b32_e32 v0, 0
	ds_read_b64 v[0:1], v0 offset:144
	s_waitcnt lgkmcnt(0)
	v_mul_f64 v[0:1], v[42:43], v[0:1]
	scratch_store_dwordx2 off, v[0:1], off offset:144
.LBB82_348:
	s_or_b64 exec, exec, s[4:5]
.LBB82_349:
	scratch_load_dwordx2 v[0:1], off, off
	s_waitcnt vmcnt(0)
	flat_store_dwordx2 v[2:3], v[0:1]
	scratch_load_dwordx2 v[0:1], off, off offset:8
	s_waitcnt vmcnt(0)
	flat_store_dwordx2 v[4:5], v[0:1]
	scratch_load_dwordx2 v[0:1], off, off offset:16
	;; [unrolled: 3-line block ×18, first 2 shown]
	s_waitcnt vmcnt(0)
	flat_store_dwordx2 v[40:41], v[0:1]
.LBB82_350:
	s_endpgm
	.section	.rodata,"a",@progbits
	.p2align	6, 0x0
	.amdhsa_kernel _ZN9rocsolver6v33100L18trti2_kernel_smallILi19EdPKPdEEv13rocblas_fill_17rocblas_diagonal_T1_iil
		.amdhsa_group_segment_fixed_size 312
		.amdhsa_private_segment_fixed_size 160
		.amdhsa_kernarg_size 32
		.amdhsa_user_sgpr_count 2
		.amdhsa_user_sgpr_dispatch_ptr 0
		.amdhsa_user_sgpr_queue_ptr 0
		.amdhsa_user_sgpr_kernarg_segment_ptr 1
		.amdhsa_user_sgpr_dispatch_id 0
		.amdhsa_user_sgpr_kernarg_preload_length 0
		.amdhsa_user_sgpr_kernarg_preload_offset 0
		.amdhsa_user_sgpr_private_segment_size 0
		.amdhsa_uses_dynamic_stack 0
		.amdhsa_enable_private_segment 1
		.amdhsa_system_sgpr_workgroup_id_x 1
		.amdhsa_system_sgpr_workgroup_id_y 0
		.amdhsa_system_sgpr_workgroup_id_z 0
		.amdhsa_system_sgpr_workgroup_info 0
		.amdhsa_system_vgpr_workitem_id 0
		.amdhsa_next_free_vgpr 52
		.amdhsa_next_free_sgpr 27
		.amdhsa_accum_offset 52
		.amdhsa_reserve_vcc 1
		.amdhsa_float_round_mode_32 0
		.amdhsa_float_round_mode_16_64 0
		.amdhsa_float_denorm_mode_32 3
		.amdhsa_float_denorm_mode_16_64 3
		.amdhsa_dx10_clamp 1
		.amdhsa_ieee_mode 1
		.amdhsa_fp16_overflow 0
		.amdhsa_tg_split 0
		.amdhsa_exception_fp_ieee_invalid_op 0
		.amdhsa_exception_fp_denorm_src 0
		.amdhsa_exception_fp_ieee_div_zero 0
		.amdhsa_exception_fp_ieee_overflow 0
		.amdhsa_exception_fp_ieee_underflow 0
		.amdhsa_exception_fp_ieee_inexact 0
		.amdhsa_exception_int_div_zero 0
	.end_amdhsa_kernel
	.section	.text._ZN9rocsolver6v33100L18trti2_kernel_smallILi19EdPKPdEEv13rocblas_fill_17rocblas_diagonal_T1_iil,"axG",@progbits,_ZN9rocsolver6v33100L18trti2_kernel_smallILi19EdPKPdEEv13rocblas_fill_17rocblas_diagonal_T1_iil,comdat
.Lfunc_end82:
	.size	_ZN9rocsolver6v33100L18trti2_kernel_smallILi19EdPKPdEEv13rocblas_fill_17rocblas_diagonal_T1_iil, .Lfunc_end82-_ZN9rocsolver6v33100L18trti2_kernel_smallILi19EdPKPdEEv13rocblas_fill_17rocblas_diagonal_T1_iil
                                        ; -- End function
	.set _ZN9rocsolver6v33100L18trti2_kernel_smallILi19EdPKPdEEv13rocblas_fill_17rocblas_diagonal_T1_iil.num_vgpr, 52
	.set _ZN9rocsolver6v33100L18trti2_kernel_smallILi19EdPKPdEEv13rocblas_fill_17rocblas_diagonal_T1_iil.num_agpr, 0
	.set _ZN9rocsolver6v33100L18trti2_kernel_smallILi19EdPKPdEEv13rocblas_fill_17rocblas_diagonal_T1_iil.numbered_sgpr, 27
	.set _ZN9rocsolver6v33100L18trti2_kernel_smallILi19EdPKPdEEv13rocblas_fill_17rocblas_diagonal_T1_iil.num_named_barrier, 0
	.set _ZN9rocsolver6v33100L18trti2_kernel_smallILi19EdPKPdEEv13rocblas_fill_17rocblas_diagonal_T1_iil.private_seg_size, 160
	.set _ZN9rocsolver6v33100L18trti2_kernel_smallILi19EdPKPdEEv13rocblas_fill_17rocblas_diagonal_T1_iil.uses_vcc, 1
	.set _ZN9rocsolver6v33100L18trti2_kernel_smallILi19EdPKPdEEv13rocblas_fill_17rocblas_diagonal_T1_iil.uses_flat_scratch, 0
	.set _ZN9rocsolver6v33100L18trti2_kernel_smallILi19EdPKPdEEv13rocblas_fill_17rocblas_diagonal_T1_iil.has_dyn_sized_stack, 0
	.set _ZN9rocsolver6v33100L18trti2_kernel_smallILi19EdPKPdEEv13rocblas_fill_17rocblas_diagonal_T1_iil.has_recursion, 0
	.set _ZN9rocsolver6v33100L18trti2_kernel_smallILi19EdPKPdEEv13rocblas_fill_17rocblas_diagonal_T1_iil.has_indirect_call, 0
	.section	.AMDGPU.csdata,"",@progbits
; Kernel info:
; codeLenInByte = 8936
; TotalNumSgprs: 33
; NumVgprs: 52
; NumAgprs: 0
; TotalNumVgprs: 52
; ScratchSize: 160
; MemoryBound: 0
; FloatMode: 240
; IeeeMode: 1
; LDSByteSize: 312 bytes/workgroup (compile time only)
; SGPRBlocks: 4
; VGPRBlocks: 6
; NumSGPRsForWavesPerEU: 33
; NumVGPRsForWavesPerEU: 52
; AccumOffset: 52
; Occupancy: 8
; WaveLimiterHint : 1
; COMPUTE_PGM_RSRC2:SCRATCH_EN: 1
; COMPUTE_PGM_RSRC2:USER_SGPR: 2
; COMPUTE_PGM_RSRC2:TRAP_HANDLER: 0
; COMPUTE_PGM_RSRC2:TGID_X_EN: 1
; COMPUTE_PGM_RSRC2:TGID_Y_EN: 0
; COMPUTE_PGM_RSRC2:TGID_Z_EN: 0
; COMPUTE_PGM_RSRC2:TIDIG_COMP_CNT: 0
; COMPUTE_PGM_RSRC3_GFX90A:ACCUM_OFFSET: 12
; COMPUTE_PGM_RSRC3_GFX90A:TG_SPLIT: 0
	.section	.text._ZN9rocsolver6v33100L18trti2_kernel_smallILi20EdPKPdEEv13rocblas_fill_17rocblas_diagonal_T1_iil,"axG",@progbits,_ZN9rocsolver6v33100L18trti2_kernel_smallILi20EdPKPdEEv13rocblas_fill_17rocblas_diagonal_T1_iil,comdat
	.globl	_ZN9rocsolver6v33100L18trti2_kernel_smallILi20EdPKPdEEv13rocblas_fill_17rocblas_diagonal_T1_iil ; -- Begin function _ZN9rocsolver6v33100L18trti2_kernel_smallILi20EdPKPdEEv13rocblas_fill_17rocblas_diagonal_T1_iil
	.p2align	8
	.type	_ZN9rocsolver6v33100L18trti2_kernel_smallILi20EdPKPdEEv13rocblas_fill_17rocblas_diagonal_T1_iil,@function
_ZN9rocsolver6v33100L18trti2_kernel_smallILi20EdPKPdEEv13rocblas_fill_17rocblas_diagonal_T1_iil: ; @_ZN9rocsolver6v33100L18trti2_kernel_smallILi20EdPKPdEEv13rocblas_fill_17rocblas_diagonal_T1_iil
; %bb.0:
	v_cmp_gt_u32_e32 vcc, 20, v0
	s_and_saveexec_b64 s[4:5], vcc
	s_cbranch_execz .LBB83_370
; %bb.1:
	s_load_dwordx2 s[8:9], s[0:1], 0x10
	s_load_dwordx4 s[4:7], s[0:1], 0x0
	s_ashr_i32 s3, s2, 31
	s_lshl_b64 s[0:1], s[2:3], 3
	v_lshlrev_b32_e32 v18, 3, v0
	s_waitcnt lgkmcnt(0)
	s_ashr_i32 s3, s8, 31
	s_add_u32 s0, s6, s0
	s_addc_u32 s1, s7, s1
	s_load_dwordx2 s[0:1], s[0:1], 0x0
	s_mov_b32 s2, s8
	s_lshl_b64 s[2:3], s[2:3], 3
	v_mov_b32_e32 v19, 0
	s_waitcnt lgkmcnt(0)
	s_add_u32 s0, s0, s2
	s_addc_u32 s1, s1, s3
	v_lshl_add_u64 v[2:3], s[0:1], 0, v[18:19]
	flat_load_dwordx2 v[6:7], v[2:3]
	s_mov_b32 s2, s9
	s_ashr_i32 s3, s9, 31
	v_lshl_add_u64 v[4:5], s[2:3], 3, v[2:3]
	s_add_i32 s2, s9, s9
	v_add_u32_e32 v10, s2, v0
	v_ashrrev_i32_e32 v11, 31, v10
	s_cmpk_lg_i32 s5, 0x84
	s_cselect_b64 s[6:7], -1, 0
	s_cmpk_eq_i32 s5, 0x84
	s_waitcnt vmcnt(0) lgkmcnt(0)
	scratch_store_dwordx2 off, v[6:7], off
	flat_load_dwordx2 v[8:9], v[4:5]
	v_lshl_add_u64 v[6:7], v[10:11], 3, s[0:1]
	v_add_u32_e32 v10, s9, v10
	v_ashrrev_i32_e32 v11, 31, v10
	v_add_u32_e32 v14, s9, v10
	v_ashrrev_i32_e32 v15, 31, v14
	s_waitcnt vmcnt(0) lgkmcnt(0)
	scratch_store_dwordx2 off, v[8:9], off offset:8
	flat_load_dwordx2 v[12:13], v[6:7]
	v_lshl_add_u64 v[8:9], v[10:11], 3, s[0:1]
	v_lshl_add_u64 v[10:11], v[14:15], 3, s[0:1]
	v_add_u32_e32 v14, s9, v14
	v_ashrrev_i32_e32 v15, 31, v14
	v_add_u32_e32 v20, s9, v14
	v_ashrrev_i32_e32 v21, 31, v20
	s_waitcnt vmcnt(0) lgkmcnt(0)
	scratch_store_dwordx2 off, v[12:13], off offset:16
	flat_load_dwordx2 v[12:13], v[8:9]
	s_waitcnt vmcnt(0) lgkmcnt(0)
	scratch_store_dwordx2 off, v[12:13], off offset:24
	flat_load_dwordx2 v[16:17], v[10:11]
	v_lshl_add_u64 v[12:13], v[14:15], 3, s[0:1]
	v_lshl_add_u64 v[14:15], v[20:21], 3, s[0:1]
	v_add_u32_e32 v20, s9, v20
	v_ashrrev_i32_e32 v21, 31, v20
	v_add_u32_e32 v24, s9, v20
	v_ashrrev_i32_e32 v25, 31, v24
	s_waitcnt vmcnt(0) lgkmcnt(0)
	scratch_store_dwordx2 off, v[16:17], off offset:32
	flat_load_dwordx2 v[16:17], v[12:13]
	;; [unrolled: 12-line block ×7, first 2 shown]
	s_waitcnt vmcnt(0) lgkmcnt(0)
	scratch_store_dwordx2 off, v[38:39], off offset:120
	flat_load_dwordx2 v[42:43], v[36:37]
	v_lshl_add_u64 v[38:39], v[40:41], 3, s[0:1]
	v_lshl_add_u64 v[40:41], v[44:45], 3, s[0:1]
	s_waitcnt vmcnt(0) lgkmcnt(0)
	scratch_store_dwordx2 off, v[42:43], off offset:128
	flat_load_dwordx2 v[42:43], v[38:39]
	s_waitcnt vmcnt(0) lgkmcnt(0)
	scratch_store_dwordx2 off, v[42:43], off offset:136
	flat_load_dwordx2 v[46:47], v[40:41]
	v_add_u32_e32 v42, s9, v44
	v_ashrrev_i32_e32 v43, 31, v42
	v_lshl_add_u64 v[42:43], v[42:43], 3, s[0:1]
	s_waitcnt vmcnt(0) lgkmcnt(0)
	scratch_store_dwordx2 off, v[46:47], off offset:144
	flat_load_dwordx2 v[44:45], v[42:43]
	s_waitcnt vmcnt(0) lgkmcnt(0)
	scratch_store_dwordx2 off, v[44:45], off offset:152
	v_mov_b64_e32 v[44:45], -1.0
	s_cbranch_scc1 .LBB83_3
; %bb.2:
	scratch_load_dwordx2 v[44:45], v18, off
	s_waitcnt vmcnt(0)
	v_div_scale_f64 v[46:47], s[0:1], v[44:45], v[44:45], 1.0
	v_rcp_f64_e32 v[48:49], v[46:47]
	v_div_scale_f64 v[50:51], vcc, 1.0, v[44:45], 1.0
	v_fma_f64 v[52:53], -v[46:47], v[48:49], 1.0
	v_fmac_f64_e32 v[48:49], v[48:49], v[52:53]
	v_fma_f64 v[52:53], -v[46:47], v[48:49], 1.0
	v_fmac_f64_e32 v[48:49], v[48:49], v[52:53]
	v_mul_f64 v[52:53], v[50:51], v[48:49]
	v_fma_f64 v[46:47], -v[46:47], v[52:53], v[50:51]
	v_div_fmas_f64 v[46:47], v[46:47], v[48:49], v[52:53]
	v_div_fixup_f64 v[44:45], v[46:47], v[44:45], 1.0
	scratch_store_dwordx2 v18, v[44:45], off
	v_xor_b32_e32 v45, 0x80000000, v45
.LBB83_3:
	s_cmpk_eq_i32 s4, 0x79
	v_add_u32_e32 v1, 0xa0, v18
	v_mov_b32_e32 v19, v18
	s_mov_b64 s[0:1], -1
	ds_write_b64 v18, v[44:45]
	s_cbranch_scc1 .LBB83_187
; %bb.4:
	scratch_load_dwordx2 v[44:45], off, off offset:144
	s_movk_i32 s8, 0x48
	s_movk_i32 s9, 0x50
	;; [unrolled: 1-line block ×9, first 2 shown]
	v_cmp_eq_u32_e64 s[0:1], 19, v0
	s_waitcnt vmcnt(0)
	ds_write_b64 v1, v[44:45]
	s_waitcnt lgkmcnt(0)
	; wave barrier
	s_and_saveexec_b64 s[2:3], s[0:1]
	s_cbranch_execz .LBB83_10
; %bb.5:
	s_and_b64 vcc, exec, s[6:7]
	s_cbranch_vccz .LBB83_7
; %bb.6:
	scratch_load_dwordx2 v[44:45], v19, off
	ds_read_b64 v[46:47], v1
	s_waitcnt vmcnt(0) lgkmcnt(0)
	v_mul_f64 v[44:45], v[44:45], v[46:47]
	s_cbranch_execz .LBB83_8
	s_branch .LBB83_9
.LBB83_7:
                                        ; implicit-def: $vgpr44_vgpr45
.LBB83_8:
	ds_read_b64 v[44:45], v1
.LBB83_9:
	v_mov_b32_e32 v46, 0
	ds_read_b64 v[46:47], v46 offset:144
	s_waitcnt lgkmcnt(0)
	v_mul_f64 v[44:45], v[44:45], v[46:47]
	scratch_store_dwordx2 off, v[44:45], off offset:144
.LBB83_10:
	s_or_b64 exec, exec, s[2:3]
	scratch_load_dwordx2 v[44:45], off, off offset:136
	s_or_b32 s10, 0, 8
	s_mov_b32 s11, 16
	s_mov_b32 s12, 24
	s_mov_b32 s13, 32
	s_mov_b32 s14, 40
	s_mov_b32 s15, 48
	s_mov_b32 s16, 56
	s_mov_b32 s17, 64
	s_mov_b32 s18, s8
	s_mov_b32 s19, s9
	v_cmp_lt_u32_e64 s[2:3], 17, v0
	s_waitcnt vmcnt(0)
	ds_write_b64 v1, v[44:45]
	s_waitcnt lgkmcnt(0)
	; wave barrier
	s_and_saveexec_b64 s[4:5], s[2:3]
	s_cbranch_execz .LBB83_16
; %bb.11:
	s_andn2_b64 vcc, exec, s[6:7]
	s_cbranch_vccnz .LBB83_13
; %bb.12:
	scratch_load_dwordx2 v[44:45], v19, off
	ds_read_b64 v[46:47], v1
	s_waitcnt vmcnt(0) lgkmcnt(0)
	v_mul_f64 v[44:45], v[44:45], v[46:47]
	s_cbranch_execz .LBB83_14
	s_branch .LBB83_15
.LBB83_13:
                                        ; implicit-def: $vgpr44_vgpr45
.LBB83_14:
	ds_read_b64 v[44:45], v1
.LBB83_15:
	scratch_load_dwordx2 v[50:51], off, off offset:144
	v_mov_b32_e32 v46, 0
	ds_read2_b64 v[46:49], v46 offset0:17 offset1:38
	s_waitcnt vmcnt(0) lgkmcnt(0)
	v_fma_f64 v[48:49], v[50:51], v[48:49], v[44:45]
	v_cndmask_b32_e64 v45, v45, v49, s[0:1]
	v_cndmask_b32_e64 v44, v44, v48, s[0:1]
	v_mul_f64 v[44:45], v[44:45], v[46:47]
	scratch_store_dwordx2 off, v[44:45], off offset:136
.LBB83_16:
	s_or_b64 exec, exec, s[4:5]
	scratch_load_dwordx2 v[44:45], off, off offset:128
	v_cmp_lt_u32_e64 s[0:1], 16, v0
	s_waitcnt vmcnt(0)
	ds_write_b64 v1, v[44:45]
	s_waitcnt lgkmcnt(0)
	; wave barrier
	s_and_saveexec_b64 s[4:5], s[0:1]
	s_cbranch_execz .LBB83_26
; %bb.17:
	s_andn2_b64 vcc, exec, s[6:7]
	s_cbranch_vccnz .LBB83_19
; %bb.18:
	scratch_load_dwordx2 v[44:45], v19, off
	ds_read_b64 v[46:47], v1
	s_waitcnt vmcnt(0) lgkmcnt(0)
	v_mul_f64 v[44:45], v[44:45], v[46:47]
	s_cbranch_execz .LBB83_20
	s_branch .LBB83_21
.LBB83_19:
                                        ; implicit-def: $vgpr44_vgpr45
.LBB83_20:
	ds_read_b64 v[44:45], v1
.LBB83_21:
	s_and_saveexec_b64 s[8:9], s[2:3]
	s_cbranch_execz .LBB83_25
; %bb.22:
	v_subrev_u32_e32 v46, 17, v0
	s_movk_i32 s27, 0x128
	s_mov_b64 s[2:3], 0
.LBB83_23:                              ; =>This Inner Loop Header: Depth=1
	scratch_load_dwordx2 v[48:49], off, s26
	v_mov_b32_e32 v47, s27
	ds_read_b64 v[50:51], v47
	v_add_u32_e32 v46, -1, v46
	s_add_i32 s27, s27, 8
	s_add_i32 s26, s26, 8
	v_cmp_eq_u32_e32 vcc, 0, v46
	s_or_b64 s[2:3], vcc, s[2:3]
	s_waitcnt vmcnt(0) lgkmcnt(0)
	v_fmac_f64_e32 v[44:45], v[48:49], v[50:51]
	s_andn2_b64 exec, exec, s[2:3]
	s_cbranch_execnz .LBB83_23
; %bb.24:
	s_or_b64 exec, exec, s[2:3]
.LBB83_25:
	s_or_b64 exec, exec, s[8:9]
	v_mov_b32_e32 v46, 0
	ds_read_b64 v[46:47], v46 offset:128
	s_waitcnt lgkmcnt(0)
	v_mul_f64 v[44:45], v[44:45], v[46:47]
	scratch_store_dwordx2 off, v[44:45], off offset:128
.LBB83_26:
	s_or_b64 exec, exec, s[4:5]
	scratch_load_dwordx2 v[44:45], off, off offset:120
	v_cmp_lt_u32_e64 s[2:3], 15, v0
	s_waitcnt vmcnt(0)
	ds_write_b64 v1, v[44:45]
	s_waitcnt lgkmcnt(0)
	; wave barrier
	s_and_saveexec_b64 s[4:5], s[2:3]
	s_cbranch_execz .LBB83_36
; %bb.27:
	s_andn2_b64 vcc, exec, s[6:7]
	s_cbranch_vccnz .LBB83_29
; %bb.28:
	scratch_load_dwordx2 v[44:45], v19, off
	ds_read_b64 v[46:47], v1
	s_waitcnt vmcnt(0) lgkmcnt(0)
	v_mul_f64 v[44:45], v[44:45], v[46:47]
	s_cbranch_execz .LBB83_30
	s_branch .LBB83_31
.LBB83_29:
                                        ; implicit-def: $vgpr44_vgpr45
.LBB83_30:
	ds_read_b64 v[44:45], v1
.LBB83_31:
	s_and_saveexec_b64 s[8:9], s[0:1]
	s_cbranch_execz .LBB83_35
; %bb.32:
	v_add_u32_e32 v46, -16, v0
	s_movk_i32 s26, 0x120
	s_mov_b64 s[0:1], 0
.LBB83_33:                              ; =>This Inner Loop Header: Depth=1
	scratch_load_dwordx2 v[48:49], off, s25
	v_mov_b32_e32 v47, s26
	ds_read_b64 v[50:51], v47
	v_add_u32_e32 v46, -1, v46
	s_add_i32 s26, s26, 8
	s_add_i32 s25, s25, 8
	v_cmp_eq_u32_e32 vcc, 0, v46
	s_or_b64 s[0:1], vcc, s[0:1]
	s_waitcnt vmcnt(0) lgkmcnt(0)
	v_fmac_f64_e32 v[44:45], v[48:49], v[50:51]
	s_andn2_b64 exec, exec, s[0:1]
	s_cbranch_execnz .LBB83_33
; %bb.34:
	s_or_b64 exec, exec, s[0:1]
.LBB83_35:
	s_or_b64 exec, exec, s[8:9]
	v_mov_b32_e32 v46, 0
	ds_read_b64 v[46:47], v46 offset:120
	s_waitcnt lgkmcnt(0)
	v_mul_f64 v[44:45], v[44:45], v[46:47]
	scratch_store_dwordx2 off, v[44:45], off offset:120
.LBB83_36:
	s_or_b64 exec, exec, s[4:5]
	scratch_load_dwordx2 v[44:45], off, off offset:112
	v_cmp_lt_u32_e64 s[0:1], 14, v0
	s_waitcnt vmcnt(0)
	ds_write_b64 v1, v[44:45]
	s_waitcnt lgkmcnt(0)
	; wave barrier
	s_and_saveexec_b64 s[4:5], s[0:1]
	s_cbranch_execz .LBB83_46
; %bb.37:
	s_andn2_b64 vcc, exec, s[6:7]
	s_cbranch_vccnz .LBB83_39
; %bb.38:
	scratch_load_dwordx2 v[44:45], v19, off
	ds_read_b64 v[46:47], v1
	s_waitcnt vmcnt(0) lgkmcnt(0)
	v_mul_f64 v[44:45], v[44:45], v[46:47]
	s_cbranch_execz .LBB83_40
	s_branch .LBB83_41
.LBB83_39:
                                        ; implicit-def: $vgpr44_vgpr45
.LBB83_40:
	ds_read_b64 v[44:45], v1
.LBB83_41:
	s_and_saveexec_b64 s[8:9], s[2:3]
	s_cbranch_execz .LBB83_45
; %bb.42:
	v_add_u32_e32 v46, -15, v0
	s_movk_i32 s25, 0x118
	s_mov_b64 s[2:3], 0
.LBB83_43:                              ; =>This Inner Loop Header: Depth=1
	scratch_load_dwordx2 v[48:49], off, s24
	v_mov_b32_e32 v47, s25
	ds_read_b64 v[50:51], v47
	v_add_u32_e32 v46, -1, v46
	s_add_i32 s25, s25, 8
	s_add_i32 s24, s24, 8
	v_cmp_eq_u32_e32 vcc, 0, v46
	s_or_b64 s[2:3], vcc, s[2:3]
	s_waitcnt vmcnt(0) lgkmcnt(0)
	v_fmac_f64_e32 v[44:45], v[48:49], v[50:51]
	s_andn2_b64 exec, exec, s[2:3]
	s_cbranch_execnz .LBB83_43
; %bb.44:
	s_or_b64 exec, exec, s[2:3]
.LBB83_45:
	s_or_b64 exec, exec, s[8:9]
	v_mov_b32_e32 v46, 0
	ds_read_b64 v[46:47], v46 offset:112
	s_waitcnt lgkmcnt(0)
	v_mul_f64 v[44:45], v[44:45], v[46:47]
	scratch_store_dwordx2 off, v[44:45], off offset:112
.LBB83_46:
	;; [unrolled: 53-line block ×7, first 2 shown]
	s_or_b64 exec, exec, s[4:5]
	scratch_load_dwordx2 v[44:45], off, off offset:64
	v_cmp_lt_u32_e64 s[0:1], 8, v0
	s_waitcnt vmcnt(0)
	ds_write_b64 v1, v[44:45]
	s_waitcnt lgkmcnt(0)
	; wave barrier
	s_and_saveexec_b64 s[4:5], s[0:1]
	s_cbranch_execz .LBB83_106
; %bb.97:
	s_andn2_b64 vcc, exec, s[6:7]
	s_cbranch_vccnz .LBB83_99
; %bb.98:
	scratch_load_dwordx2 v[44:45], v19, off
	ds_read_b64 v[46:47], v1
	s_waitcnt vmcnt(0) lgkmcnt(0)
	v_mul_f64 v[44:45], v[44:45], v[46:47]
	s_cbranch_execz .LBB83_100
	s_branch .LBB83_101
.LBB83_99:
                                        ; implicit-def: $vgpr44_vgpr45
.LBB83_100:
	ds_read_b64 v[44:45], v1
.LBB83_101:
	s_and_saveexec_b64 s[8:9], s[2:3]
	s_cbranch_execz .LBB83_105
; %bb.102:
	v_add_u32_e32 v46, -9, v0
	s_movk_i32 s19, 0xe8
	s_mov_b64 s[2:3], 0
.LBB83_103:                             ; =>This Inner Loop Header: Depth=1
	scratch_load_dwordx2 v[48:49], off, s18
	v_mov_b32_e32 v47, s19
	ds_read_b64 v[50:51], v47
	v_add_u32_e32 v46, -1, v46
	s_add_i32 s19, s19, 8
	s_add_i32 s18, s18, 8
	v_cmp_eq_u32_e32 vcc, 0, v46
	s_or_b64 s[2:3], vcc, s[2:3]
	s_waitcnt vmcnt(0) lgkmcnt(0)
	v_fmac_f64_e32 v[44:45], v[48:49], v[50:51]
	s_andn2_b64 exec, exec, s[2:3]
	s_cbranch_execnz .LBB83_103
; %bb.104:
	s_or_b64 exec, exec, s[2:3]
.LBB83_105:
	s_or_b64 exec, exec, s[8:9]
	v_mov_b32_e32 v46, 0
	ds_read_b64 v[46:47], v46 offset:64
	s_waitcnt lgkmcnt(0)
	v_mul_f64 v[44:45], v[44:45], v[46:47]
	scratch_store_dwordx2 off, v[44:45], off offset:64
.LBB83_106:
	s_or_b64 exec, exec, s[4:5]
	scratch_load_dwordx2 v[44:45], off, off offset:56
	v_cmp_lt_u32_e64 s[2:3], 7, v0
	s_waitcnt vmcnt(0)
	ds_write_b64 v1, v[44:45]
	s_waitcnt lgkmcnt(0)
	; wave barrier
	s_and_saveexec_b64 s[4:5], s[2:3]
	s_cbranch_execz .LBB83_116
; %bb.107:
	s_andn2_b64 vcc, exec, s[6:7]
	s_cbranch_vccnz .LBB83_109
; %bb.108:
	scratch_load_dwordx2 v[44:45], v19, off
	ds_read_b64 v[46:47], v1
	s_waitcnt vmcnt(0) lgkmcnt(0)
	v_mul_f64 v[44:45], v[44:45], v[46:47]
	s_cbranch_execz .LBB83_110
	s_branch .LBB83_111
.LBB83_109:
                                        ; implicit-def: $vgpr44_vgpr45
.LBB83_110:
	ds_read_b64 v[44:45], v1
.LBB83_111:
	s_and_saveexec_b64 s[8:9], s[0:1]
	s_cbranch_execz .LBB83_115
; %bb.112:
	v_add_u32_e32 v46, -8, v0
	s_movk_i32 s18, 0xe0
	s_mov_b64 s[0:1], 0
.LBB83_113:                             ; =>This Inner Loop Header: Depth=1
	scratch_load_dwordx2 v[48:49], off, s17
	v_mov_b32_e32 v47, s18
	ds_read_b64 v[50:51], v47
	v_add_u32_e32 v46, -1, v46
	s_add_i32 s18, s18, 8
	s_add_i32 s17, s17, 8
	v_cmp_eq_u32_e32 vcc, 0, v46
	s_or_b64 s[0:1], vcc, s[0:1]
	s_waitcnt vmcnt(0) lgkmcnt(0)
	v_fmac_f64_e32 v[44:45], v[48:49], v[50:51]
	s_andn2_b64 exec, exec, s[0:1]
	s_cbranch_execnz .LBB83_113
; %bb.114:
	s_or_b64 exec, exec, s[0:1]
.LBB83_115:
	s_or_b64 exec, exec, s[8:9]
	v_mov_b32_e32 v46, 0
	ds_read_b64 v[46:47], v46 offset:56
	s_waitcnt lgkmcnt(0)
	v_mul_f64 v[44:45], v[44:45], v[46:47]
	scratch_store_dwordx2 off, v[44:45], off offset:56
.LBB83_116:
	;; [unrolled: 53-line block ×8, first 2 shown]
	s_or_b64 exec, exec, s[4:5]
	scratch_load_dwordx2 v[44:45], off, off
	v_cmp_ne_u32_e32 vcc, 0, v0
	s_waitcnt vmcnt(0)
	ds_write_b64 v1, v[44:45]
	s_waitcnt lgkmcnt(0)
	; wave barrier
	s_and_saveexec_b64 s[0:1], vcc
	s_cbranch_execz .LBB83_186
; %bb.177:
	s_andn2_b64 vcc, exec, s[6:7]
	s_cbranch_vccnz .LBB83_179
; %bb.178:
	scratch_load_dwordx2 v[44:45], v19, off
	ds_read_b64 v[46:47], v1
	s_waitcnt vmcnt(0) lgkmcnt(0)
	v_mul_f64 v[44:45], v[44:45], v[46:47]
	s_cbranch_execz .LBB83_180
	s_branch .LBB83_181
.LBB83_179:
                                        ; implicit-def: $vgpr44_vgpr45
.LBB83_180:
	ds_read_b64 v[44:45], v1
.LBB83_181:
	s_and_saveexec_b64 s[4:5], s[2:3]
	s_cbranch_execz .LBB83_185
; %bb.182:
	v_add_u32_e32 v46, -1, v0
	s_movk_i32 s8, 0xa8
	s_mov_b64 s[2:3], 0
.LBB83_183:                             ; =>This Inner Loop Header: Depth=1
	scratch_load_dwordx2 v[48:49], off, s10
	v_mov_b32_e32 v47, s8
	ds_read_b64 v[50:51], v47
	v_add_u32_e32 v46, -1, v46
	s_add_i32 s8, s8, 8
	s_add_i32 s10, s10, 8
	v_cmp_eq_u32_e32 vcc, 0, v46
	s_or_b64 s[2:3], vcc, s[2:3]
	s_waitcnt vmcnt(0) lgkmcnt(0)
	v_fmac_f64_e32 v[44:45], v[48:49], v[50:51]
	s_andn2_b64 exec, exec, s[2:3]
	s_cbranch_execnz .LBB83_183
; %bb.184:
	s_or_b64 exec, exec, s[2:3]
.LBB83_185:
	s_or_b64 exec, exec, s[4:5]
	v_mov_b32_e32 v46, 0
	ds_read_b64 v[46:47], v46
	s_waitcnt lgkmcnt(0)
	v_mul_f64 v[44:45], v[44:45], v[46:47]
	scratch_store_dwordx2 off, v[44:45], off
.LBB83_186:
	s_or_b64 exec, exec, s[0:1]
	s_mov_b64 s[0:1], 0
.LBB83_187:
	s_and_b64 vcc, exec, s[0:1]
	s_cbranch_vccz .LBB83_369
; %bb.188:
	scratch_load_dwordx2 v[44:45], off, off offset:8
	v_cmp_eq_u32_e64 s[2:3], 0, v0
	s_waitcnt vmcnt(0)
	ds_write_b64 v1, v[44:45]
	s_waitcnt lgkmcnt(0)
	; wave barrier
	s_and_saveexec_b64 s[0:1], s[2:3]
	s_cbranch_execz .LBB83_194
; %bb.189:
	s_and_b64 vcc, exec, s[6:7]
	s_cbranch_vccz .LBB83_191
; %bb.190:
	scratch_load_dwordx2 v[44:45], v19, off
	ds_read_b64 v[46:47], v1
	s_waitcnt vmcnt(0) lgkmcnt(0)
	v_mul_f64 v[44:45], v[44:45], v[46:47]
	s_cbranch_execz .LBB83_192
	s_branch .LBB83_193
.LBB83_191:
                                        ; implicit-def: $vgpr44_vgpr45
.LBB83_192:
	ds_read_b64 v[44:45], v1
.LBB83_193:
	v_mov_b32_e32 v46, 0
	ds_read_b64 v[46:47], v46 offset:8
	s_waitcnt lgkmcnt(0)
	v_mul_f64 v[44:45], v[44:45], v[46:47]
	scratch_store_dwordx2 off, v[44:45], off offset:8
.LBB83_194:
	s_or_b64 exec, exec, s[0:1]
	scratch_load_dwordx2 v[44:45], off, off offset:16
	v_cndmask_b32_e64 v46, 0, 1, s[6:7]
	v_cmp_gt_u32_e32 vcc, 2, v0
	v_cmp_ne_u32_e64 s[0:1], 1, v46
	s_waitcnt vmcnt(0)
	ds_write_b64 v1, v[44:45]
	s_waitcnt lgkmcnt(0)
	; wave barrier
	s_and_saveexec_b64 s[4:5], vcc
	s_cbranch_execz .LBB83_200
; %bb.195:
	s_and_b64 vcc, exec, s[0:1]
	s_cbranch_vccnz .LBB83_197
; %bb.196:
	scratch_load_dwordx2 v[44:45], v19, off
	ds_read_b64 v[46:47], v1
	s_waitcnt vmcnt(0) lgkmcnt(0)
	v_mul_f64 v[44:45], v[44:45], v[46:47]
	s_cbranch_execz .LBB83_198
	s_branch .LBB83_199
.LBB83_197:
                                        ; implicit-def: $vgpr44_vgpr45
.LBB83_198:
	ds_read_b64 v[44:45], v1
.LBB83_199:
	scratch_load_dwordx2 v[50:51], off, off offset:8
	v_mov_b32_e32 v46, 0
	ds_read2_b64 v[46:49], v46 offset0:2 offset1:21
	s_waitcnt vmcnt(0) lgkmcnt(0)
	v_fma_f64 v[48:49], v[50:51], v[48:49], v[44:45]
	v_cndmask_b32_e64 v45, v45, v49, s[2:3]
	v_cndmask_b32_e64 v44, v44, v48, s[2:3]
	v_mul_f64 v[44:45], v[44:45], v[46:47]
	scratch_store_dwordx2 off, v[44:45], off offset:16
.LBB83_200:
	s_or_b64 exec, exec, s[4:5]
	scratch_load_dwordx2 v[44:45], off, off offset:24
	v_cmp_gt_u32_e32 vcc, 3, v0
	s_waitcnt vmcnt(0)
	ds_write_b64 v1, v[44:45]
	s_waitcnt lgkmcnt(0)
	; wave barrier
	s_and_saveexec_b64 s[4:5], vcc
	s_cbranch_execz .LBB83_208
; %bb.201:
	s_and_b64 vcc, exec, s[0:1]
	s_cbranch_vccnz .LBB83_203
; %bb.202:
	scratch_load_dwordx2 v[44:45], v19, off
	ds_read_b64 v[46:47], v1
	s_waitcnt vmcnt(0) lgkmcnt(0)
	v_mul_f64 v[44:45], v[44:45], v[46:47]
	s_cbranch_execz .LBB83_204
	s_branch .LBB83_205
.LBB83_203:
                                        ; implicit-def: $vgpr44_vgpr45
.LBB83_204:
	ds_read_b64 v[44:45], v1
.LBB83_205:
	v_cmp_ne_u32_e32 vcc, 2, v0
	s_and_saveexec_b64 s[6:7], vcc
	s_cbranch_execz .LBB83_207
; %bb.206:
	scratch_load_dwordx2 v[46:47], v19, off offset:8
	scratch_load_dwordx2 v[48:49], off, off offset:16
	ds_read_b64 v[50:51], v1 offset:8
	v_mov_b32_e32 v52, 0
	ds_read_b64 v[52:53], v52 offset:176
	s_waitcnt vmcnt(1) lgkmcnt(1)
	v_fmac_f64_e32 v[44:45], v[46:47], v[50:51]
	s_waitcnt vmcnt(0) lgkmcnt(0)
	v_fma_f64 v[46:47], v[48:49], v[52:53], v[44:45]
	v_cndmask_b32_e64 v45, v45, v47, s[2:3]
	v_cndmask_b32_e64 v44, v44, v46, s[2:3]
.LBB83_207:
	s_or_b64 exec, exec, s[6:7]
	v_mov_b32_e32 v46, 0
	ds_read_b64 v[46:47], v46 offset:24
	s_waitcnt lgkmcnt(0)
	v_mul_f64 v[44:45], v[44:45], v[46:47]
	scratch_store_dwordx2 off, v[44:45], off offset:24
.LBB83_208:
	s_or_b64 exec, exec, s[4:5]
	scratch_load_dwordx2 v[44:45], off, off offset:32
	v_cmp_gt_u32_e32 vcc, 4, v0
	s_waitcnt vmcnt(0)
	ds_write_b64 v1, v[44:45]
	s_waitcnt lgkmcnt(0)
	; wave barrier
	s_and_saveexec_b64 s[2:3], vcc
	s_cbranch_execz .LBB83_218
; %bb.209:
	s_and_b64 vcc, exec, s[0:1]
	s_cbranch_vccnz .LBB83_211
; %bb.210:
	scratch_load_dwordx2 v[44:45], v19, off
	ds_read_b64 v[46:47], v1
	s_waitcnt vmcnt(0) lgkmcnt(0)
	v_mul_f64 v[44:45], v[44:45], v[46:47]
	s_cbranch_execz .LBB83_212
	s_branch .LBB83_213
.LBB83_211:
                                        ; implicit-def: $vgpr44_vgpr45
.LBB83_212:
	ds_read_b64 v[44:45], v1
.LBB83_213:
	v_cmp_ne_u32_e32 vcc, 3, v0
	s_and_saveexec_b64 s[4:5], vcc
	s_cbranch_execz .LBB83_217
; %bb.214:
	s_mov_b32 s6, 0
	v_add_u32_e32 v46, 0xa8, v18
	v_add3_u32 v47, v18, s6, 8
	s_mov_b64 s[6:7], 0
	v_mov_b32_e32 v48, v0
.LBB83_215:                             ; =>This Inner Loop Header: Depth=1
	scratch_load_dwordx2 v[50:51], v47, off
	ds_read_b64 v[52:53], v46
	v_add_u32_e32 v48, 1, v48
	v_cmp_lt_u32_e32 vcc, 2, v48
	v_add_u32_e32 v46, 8, v46
	v_add_u32_e32 v47, 8, v47
	s_or_b64 s[6:7], vcc, s[6:7]
	s_waitcnt vmcnt(0) lgkmcnt(0)
	v_fmac_f64_e32 v[44:45], v[50:51], v[52:53]
	s_andn2_b64 exec, exec, s[6:7]
	s_cbranch_execnz .LBB83_215
; %bb.216:
	s_or_b64 exec, exec, s[6:7]
.LBB83_217:
	s_or_b64 exec, exec, s[4:5]
	v_mov_b32_e32 v46, 0
	ds_read_b64 v[46:47], v46 offset:32
	s_waitcnt lgkmcnt(0)
	v_mul_f64 v[44:45], v[44:45], v[46:47]
	scratch_store_dwordx2 off, v[44:45], off offset:32
.LBB83_218:
	s_or_b64 exec, exec, s[2:3]
	scratch_load_dwordx2 v[44:45], off, off offset:40
	v_cmp_gt_u32_e32 vcc, 5, v0
	s_waitcnt vmcnt(0)
	ds_write_b64 v1, v[44:45]
	s_waitcnt lgkmcnt(0)
	; wave barrier
	s_and_saveexec_b64 s[2:3], vcc
	s_cbranch_execz .LBB83_228
; %bb.219:
	s_and_b64 vcc, exec, s[0:1]
	s_cbranch_vccnz .LBB83_221
; %bb.220:
	scratch_load_dwordx2 v[44:45], v19, off
	ds_read_b64 v[46:47], v1
	s_waitcnt vmcnt(0) lgkmcnt(0)
	v_mul_f64 v[44:45], v[44:45], v[46:47]
	s_cbranch_execz .LBB83_222
	s_branch .LBB83_223
.LBB83_221:
                                        ; implicit-def: $vgpr44_vgpr45
.LBB83_222:
	ds_read_b64 v[44:45], v1
.LBB83_223:
	v_cmp_ne_u32_e32 vcc, 4, v0
	s_and_saveexec_b64 s[4:5], vcc
	s_cbranch_execz .LBB83_227
; %bb.224:
	s_mov_b32 s6, 0
	v_add_u32_e32 v46, 0xa8, v18
	v_add3_u32 v47, v18, s6, 8
	s_mov_b64 s[6:7], 0
	v_mov_b32_e32 v48, v0
.LBB83_225:                             ; =>This Inner Loop Header: Depth=1
	scratch_load_dwordx2 v[50:51], v47, off
	ds_read_b64 v[52:53], v46
	v_add_u32_e32 v48, 1, v48
	v_cmp_lt_u32_e32 vcc, 3, v48
	v_add_u32_e32 v46, 8, v46
	v_add_u32_e32 v47, 8, v47
	s_or_b64 s[6:7], vcc, s[6:7]
	s_waitcnt vmcnt(0) lgkmcnt(0)
	v_fmac_f64_e32 v[44:45], v[50:51], v[52:53]
	s_andn2_b64 exec, exec, s[6:7]
	s_cbranch_execnz .LBB83_225
; %bb.226:
	s_or_b64 exec, exec, s[6:7]
.LBB83_227:
	s_or_b64 exec, exec, s[4:5]
	v_mov_b32_e32 v46, 0
	ds_read_b64 v[46:47], v46 offset:40
	s_waitcnt lgkmcnt(0)
	v_mul_f64 v[44:45], v[44:45], v[46:47]
	scratch_store_dwordx2 off, v[44:45], off offset:40
.LBB83_228:
	;; [unrolled: 55-line block ×14, first 2 shown]
	s_or_b64 exec, exec, s[2:3]
	scratch_load_dwordx2 v[44:45], off, off offset:144
	v_cmp_gt_u32_e64 s[2:3], 18, v0
	s_waitcnt vmcnt(0)
	ds_write_b64 v1, v[44:45]
	s_waitcnt lgkmcnt(0)
	; wave barrier
	s_and_saveexec_b64 s[4:5], s[2:3]
	s_cbranch_execz .LBB83_358
; %bb.349:
	s_and_b64 vcc, exec, s[0:1]
	s_cbranch_vccnz .LBB83_351
; %bb.350:
	scratch_load_dwordx2 v[44:45], v19, off
	ds_read_b64 v[46:47], v1
	s_waitcnt vmcnt(0) lgkmcnt(0)
	v_mul_f64 v[44:45], v[44:45], v[46:47]
	s_cbranch_execz .LBB83_352
	s_branch .LBB83_353
.LBB83_351:
                                        ; implicit-def: $vgpr44_vgpr45
.LBB83_352:
	ds_read_b64 v[44:45], v1
.LBB83_353:
	v_cmp_ne_u32_e32 vcc, 17, v0
	s_and_saveexec_b64 s[6:7], vcc
	s_cbranch_execz .LBB83_357
; %bb.354:
	s_mov_b32 s8, 0
	v_add_u32_e32 v46, 0xa8, v18
	v_add3_u32 v47, v18, s8, 8
	s_mov_b64 s[8:9], 0
	v_mov_b32_e32 v48, v0
.LBB83_355:                             ; =>This Inner Loop Header: Depth=1
	scratch_load_dwordx2 v[50:51], v47, off
	ds_read_b64 v[52:53], v46
	v_add_u32_e32 v48, 1, v48
	v_cmp_lt_u32_e32 vcc, 16, v48
	v_add_u32_e32 v46, 8, v46
	v_add_u32_e32 v47, 8, v47
	s_or_b64 s[8:9], vcc, s[8:9]
	s_waitcnt vmcnt(0) lgkmcnt(0)
	v_fmac_f64_e32 v[44:45], v[50:51], v[52:53]
	s_andn2_b64 exec, exec, s[8:9]
	s_cbranch_execnz .LBB83_355
; %bb.356:
	s_or_b64 exec, exec, s[8:9]
.LBB83_357:
	s_or_b64 exec, exec, s[6:7]
	v_mov_b32_e32 v46, 0
	ds_read_b64 v[46:47], v46 offset:144
	s_waitcnt lgkmcnt(0)
	v_mul_f64 v[44:45], v[44:45], v[46:47]
	scratch_store_dwordx2 off, v[44:45], off offset:144
.LBB83_358:
	s_or_b64 exec, exec, s[4:5]
	scratch_load_dwordx2 v[44:45], off, off offset:152
	v_cmp_ne_u32_e32 vcc, 19, v0
	s_waitcnt vmcnt(0)
	ds_write_b64 v1, v[44:45]
	s_waitcnt lgkmcnt(0)
	; wave barrier
	s_and_saveexec_b64 s[4:5], vcc
	s_cbranch_execz .LBB83_368
; %bb.359:
	s_and_b64 vcc, exec, s[0:1]
	s_cbranch_vccnz .LBB83_361
; %bb.360:
	scratch_load_dwordx2 v[44:45], v19, off
	ds_read_b64 v[46:47], v1
	s_waitcnt vmcnt(0) lgkmcnt(0)
	v_mul_f64 v[44:45], v[44:45], v[46:47]
	s_cbranch_execz .LBB83_362
	s_branch .LBB83_363
.LBB83_361:
                                        ; implicit-def: $vgpr44_vgpr45
.LBB83_362:
	ds_read_b64 v[44:45], v1
.LBB83_363:
	s_and_saveexec_b64 s[0:1], s[2:3]
	s_cbranch_execz .LBB83_367
; %bb.364:
	s_mov_b32 s2, 0
	v_add_u32_e32 v1, 0xa8, v18
	v_add3_u32 v18, v18, s2, 8
	s_mov_b64 s[2:3], 0
.LBB83_365:                             ; =>This Inner Loop Header: Depth=1
	scratch_load_dwordx2 v[46:47], v18, off
	ds_read_b64 v[48:49], v1
	v_add_u32_e32 v0, 1, v0
	v_cmp_lt_u32_e32 vcc, 17, v0
	v_add_u32_e32 v1, 8, v1
	v_add_u32_e32 v18, 8, v18
	s_or_b64 s[2:3], vcc, s[2:3]
	s_waitcnt vmcnt(0) lgkmcnt(0)
	v_fmac_f64_e32 v[44:45], v[46:47], v[48:49]
	s_andn2_b64 exec, exec, s[2:3]
	s_cbranch_execnz .LBB83_365
; %bb.366:
	s_or_b64 exec, exec, s[2:3]
.LBB83_367:
	s_or_b64 exec, exec, s[0:1]
	v_mov_b32_e32 v0, 0
	ds_read_b64 v[0:1], v0 offset:152
	s_waitcnt lgkmcnt(0)
	v_mul_f64 v[0:1], v[44:45], v[0:1]
	scratch_store_dwordx2 off, v[0:1], off offset:152
.LBB83_368:
	s_or_b64 exec, exec, s[4:5]
.LBB83_369:
	scratch_load_dwordx2 v[0:1], off, off
	s_waitcnt vmcnt(0)
	flat_store_dwordx2 v[2:3], v[0:1]
	scratch_load_dwordx2 v[0:1], off, off offset:8
	s_waitcnt vmcnt(0)
	flat_store_dwordx2 v[4:5], v[0:1]
	scratch_load_dwordx2 v[0:1], off, off offset:16
	;; [unrolled: 3-line block ×19, first 2 shown]
	s_waitcnt vmcnt(0)
	flat_store_dwordx2 v[42:43], v[0:1]
.LBB83_370:
	s_endpgm
	.section	.rodata,"a",@progbits
	.p2align	6, 0x0
	.amdhsa_kernel _ZN9rocsolver6v33100L18trti2_kernel_smallILi20EdPKPdEEv13rocblas_fill_17rocblas_diagonal_T1_iil
		.amdhsa_group_segment_fixed_size 320
		.amdhsa_private_segment_fixed_size 176
		.amdhsa_kernarg_size 32
		.amdhsa_user_sgpr_count 2
		.amdhsa_user_sgpr_dispatch_ptr 0
		.amdhsa_user_sgpr_queue_ptr 0
		.amdhsa_user_sgpr_kernarg_segment_ptr 1
		.amdhsa_user_sgpr_dispatch_id 0
		.amdhsa_user_sgpr_kernarg_preload_length 0
		.amdhsa_user_sgpr_kernarg_preload_offset 0
		.amdhsa_user_sgpr_private_segment_size 0
		.amdhsa_uses_dynamic_stack 0
		.amdhsa_enable_private_segment 1
		.amdhsa_system_sgpr_workgroup_id_x 1
		.amdhsa_system_sgpr_workgroup_id_y 0
		.amdhsa_system_sgpr_workgroup_id_z 0
		.amdhsa_system_sgpr_workgroup_info 0
		.amdhsa_system_vgpr_workitem_id 0
		.amdhsa_next_free_vgpr 54
		.amdhsa_next_free_sgpr 28
		.amdhsa_accum_offset 56
		.amdhsa_reserve_vcc 1
		.amdhsa_float_round_mode_32 0
		.amdhsa_float_round_mode_16_64 0
		.amdhsa_float_denorm_mode_32 3
		.amdhsa_float_denorm_mode_16_64 3
		.amdhsa_dx10_clamp 1
		.amdhsa_ieee_mode 1
		.amdhsa_fp16_overflow 0
		.amdhsa_tg_split 0
		.amdhsa_exception_fp_ieee_invalid_op 0
		.amdhsa_exception_fp_denorm_src 0
		.amdhsa_exception_fp_ieee_div_zero 0
		.amdhsa_exception_fp_ieee_overflow 0
		.amdhsa_exception_fp_ieee_underflow 0
		.amdhsa_exception_fp_ieee_inexact 0
		.amdhsa_exception_int_div_zero 0
	.end_amdhsa_kernel
	.section	.text._ZN9rocsolver6v33100L18trti2_kernel_smallILi20EdPKPdEEv13rocblas_fill_17rocblas_diagonal_T1_iil,"axG",@progbits,_ZN9rocsolver6v33100L18trti2_kernel_smallILi20EdPKPdEEv13rocblas_fill_17rocblas_diagonal_T1_iil,comdat
.Lfunc_end83:
	.size	_ZN9rocsolver6v33100L18trti2_kernel_smallILi20EdPKPdEEv13rocblas_fill_17rocblas_diagonal_T1_iil, .Lfunc_end83-_ZN9rocsolver6v33100L18trti2_kernel_smallILi20EdPKPdEEv13rocblas_fill_17rocblas_diagonal_T1_iil
                                        ; -- End function
	.set _ZN9rocsolver6v33100L18trti2_kernel_smallILi20EdPKPdEEv13rocblas_fill_17rocblas_diagonal_T1_iil.num_vgpr, 54
	.set _ZN9rocsolver6v33100L18trti2_kernel_smallILi20EdPKPdEEv13rocblas_fill_17rocblas_diagonal_T1_iil.num_agpr, 0
	.set _ZN9rocsolver6v33100L18trti2_kernel_smallILi20EdPKPdEEv13rocblas_fill_17rocblas_diagonal_T1_iil.numbered_sgpr, 28
	.set _ZN9rocsolver6v33100L18trti2_kernel_smallILi20EdPKPdEEv13rocblas_fill_17rocblas_diagonal_T1_iil.num_named_barrier, 0
	.set _ZN9rocsolver6v33100L18trti2_kernel_smallILi20EdPKPdEEv13rocblas_fill_17rocblas_diagonal_T1_iil.private_seg_size, 176
	.set _ZN9rocsolver6v33100L18trti2_kernel_smallILi20EdPKPdEEv13rocblas_fill_17rocblas_diagonal_T1_iil.uses_vcc, 1
	.set _ZN9rocsolver6v33100L18trti2_kernel_smallILi20EdPKPdEEv13rocblas_fill_17rocblas_diagonal_T1_iil.uses_flat_scratch, 0
	.set _ZN9rocsolver6v33100L18trti2_kernel_smallILi20EdPKPdEEv13rocblas_fill_17rocblas_diagonal_T1_iil.has_dyn_sized_stack, 0
	.set _ZN9rocsolver6v33100L18trti2_kernel_smallILi20EdPKPdEEv13rocblas_fill_17rocblas_diagonal_T1_iil.has_recursion, 0
	.set _ZN9rocsolver6v33100L18trti2_kernel_smallILi20EdPKPdEEv13rocblas_fill_17rocblas_diagonal_T1_iil.has_indirect_call, 0
	.section	.AMDGPU.csdata,"",@progbits
; Kernel info:
; codeLenInByte = 9432
; TotalNumSgprs: 34
; NumVgprs: 54
; NumAgprs: 0
; TotalNumVgprs: 54
; ScratchSize: 176
; MemoryBound: 0
; FloatMode: 240
; IeeeMode: 1
; LDSByteSize: 320 bytes/workgroup (compile time only)
; SGPRBlocks: 4
; VGPRBlocks: 6
; NumSGPRsForWavesPerEU: 34
; NumVGPRsForWavesPerEU: 54
; AccumOffset: 56
; Occupancy: 8
; WaveLimiterHint : 1
; COMPUTE_PGM_RSRC2:SCRATCH_EN: 1
; COMPUTE_PGM_RSRC2:USER_SGPR: 2
; COMPUTE_PGM_RSRC2:TRAP_HANDLER: 0
; COMPUTE_PGM_RSRC2:TGID_X_EN: 1
; COMPUTE_PGM_RSRC2:TGID_Y_EN: 0
; COMPUTE_PGM_RSRC2:TGID_Z_EN: 0
; COMPUTE_PGM_RSRC2:TIDIG_COMP_CNT: 0
; COMPUTE_PGM_RSRC3_GFX90A:ACCUM_OFFSET: 13
; COMPUTE_PGM_RSRC3_GFX90A:TG_SPLIT: 0
	.section	.text._ZN9rocsolver6v33100L18trti2_kernel_smallILi21EdPKPdEEv13rocblas_fill_17rocblas_diagonal_T1_iil,"axG",@progbits,_ZN9rocsolver6v33100L18trti2_kernel_smallILi21EdPKPdEEv13rocblas_fill_17rocblas_diagonal_T1_iil,comdat
	.globl	_ZN9rocsolver6v33100L18trti2_kernel_smallILi21EdPKPdEEv13rocblas_fill_17rocblas_diagonal_T1_iil ; -- Begin function _ZN9rocsolver6v33100L18trti2_kernel_smallILi21EdPKPdEEv13rocblas_fill_17rocblas_diagonal_T1_iil
	.p2align	8
	.type	_ZN9rocsolver6v33100L18trti2_kernel_smallILi21EdPKPdEEv13rocblas_fill_17rocblas_diagonal_T1_iil,@function
_ZN9rocsolver6v33100L18trti2_kernel_smallILi21EdPKPdEEv13rocblas_fill_17rocblas_diagonal_T1_iil: ; @_ZN9rocsolver6v33100L18trti2_kernel_smallILi21EdPKPdEEv13rocblas_fill_17rocblas_diagonal_T1_iil
; %bb.0:
	v_cmp_gt_u32_e32 vcc, 21, v0
	s_and_saveexec_b64 s[4:5], vcc
	s_cbranch_execz .LBB84_390
; %bb.1:
	s_load_dwordx2 s[8:9], s[0:1], 0x10
	s_load_dwordx4 s[4:7], s[0:1], 0x0
	s_ashr_i32 s3, s2, 31
	s_lshl_b64 s[0:1], s[2:3], 3
	v_lshlrev_b32_e32 v18, 3, v0
	s_waitcnt lgkmcnt(0)
	s_ashr_i32 s3, s8, 31
	s_add_u32 s0, s6, s0
	s_addc_u32 s1, s7, s1
	s_load_dwordx2 s[0:1], s[0:1], 0x0
	s_mov_b32 s2, s8
	s_lshl_b64 s[2:3], s[2:3], 3
	v_mov_b32_e32 v19, 0
	s_waitcnt lgkmcnt(0)
	s_add_u32 s0, s0, s2
	s_addc_u32 s1, s1, s3
	v_lshl_add_u64 v[2:3], s[0:1], 0, v[18:19]
	flat_load_dwordx2 v[6:7], v[2:3]
	s_mov_b32 s2, s9
	s_ashr_i32 s3, s9, 31
	v_lshl_add_u64 v[4:5], s[2:3], 3, v[2:3]
	s_add_i32 s2, s9, s9
	v_add_u32_e32 v10, s2, v0
	v_ashrrev_i32_e32 v11, 31, v10
	s_cmpk_lg_i32 s5, 0x84
	s_cselect_b64 s[6:7], -1, 0
	s_cmpk_eq_i32 s5, 0x84
	s_waitcnt vmcnt(0) lgkmcnt(0)
	scratch_store_dwordx2 off, v[6:7], off
	flat_load_dwordx2 v[8:9], v[4:5]
	v_lshl_add_u64 v[6:7], v[10:11], 3, s[0:1]
	v_add_u32_e32 v10, s9, v10
	v_ashrrev_i32_e32 v11, 31, v10
	v_add_u32_e32 v14, s9, v10
	v_ashrrev_i32_e32 v15, 31, v14
	s_waitcnt vmcnt(0) lgkmcnt(0)
	scratch_store_dwordx2 off, v[8:9], off offset:8
	flat_load_dwordx2 v[12:13], v[6:7]
	v_lshl_add_u64 v[8:9], v[10:11], 3, s[0:1]
	v_lshl_add_u64 v[10:11], v[14:15], 3, s[0:1]
	v_add_u32_e32 v14, s9, v14
	v_ashrrev_i32_e32 v15, 31, v14
	v_add_u32_e32 v20, s9, v14
	v_ashrrev_i32_e32 v21, 31, v20
	s_waitcnt vmcnt(0) lgkmcnt(0)
	scratch_store_dwordx2 off, v[12:13], off offset:16
	flat_load_dwordx2 v[12:13], v[8:9]
	s_waitcnt vmcnt(0) lgkmcnt(0)
	scratch_store_dwordx2 off, v[12:13], off offset:24
	flat_load_dwordx2 v[16:17], v[10:11]
	v_lshl_add_u64 v[12:13], v[14:15], 3, s[0:1]
	v_lshl_add_u64 v[14:15], v[20:21], 3, s[0:1]
	v_add_u32_e32 v20, s9, v20
	v_ashrrev_i32_e32 v21, 31, v20
	v_add_u32_e32 v24, s9, v20
	v_ashrrev_i32_e32 v25, 31, v24
	s_waitcnt vmcnt(0) lgkmcnt(0)
	scratch_store_dwordx2 off, v[16:17], off offset:32
	flat_load_dwordx2 v[16:17], v[12:13]
	;; [unrolled: 12-line block ×7, first 2 shown]
	s_waitcnt vmcnt(0) lgkmcnt(0)
	scratch_store_dwordx2 off, v[38:39], off offset:120
	flat_load_dwordx2 v[42:43], v[36:37]
	v_lshl_add_u64 v[38:39], v[40:41], 3, s[0:1]
	v_lshl_add_u64 v[40:41], v[44:45], 3, s[0:1]
	v_add_u32_e32 v44, s9, v44
	v_ashrrev_i32_e32 v45, 31, v44
	s_waitcnt vmcnt(0) lgkmcnt(0)
	scratch_store_dwordx2 off, v[42:43], off offset:128
	flat_load_dwordx2 v[42:43], v[38:39]
	s_waitcnt vmcnt(0) lgkmcnt(0)
	scratch_store_dwordx2 off, v[42:43], off offset:136
	flat_load_dwordx2 v[46:47], v[40:41]
	v_lshl_add_u64 v[42:43], v[44:45], 3, s[0:1]
	v_add_u32_e32 v44, s9, v44
	v_ashrrev_i32_e32 v45, 31, v44
	v_lshl_add_u64 v[44:45], v[44:45], 3, s[0:1]
	s_waitcnt vmcnt(0) lgkmcnt(0)
	scratch_store_dwordx2 off, v[46:47], off offset:144
	flat_load_dwordx2 v[46:47], v[42:43]
	s_waitcnt vmcnt(0) lgkmcnt(0)
	scratch_store_dwordx2 off, v[46:47], off offset:152
	flat_load_dwordx2 v[46:47], v[44:45]
	s_waitcnt vmcnt(0) lgkmcnt(0)
	scratch_store_dwordx2 off, v[46:47], off offset:160
	v_mov_b64_e32 v[46:47], -1.0
	s_cbranch_scc1 .LBB84_3
; %bb.2:
	scratch_load_dwordx2 v[46:47], v18, off
	s_waitcnt vmcnt(0)
	v_div_scale_f64 v[48:49], s[0:1], v[46:47], v[46:47], 1.0
	v_rcp_f64_e32 v[50:51], v[48:49]
	v_div_scale_f64 v[52:53], vcc, 1.0, v[46:47], 1.0
	v_fma_f64 v[54:55], -v[48:49], v[50:51], 1.0
	v_fmac_f64_e32 v[50:51], v[50:51], v[54:55]
	v_fma_f64 v[54:55], -v[48:49], v[50:51], 1.0
	v_fmac_f64_e32 v[50:51], v[50:51], v[54:55]
	v_mul_f64 v[54:55], v[52:53], v[50:51]
	v_fma_f64 v[48:49], -v[48:49], v[54:55], v[52:53]
	v_div_fmas_f64 v[48:49], v[48:49], v[50:51], v[54:55]
	v_div_fixup_f64 v[46:47], v[48:49], v[46:47], 1.0
	scratch_store_dwordx2 v18, v[46:47], off
	v_xor_b32_e32 v47, 0x80000000, v47
.LBB84_3:
	s_cmpk_eq_i32 s4, 0x79
	v_add_u32_e32 v1, 0xb0, v18
	v_mov_b32_e32 v19, v18
	s_mov_b64 s[0:1], -1
	ds_write_b64 v18, v[46:47]
	s_cbranch_scc1 .LBB84_197
; %bb.4:
	scratch_load_dwordx2 v[46:47], off, off offset:152
	s_movk_i32 s8, 0x48
	s_movk_i32 s9, 0x50
	;; [unrolled: 1-line block ×10, first 2 shown]
	v_cmp_eq_u32_e64 s[0:1], 20, v0
	s_waitcnt vmcnt(0)
	ds_write_b64 v1, v[46:47]
	s_waitcnt lgkmcnt(0)
	; wave barrier
	s_and_saveexec_b64 s[2:3], s[0:1]
	s_cbranch_execz .LBB84_10
; %bb.5:
	s_and_b64 vcc, exec, s[6:7]
	s_cbranch_vccz .LBB84_7
; %bb.6:
	scratch_load_dwordx2 v[46:47], v19, off
	ds_read_b64 v[48:49], v1
	s_waitcnt vmcnt(0) lgkmcnt(0)
	v_mul_f64 v[46:47], v[46:47], v[48:49]
	s_cbranch_execz .LBB84_8
	s_branch .LBB84_9
.LBB84_7:
                                        ; implicit-def: $vgpr46_vgpr47
.LBB84_8:
	ds_read_b64 v[46:47], v1
.LBB84_9:
	v_mov_b32_e32 v48, 0
	ds_read_b64 v[48:49], v48 offset:152
	s_waitcnt lgkmcnt(0)
	v_mul_f64 v[46:47], v[46:47], v[48:49]
	scratch_store_dwordx2 off, v[46:47], off offset:152
.LBB84_10:
	s_or_b64 exec, exec, s[2:3]
	scratch_load_dwordx2 v[46:47], off, off offset:144
	s_or_b32 s10, 0, 8
	s_mov_b32 s11, 16
	s_mov_b32 s12, 24
	;; [unrolled: 1-line block ×9, first 2 shown]
	v_cmp_lt_u32_e64 s[2:3], 18, v0
	s_waitcnt vmcnt(0)
	ds_write_b64 v1, v[46:47]
	s_waitcnt lgkmcnt(0)
	; wave barrier
	s_and_saveexec_b64 s[4:5], s[2:3]
	s_cbranch_execz .LBB84_16
; %bb.11:
	s_andn2_b64 vcc, exec, s[6:7]
	s_cbranch_vccnz .LBB84_13
; %bb.12:
	scratch_load_dwordx2 v[46:47], v19, off
	ds_read_b64 v[48:49], v1
	s_waitcnt vmcnt(0) lgkmcnt(0)
	v_mul_f64 v[46:47], v[46:47], v[48:49]
	s_cbranch_execz .LBB84_14
	s_branch .LBB84_15
.LBB84_13:
                                        ; implicit-def: $vgpr46_vgpr47
.LBB84_14:
	ds_read_b64 v[46:47], v1
.LBB84_15:
	scratch_load_dwordx2 v[52:53], off, off offset:152
	v_mov_b32_e32 v48, 0
	ds_read2_b64 v[48:51], v48 offset0:18 offset1:41
	s_waitcnt vmcnt(0) lgkmcnt(0)
	v_fma_f64 v[50:51], v[52:53], v[50:51], v[46:47]
	v_cndmask_b32_e64 v47, v47, v51, s[0:1]
	v_cndmask_b32_e64 v46, v46, v50, s[0:1]
	v_mul_f64 v[46:47], v[46:47], v[48:49]
	scratch_store_dwordx2 off, v[46:47], off offset:144
.LBB84_16:
	s_or_b64 exec, exec, s[4:5]
	scratch_load_dwordx2 v[46:47], off, off offset:136
	v_cmp_lt_u32_e64 s[0:1], 17, v0
	s_waitcnt vmcnt(0)
	ds_write_b64 v1, v[46:47]
	s_waitcnt lgkmcnt(0)
	; wave barrier
	s_and_saveexec_b64 s[4:5], s[0:1]
	s_cbranch_execz .LBB84_26
; %bb.17:
	s_andn2_b64 vcc, exec, s[6:7]
	s_cbranch_vccnz .LBB84_19
; %bb.18:
	scratch_load_dwordx2 v[46:47], v19, off
	ds_read_b64 v[48:49], v1
	s_waitcnt vmcnt(0) lgkmcnt(0)
	v_mul_f64 v[46:47], v[46:47], v[48:49]
	s_cbranch_execz .LBB84_20
	s_branch .LBB84_21
.LBB84_19:
                                        ; implicit-def: $vgpr46_vgpr47
.LBB84_20:
	ds_read_b64 v[46:47], v1
.LBB84_21:
	s_and_saveexec_b64 s[8:9], s[2:3]
	s_cbranch_execz .LBB84_25
; %bb.22:
	v_subrev_u32_e32 v48, 18, v0
	s_movk_i32 s28, 0x140
	s_mov_b64 s[2:3], 0
.LBB84_23:                              ; =>This Inner Loop Header: Depth=1
	scratch_load_dwordx2 v[50:51], off, s27
	v_mov_b32_e32 v49, s28
	ds_read_b64 v[52:53], v49
	v_add_u32_e32 v48, -1, v48
	s_add_i32 s28, s28, 8
	s_add_i32 s27, s27, 8
	v_cmp_eq_u32_e32 vcc, 0, v48
	s_or_b64 s[2:3], vcc, s[2:3]
	s_waitcnt vmcnt(0) lgkmcnt(0)
	v_fmac_f64_e32 v[46:47], v[50:51], v[52:53]
	s_andn2_b64 exec, exec, s[2:3]
	s_cbranch_execnz .LBB84_23
; %bb.24:
	s_or_b64 exec, exec, s[2:3]
.LBB84_25:
	s_or_b64 exec, exec, s[8:9]
	v_mov_b32_e32 v48, 0
	ds_read_b64 v[48:49], v48 offset:136
	s_waitcnt lgkmcnt(0)
	v_mul_f64 v[46:47], v[46:47], v[48:49]
	scratch_store_dwordx2 off, v[46:47], off offset:136
.LBB84_26:
	s_or_b64 exec, exec, s[4:5]
	scratch_load_dwordx2 v[46:47], off, off offset:128
	v_cmp_lt_u32_e64 s[2:3], 16, v0
	s_waitcnt vmcnt(0)
	ds_write_b64 v1, v[46:47]
	s_waitcnt lgkmcnt(0)
	; wave barrier
	s_and_saveexec_b64 s[4:5], s[2:3]
	s_cbranch_execz .LBB84_36
; %bb.27:
	s_andn2_b64 vcc, exec, s[6:7]
	s_cbranch_vccnz .LBB84_29
; %bb.28:
	scratch_load_dwordx2 v[46:47], v19, off
	ds_read_b64 v[48:49], v1
	s_waitcnt vmcnt(0) lgkmcnt(0)
	v_mul_f64 v[46:47], v[46:47], v[48:49]
	s_cbranch_execz .LBB84_30
	s_branch .LBB84_31
.LBB84_29:
                                        ; implicit-def: $vgpr46_vgpr47
.LBB84_30:
	ds_read_b64 v[46:47], v1
.LBB84_31:
	s_and_saveexec_b64 s[8:9], s[0:1]
	s_cbranch_execz .LBB84_35
; %bb.32:
	v_subrev_u32_e32 v48, 17, v0
	s_movk_i32 s27, 0x138
	s_mov_b64 s[0:1], 0
.LBB84_33:                              ; =>This Inner Loop Header: Depth=1
	scratch_load_dwordx2 v[50:51], off, s26
	v_mov_b32_e32 v49, s27
	ds_read_b64 v[52:53], v49
	v_add_u32_e32 v48, -1, v48
	s_add_i32 s27, s27, 8
	s_add_i32 s26, s26, 8
	v_cmp_eq_u32_e32 vcc, 0, v48
	s_or_b64 s[0:1], vcc, s[0:1]
	s_waitcnt vmcnt(0) lgkmcnt(0)
	v_fmac_f64_e32 v[46:47], v[50:51], v[52:53]
	s_andn2_b64 exec, exec, s[0:1]
	s_cbranch_execnz .LBB84_33
; %bb.34:
	s_or_b64 exec, exec, s[0:1]
.LBB84_35:
	s_or_b64 exec, exec, s[8:9]
	v_mov_b32_e32 v48, 0
	ds_read_b64 v[48:49], v48 offset:128
	s_waitcnt lgkmcnt(0)
	v_mul_f64 v[46:47], v[46:47], v[48:49]
	scratch_store_dwordx2 off, v[46:47], off offset:128
.LBB84_36:
	s_or_b64 exec, exec, s[4:5]
	scratch_load_dwordx2 v[46:47], off, off offset:120
	v_cmp_lt_u32_e64 s[0:1], 15, v0
	s_waitcnt vmcnt(0)
	ds_write_b64 v1, v[46:47]
	s_waitcnt lgkmcnt(0)
	; wave barrier
	s_and_saveexec_b64 s[4:5], s[0:1]
	s_cbranch_execz .LBB84_46
; %bb.37:
	s_andn2_b64 vcc, exec, s[6:7]
	s_cbranch_vccnz .LBB84_39
; %bb.38:
	scratch_load_dwordx2 v[46:47], v19, off
	ds_read_b64 v[48:49], v1
	s_waitcnt vmcnt(0) lgkmcnt(0)
	v_mul_f64 v[46:47], v[46:47], v[48:49]
	s_cbranch_execz .LBB84_40
	s_branch .LBB84_41
.LBB84_39:
                                        ; implicit-def: $vgpr46_vgpr47
.LBB84_40:
	ds_read_b64 v[46:47], v1
.LBB84_41:
	s_and_saveexec_b64 s[8:9], s[2:3]
	s_cbranch_execz .LBB84_45
; %bb.42:
	v_add_u32_e32 v48, -16, v0
	s_movk_i32 s26, 0x130
	s_mov_b64 s[2:3], 0
.LBB84_43:                              ; =>This Inner Loop Header: Depth=1
	scratch_load_dwordx2 v[50:51], off, s25
	v_mov_b32_e32 v49, s26
	ds_read_b64 v[52:53], v49
	v_add_u32_e32 v48, -1, v48
	s_add_i32 s26, s26, 8
	s_add_i32 s25, s25, 8
	v_cmp_eq_u32_e32 vcc, 0, v48
	s_or_b64 s[2:3], vcc, s[2:3]
	s_waitcnt vmcnt(0) lgkmcnt(0)
	v_fmac_f64_e32 v[46:47], v[50:51], v[52:53]
	s_andn2_b64 exec, exec, s[2:3]
	s_cbranch_execnz .LBB84_43
; %bb.44:
	s_or_b64 exec, exec, s[2:3]
.LBB84_45:
	s_or_b64 exec, exec, s[8:9]
	v_mov_b32_e32 v48, 0
	ds_read_b64 v[48:49], v48 offset:120
	s_waitcnt lgkmcnt(0)
	v_mul_f64 v[46:47], v[46:47], v[48:49]
	scratch_store_dwordx2 off, v[46:47], off offset:120
.LBB84_46:
	s_or_b64 exec, exec, s[4:5]
	scratch_load_dwordx2 v[46:47], off, off offset:112
	v_cmp_lt_u32_e64 s[2:3], 14, v0
	s_waitcnt vmcnt(0)
	ds_write_b64 v1, v[46:47]
	s_waitcnt lgkmcnt(0)
	; wave barrier
	s_and_saveexec_b64 s[4:5], s[2:3]
	s_cbranch_execz .LBB84_56
; %bb.47:
	s_andn2_b64 vcc, exec, s[6:7]
	s_cbranch_vccnz .LBB84_49
; %bb.48:
	scratch_load_dwordx2 v[46:47], v19, off
	ds_read_b64 v[48:49], v1
	s_waitcnt vmcnt(0) lgkmcnt(0)
	v_mul_f64 v[46:47], v[46:47], v[48:49]
	s_cbranch_execz .LBB84_50
	s_branch .LBB84_51
.LBB84_49:
                                        ; implicit-def: $vgpr46_vgpr47
.LBB84_50:
	ds_read_b64 v[46:47], v1
.LBB84_51:
	s_and_saveexec_b64 s[8:9], s[0:1]
	s_cbranch_execz .LBB84_55
; %bb.52:
	v_add_u32_e32 v48, -15, v0
	s_movk_i32 s25, 0x128
	s_mov_b64 s[0:1], 0
.LBB84_53:                              ; =>This Inner Loop Header: Depth=1
	scratch_load_dwordx2 v[50:51], off, s24
	v_mov_b32_e32 v49, s25
	ds_read_b64 v[52:53], v49
	v_add_u32_e32 v48, -1, v48
	s_add_i32 s25, s25, 8
	s_add_i32 s24, s24, 8
	v_cmp_eq_u32_e32 vcc, 0, v48
	s_or_b64 s[0:1], vcc, s[0:1]
	s_waitcnt vmcnt(0) lgkmcnt(0)
	v_fmac_f64_e32 v[46:47], v[50:51], v[52:53]
	s_andn2_b64 exec, exec, s[0:1]
	s_cbranch_execnz .LBB84_53
; %bb.54:
	s_or_b64 exec, exec, s[0:1]
.LBB84_55:
	s_or_b64 exec, exec, s[8:9]
	v_mov_b32_e32 v48, 0
	ds_read_b64 v[48:49], v48 offset:112
	s_waitcnt lgkmcnt(0)
	v_mul_f64 v[46:47], v[46:47], v[48:49]
	scratch_store_dwordx2 off, v[46:47], off offset:112
.LBB84_56:
	;; [unrolled: 53-line block ×6, first 2 shown]
	s_or_b64 exec, exec, s[4:5]
	scratch_load_dwordx2 v[46:47], off, off offset:72
	v_cmp_lt_u32_e64 s[0:1], 9, v0
	s_waitcnt vmcnt(0)
	ds_write_b64 v1, v[46:47]
	s_waitcnt lgkmcnt(0)
	; wave barrier
	s_and_saveexec_b64 s[4:5], s[0:1]
	s_cbranch_execz .LBB84_106
; %bb.97:
	s_andn2_b64 vcc, exec, s[6:7]
	s_cbranch_vccnz .LBB84_99
; %bb.98:
	scratch_load_dwordx2 v[46:47], v19, off
	ds_read_b64 v[48:49], v1
	s_waitcnt vmcnt(0) lgkmcnt(0)
	v_mul_f64 v[46:47], v[46:47], v[48:49]
	s_cbranch_execz .LBB84_100
	s_branch .LBB84_101
.LBB84_99:
                                        ; implicit-def: $vgpr46_vgpr47
.LBB84_100:
	ds_read_b64 v[46:47], v1
.LBB84_101:
	s_and_saveexec_b64 s[8:9], s[2:3]
	s_cbranch_execz .LBB84_105
; %bb.102:
	v_add_u32_e32 v48, -10, v0
	s_movk_i32 s20, 0x100
	s_mov_b64 s[2:3], 0
.LBB84_103:                             ; =>This Inner Loop Header: Depth=1
	scratch_load_dwordx2 v[50:51], off, s19
	v_mov_b32_e32 v49, s20
	ds_read_b64 v[52:53], v49
	v_add_u32_e32 v48, -1, v48
	s_add_i32 s20, s20, 8
	s_add_i32 s19, s19, 8
	v_cmp_eq_u32_e32 vcc, 0, v48
	s_or_b64 s[2:3], vcc, s[2:3]
	s_waitcnt vmcnt(0) lgkmcnt(0)
	v_fmac_f64_e32 v[46:47], v[50:51], v[52:53]
	s_andn2_b64 exec, exec, s[2:3]
	s_cbranch_execnz .LBB84_103
; %bb.104:
	s_or_b64 exec, exec, s[2:3]
.LBB84_105:
	s_or_b64 exec, exec, s[8:9]
	v_mov_b32_e32 v48, 0
	ds_read_b64 v[48:49], v48 offset:72
	s_waitcnt lgkmcnt(0)
	v_mul_f64 v[46:47], v[46:47], v[48:49]
	scratch_store_dwordx2 off, v[46:47], off offset:72
.LBB84_106:
	s_or_b64 exec, exec, s[4:5]
	scratch_load_dwordx2 v[46:47], off, off offset:64
	v_cmp_lt_u32_e64 s[2:3], 8, v0
	s_waitcnt vmcnt(0)
	ds_write_b64 v1, v[46:47]
	s_waitcnt lgkmcnt(0)
	; wave barrier
	s_and_saveexec_b64 s[4:5], s[2:3]
	s_cbranch_execz .LBB84_116
; %bb.107:
	s_andn2_b64 vcc, exec, s[6:7]
	s_cbranch_vccnz .LBB84_109
; %bb.108:
	scratch_load_dwordx2 v[46:47], v19, off
	ds_read_b64 v[48:49], v1
	s_waitcnt vmcnt(0) lgkmcnt(0)
	v_mul_f64 v[46:47], v[46:47], v[48:49]
	s_cbranch_execz .LBB84_110
	s_branch .LBB84_111
.LBB84_109:
                                        ; implicit-def: $vgpr46_vgpr47
.LBB84_110:
	ds_read_b64 v[46:47], v1
.LBB84_111:
	s_and_saveexec_b64 s[8:9], s[0:1]
	s_cbranch_execz .LBB84_115
; %bb.112:
	v_add_u32_e32 v48, -9, v0
	s_movk_i32 s19, 0xf8
	s_mov_b64 s[0:1], 0
.LBB84_113:                             ; =>This Inner Loop Header: Depth=1
	scratch_load_dwordx2 v[50:51], off, s18
	v_mov_b32_e32 v49, s19
	ds_read_b64 v[52:53], v49
	v_add_u32_e32 v48, -1, v48
	s_add_i32 s19, s19, 8
	s_add_i32 s18, s18, 8
	v_cmp_eq_u32_e32 vcc, 0, v48
	s_or_b64 s[0:1], vcc, s[0:1]
	s_waitcnt vmcnt(0) lgkmcnt(0)
	v_fmac_f64_e32 v[46:47], v[50:51], v[52:53]
	s_andn2_b64 exec, exec, s[0:1]
	s_cbranch_execnz .LBB84_113
; %bb.114:
	s_or_b64 exec, exec, s[0:1]
.LBB84_115:
	s_or_b64 exec, exec, s[8:9]
	v_mov_b32_e32 v48, 0
	ds_read_b64 v[48:49], v48 offset:64
	s_waitcnt lgkmcnt(0)
	v_mul_f64 v[46:47], v[46:47], v[48:49]
	scratch_store_dwordx2 off, v[46:47], off offset:64
.LBB84_116:
	;; [unrolled: 53-line block ×9, first 2 shown]
	s_or_b64 exec, exec, s[4:5]
	scratch_load_dwordx2 v[46:47], off, off
	v_cmp_ne_u32_e32 vcc, 0, v0
	s_waitcnt vmcnt(0)
	ds_write_b64 v1, v[46:47]
	s_waitcnt lgkmcnt(0)
	; wave barrier
	s_and_saveexec_b64 s[2:3], vcc
	s_cbranch_execz .LBB84_196
; %bb.187:
	s_andn2_b64 vcc, exec, s[6:7]
	s_cbranch_vccnz .LBB84_189
; %bb.188:
	scratch_load_dwordx2 v[46:47], v19, off
	ds_read_b64 v[48:49], v1
	s_waitcnt vmcnt(0) lgkmcnt(0)
	v_mul_f64 v[46:47], v[46:47], v[48:49]
	s_cbranch_execz .LBB84_190
	s_branch .LBB84_191
.LBB84_189:
                                        ; implicit-def: $vgpr46_vgpr47
.LBB84_190:
	ds_read_b64 v[46:47], v1
.LBB84_191:
	s_and_saveexec_b64 s[4:5], s[0:1]
	s_cbranch_execz .LBB84_195
; %bb.192:
	v_add_u32_e32 v48, -1, v0
	s_movk_i32 s8, 0xb8
	s_mov_b64 s[0:1], 0
.LBB84_193:                             ; =>This Inner Loop Header: Depth=1
	scratch_load_dwordx2 v[50:51], off, s10
	v_mov_b32_e32 v49, s8
	ds_read_b64 v[52:53], v49
	v_add_u32_e32 v48, -1, v48
	s_add_i32 s8, s8, 8
	s_add_i32 s10, s10, 8
	v_cmp_eq_u32_e32 vcc, 0, v48
	s_or_b64 s[0:1], vcc, s[0:1]
	s_waitcnt vmcnt(0) lgkmcnt(0)
	v_fmac_f64_e32 v[46:47], v[50:51], v[52:53]
	s_andn2_b64 exec, exec, s[0:1]
	s_cbranch_execnz .LBB84_193
; %bb.194:
	s_or_b64 exec, exec, s[0:1]
.LBB84_195:
	s_or_b64 exec, exec, s[4:5]
	v_mov_b32_e32 v48, 0
	ds_read_b64 v[48:49], v48
	s_waitcnt lgkmcnt(0)
	v_mul_f64 v[46:47], v[46:47], v[48:49]
	scratch_store_dwordx2 off, v[46:47], off
.LBB84_196:
	s_or_b64 exec, exec, s[2:3]
	s_mov_b64 s[0:1], 0
.LBB84_197:
	s_and_b64 vcc, exec, s[0:1]
	s_cbranch_vccz .LBB84_389
; %bb.198:
	scratch_load_dwordx2 v[46:47], off, off offset:8
	v_cmp_eq_u32_e64 s[2:3], 0, v0
	s_waitcnt vmcnt(0)
	ds_write_b64 v1, v[46:47]
	s_waitcnt lgkmcnt(0)
	; wave barrier
	s_and_saveexec_b64 s[0:1], s[2:3]
	s_cbranch_execz .LBB84_204
; %bb.199:
	s_and_b64 vcc, exec, s[6:7]
	s_cbranch_vccz .LBB84_201
; %bb.200:
	scratch_load_dwordx2 v[46:47], v19, off
	ds_read_b64 v[48:49], v1
	s_waitcnt vmcnt(0) lgkmcnt(0)
	v_mul_f64 v[46:47], v[46:47], v[48:49]
	s_cbranch_execz .LBB84_202
	s_branch .LBB84_203
.LBB84_201:
                                        ; implicit-def: $vgpr46_vgpr47
.LBB84_202:
	ds_read_b64 v[46:47], v1
.LBB84_203:
	v_mov_b32_e32 v48, 0
	ds_read_b64 v[48:49], v48 offset:8
	s_waitcnt lgkmcnt(0)
	v_mul_f64 v[46:47], v[46:47], v[48:49]
	scratch_store_dwordx2 off, v[46:47], off offset:8
.LBB84_204:
	s_or_b64 exec, exec, s[0:1]
	scratch_load_dwordx2 v[46:47], off, off offset:16
	v_cndmask_b32_e64 v48, 0, 1, s[6:7]
	v_cmp_gt_u32_e32 vcc, 2, v0
	v_cmp_ne_u32_e64 s[0:1], 1, v48
	s_waitcnt vmcnt(0)
	ds_write_b64 v1, v[46:47]
	s_waitcnt lgkmcnt(0)
	; wave barrier
	s_and_saveexec_b64 s[4:5], vcc
	s_cbranch_execz .LBB84_210
; %bb.205:
	s_and_b64 vcc, exec, s[0:1]
	s_cbranch_vccnz .LBB84_207
; %bb.206:
	scratch_load_dwordx2 v[46:47], v19, off
	ds_read_b64 v[48:49], v1
	s_waitcnt vmcnt(0) lgkmcnt(0)
	v_mul_f64 v[46:47], v[46:47], v[48:49]
	s_cbranch_execz .LBB84_208
	s_branch .LBB84_209
.LBB84_207:
                                        ; implicit-def: $vgpr46_vgpr47
.LBB84_208:
	ds_read_b64 v[46:47], v1
.LBB84_209:
	scratch_load_dwordx2 v[52:53], off, off offset:8
	v_mov_b32_e32 v48, 0
	ds_read2_b64 v[48:51], v48 offset0:2 offset1:23
	s_waitcnt vmcnt(0) lgkmcnt(0)
	v_fma_f64 v[50:51], v[52:53], v[50:51], v[46:47]
	v_cndmask_b32_e64 v47, v47, v51, s[2:3]
	v_cndmask_b32_e64 v46, v46, v50, s[2:3]
	v_mul_f64 v[46:47], v[46:47], v[48:49]
	scratch_store_dwordx2 off, v[46:47], off offset:16
.LBB84_210:
	s_or_b64 exec, exec, s[4:5]
	scratch_load_dwordx2 v[46:47], off, off offset:24
	v_cmp_gt_u32_e32 vcc, 3, v0
	s_waitcnt vmcnt(0)
	ds_write_b64 v1, v[46:47]
	s_waitcnt lgkmcnt(0)
	; wave barrier
	s_and_saveexec_b64 s[4:5], vcc
	s_cbranch_execz .LBB84_218
; %bb.211:
	s_and_b64 vcc, exec, s[0:1]
	s_cbranch_vccnz .LBB84_213
; %bb.212:
	scratch_load_dwordx2 v[46:47], v19, off
	ds_read_b64 v[48:49], v1
	s_waitcnt vmcnt(0) lgkmcnt(0)
	v_mul_f64 v[46:47], v[46:47], v[48:49]
	s_cbranch_execz .LBB84_214
	s_branch .LBB84_215
.LBB84_213:
                                        ; implicit-def: $vgpr46_vgpr47
.LBB84_214:
	ds_read_b64 v[46:47], v1
.LBB84_215:
	v_cmp_ne_u32_e32 vcc, 2, v0
	s_and_saveexec_b64 s[6:7], vcc
	s_cbranch_execz .LBB84_217
; %bb.216:
	scratch_load_dwordx2 v[48:49], v19, off offset:8
	scratch_load_dwordx2 v[50:51], off, off offset:16
	ds_read_b64 v[52:53], v1 offset:8
	v_mov_b32_e32 v54, 0
	ds_read_b64 v[54:55], v54 offset:192
	s_waitcnt vmcnt(1) lgkmcnt(1)
	v_fmac_f64_e32 v[46:47], v[48:49], v[52:53]
	s_waitcnt vmcnt(0) lgkmcnt(0)
	v_fma_f64 v[48:49], v[50:51], v[54:55], v[46:47]
	v_cndmask_b32_e64 v47, v47, v49, s[2:3]
	v_cndmask_b32_e64 v46, v46, v48, s[2:3]
.LBB84_217:
	s_or_b64 exec, exec, s[6:7]
	v_mov_b32_e32 v48, 0
	ds_read_b64 v[48:49], v48 offset:24
	s_waitcnt lgkmcnt(0)
	v_mul_f64 v[46:47], v[46:47], v[48:49]
	scratch_store_dwordx2 off, v[46:47], off offset:24
.LBB84_218:
	s_or_b64 exec, exec, s[4:5]
	scratch_load_dwordx2 v[46:47], off, off offset:32
	v_cmp_gt_u32_e32 vcc, 4, v0
	s_waitcnt vmcnt(0)
	ds_write_b64 v1, v[46:47]
	s_waitcnt lgkmcnt(0)
	; wave barrier
	s_and_saveexec_b64 s[2:3], vcc
	s_cbranch_execz .LBB84_228
; %bb.219:
	s_and_b64 vcc, exec, s[0:1]
	s_cbranch_vccnz .LBB84_221
; %bb.220:
	scratch_load_dwordx2 v[46:47], v19, off
	ds_read_b64 v[48:49], v1
	s_waitcnt vmcnt(0) lgkmcnt(0)
	v_mul_f64 v[46:47], v[46:47], v[48:49]
	s_cbranch_execz .LBB84_222
	s_branch .LBB84_223
.LBB84_221:
                                        ; implicit-def: $vgpr46_vgpr47
.LBB84_222:
	ds_read_b64 v[46:47], v1
.LBB84_223:
	v_cmp_ne_u32_e32 vcc, 3, v0
	s_and_saveexec_b64 s[4:5], vcc
	s_cbranch_execz .LBB84_227
; %bb.224:
	s_mov_b32 s6, 0
	v_add_u32_e32 v48, 0xb8, v18
	v_add3_u32 v49, v18, s6, 8
	s_mov_b64 s[6:7], 0
	v_mov_b32_e32 v50, v0
.LBB84_225:                             ; =>This Inner Loop Header: Depth=1
	scratch_load_dwordx2 v[52:53], v49, off
	ds_read_b64 v[54:55], v48
	v_add_u32_e32 v50, 1, v50
	v_cmp_lt_u32_e32 vcc, 2, v50
	v_add_u32_e32 v48, 8, v48
	v_add_u32_e32 v49, 8, v49
	s_or_b64 s[6:7], vcc, s[6:7]
	s_waitcnt vmcnt(0) lgkmcnt(0)
	v_fmac_f64_e32 v[46:47], v[52:53], v[54:55]
	s_andn2_b64 exec, exec, s[6:7]
	s_cbranch_execnz .LBB84_225
; %bb.226:
	s_or_b64 exec, exec, s[6:7]
.LBB84_227:
	s_or_b64 exec, exec, s[4:5]
	v_mov_b32_e32 v48, 0
	ds_read_b64 v[48:49], v48 offset:32
	s_waitcnt lgkmcnt(0)
	v_mul_f64 v[46:47], v[46:47], v[48:49]
	scratch_store_dwordx2 off, v[46:47], off offset:32
.LBB84_228:
	s_or_b64 exec, exec, s[2:3]
	scratch_load_dwordx2 v[46:47], off, off offset:40
	v_cmp_gt_u32_e32 vcc, 5, v0
	s_waitcnt vmcnt(0)
	ds_write_b64 v1, v[46:47]
	s_waitcnt lgkmcnt(0)
	; wave barrier
	s_and_saveexec_b64 s[2:3], vcc
	s_cbranch_execz .LBB84_238
; %bb.229:
	s_and_b64 vcc, exec, s[0:1]
	s_cbranch_vccnz .LBB84_231
; %bb.230:
	scratch_load_dwordx2 v[46:47], v19, off
	ds_read_b64 v[48:49], v1
	s_waitcnt vmcnt(0) lgkmcnt(0)
	v_mul_f64 v[46:47], v[46:47], v[48:49]
	s_cbranch_execz .LBB84_232
	s_branch .LBB84_233
.LBB84_231:
                                        ; implicit-def: $vgpr46_vgpr47
.LBB84_232:
	ds_read_b64 v[46:47], v1
.LBB84_233:
	v_cmp_ne_u32_e32 vcc, 4, v0
	s_and_saveexec_b64 s[4:5], vcc
	s_cbranch_execz .LBB84_237
; %bb.234:
	s_mov_b32 s6, 0
	v_add_u32_e32 v48, 0xb8, v18
	v_add3_u32 v49, v18, s6, 8
	s_mov_b64 s[6:7], 0
	v_mov_b32_e32 v50, v0
.LBB84_235:                             ; =>This Inner Loop Header: Depth=1
	scratch_load_dwordx2 v[52:53], v49, off
	ds_read_b64 v[54:55], v48
	v_add_u32_e32 v50, 1, v50
	v_cmp_lt_u32_e32 vcc, 3, v50
	v_add_u32_e32 v48, 8, v48
	v_add_u32_e32 v49, 8, v49
	s_or_b64 s[6:7], vcc, s[6:7]
	s_waitcnt vmcnt(0) lgkmcnt(0)
	v_fmac_f64_e32 v[46:47], v[52:53], v[54:55]
	s_andn2_b64 exec, exec, s[6:7]
	s_cbranch_execnz .LBB84_235
; %bb.236:
	s_or_b64 exec, exec, s[6:7]
.LBB84_237:
	s_or_b64 exec, exec, s[4:5]
	v_mov_b32_e32 v48, 0
	ds_read_b64 v[48:49], v48 offset:40
	s_waitcnt lgkmcnt(0)
	v_mul_f64 v[46:47], v[46:47], v[48:49]
	scratch_store_dwordx2 off, v[46:47], off offset:40
.LBB84_238:
	;; [unrolled: 55-line block ×15, first 2 shown]
	s_or_b64 exec, exec, s[2:3]
	scratch_load_dwordx2 v[46:47], off, off offset:152
	v_cmp_gt_u32_e64 s[2:3], 19, v0
	s_waitcnt vmcnt(0)
	ds_write_b64 v1, v[46:47]
	s_waitcnt lgkmcnt(0)
	; wave barrier
	s_and_saveexec_b64 s[4:5], s[2:3]
	s_cbranch_execz .LBB84_378
; %bb.369:
	s_and_b64 vcc, exec, s[0:1]
	s_cbranch_vccnz .LBB84_371
; %bb.370:
	scratch_load_dwordx2 v[46:47], v19, off
	ds_read_b64 v[48:49], v1
	s_waitcnt vmcnt(0) lgkmcnt(0)
	v_mul_f64 v[46:47], v[46:47], v[48:49]
	s_cbranch_execz .LBB84_372
	s_branch .LBB84_373
.LBB84_371:
                                        ; implicit-def: $vgpr46_vgpr47
.LBB84_372:
	ds_read_b64 v[46:47], v1
.LBB84_373:
	v_cmp_ne_u32_e32 vcc, 18, v0
	s_and_saveexec_b64 s[6:7], vcc
	s_cbranch_execz .LBB84_377
; %bb.374:
	s_mov_b32 s8, 0
	v_add_u32_e32 v48, 0xb8, v18
	v_add3_u32 v49, v18, s8, 8
	s_mov_b64 s[8:9], 0
	v_mov_b32_e32 v50, v0
.LBB84_375:                             ; =>This Inner Loop Header: Depth=1
	scratch_load_dwordx2 v[52:53], v49, off
	ds_read_b64 v[54:55], v48
	v_add_u32_e32 v50, 1, v50
	v_cmp_lt_u32_e32 vcc, 17, v50
	v_add_u32_e32 v48, 8, v48
	v_add_u32_e32 v49, 8, v49
	s_or_b64 s[8:9], vcc, s[8:9]
	s_waitcnt vmcnt(0) lgkmcnt(0)
	v_fmac_f64_e32 v[46:47], v[52:53], v[54:55]
	s_andn2_b64 exec, exec, s[8:9]
	s_cbranch_execnz .LBB84_375
; %bb.376:
	s_or_b64 exec, exec, s[8:9]
.LBB84_377:
	s_or_b64 exec, exec, s[6:7]
	v_mov_b32_e32 v48, 0
	ds_read_b64 v[48:49], v48 offset:152
	s_waitcnt lgkmcnt(0)
	v_mul_f64 v[46:47], v[46:47], v[48:49]
	scratch_store_dwordx2 off, v[46:47], off offset:152
.LBB84_378:
	s_or_b64 exec, exec, s[4:5]
	scratch_load_dwordx2 v[46:47], off, off offset:160
	v_cmp_ne_u32_e32 vcc, 20, v0
	s_waitcnt vmcnt(0)
	ds_write_b64 v1, v[46:47]
	s_waitcnt lgkmcnt(0)
	; wave barrier
	s_and_saveexec_b64 s[4:5], vcc
	s_cbranch_execz .LBB84_388
; %bb.379:
	s_and_b64 vcc, exec, s[0:1]
	s_cbranch_vccnz .LBB84_381
; %bb.380:
	scratch_load_dwordx2 v[46:47], v19, off
	ds_read_b64 v[48:49], v1
	s_waitcnt vmcnt(0) lgkmcnt(0)
	v_mul_f64 v[46:47], v[46:47], v[48:49]
	s_cbranch_execz .LBB84_382
	s_branch .LBB84_383
.LBB84_381:
                                        ; implicit-def: $vgpr46_vgpr47
.LBB84_382:
	ds_read_b64 v[46:47], v1
.LBB84_383:
	s_and_saveexec_b64 s[0:1], s[2:3]
	s_cbranch_execz .LBB84_387
; %bb.384:
	s_mov_b32 s2, 0
	v_add_u32_e32 v1, 0xb8, v18
	v_add3_u32 v18, v18, s2, 8
	s_mov_b64 s[2:3], 0
.LBB84_385:                             ; =>This Inner Loop Header: Depth=1
	scratch_load_dwordx2 v[48:49], v18, off
	ds_read_b64 v[50:51], v1
	v_add_u32_e32 v0, 1, v0
	v_cmp_lt_u32_e32 vcc, 18, v0
	v_add_u32_e32 v1, 8, v1
	v_add_u32_e32 v18, 8, v18
	s_or_b64 s[2:3], vcc, s[2:3]
	s_waitcnt vmcnt(0) lgkmcnt(0)
	v_fmac_f64_e32 v[46:47], v[48:49], v[50:51]
	s_andn2_b64 exec, exec, s[2:3]
	s_cbranch_execnz .LBB84_385
; %bb.386:
	s_or_b64 exec, exec, s[2:3]
.LBB84_387:
	s_or_b64 exec, exec, s[0:1]
	v_mov_b32_e32 v0, 0
	ds_read_b64 v[0:1], v0 offset:160
	s_waitcnt lgkmcnt(0)
	v_mul_f64 v[0:1], v[46:47], v[0:1]
	scratch_store_dwordx2 off, v[0:1], off offset:160
.LBB84_388:
	s_or_b64 exec, exec, s[4:5]
.LBB84_389:
	scratch_load_dwordx2 v[0:1], off, off
	s_waitcnt vmcnt(0)
	flat_store_dwordx2 v[2:3], v[0:1]
	scratch_load_dwordx2 v[0:1], off, off offset:8
	s_waitcnt vmcnt(0)
	flat_store_dwordx2 v[4:5], v[0:1]
	scratch_load_dwordx2 v[0:1], off, off offset:16
	;; [unrolled: 3-line block ×20, first 2 shown]
	s_waitcnt vmcnt(0)
	flat_store_dwordx2 v[44:45], v[0:1]
.LBB84_390:
	s_endpgm
	.section	.rodata,"a",@progbits
	.p2align	6, 0x0
	.amdhsa_kernel _ZN9rocsolver6v33100L18trti2_kernel_smallILi21EdPKPdEEv13rocblas_fill_17rocblas_diagonal_T1_iil
		.amdhsa_group_segment_fixed_size 344
		.amdhsa_private_segment_fixed_size 176
		.amdhsa_kernarg_size 32
		.amdhsa_user_sgpr_count 2
		.amdhsa_user_sgpr_dispatch_ptr 0
		.amdhsa_user_sgpr_queue_ptr 0
		.amdhsa_user_sgpr_kernarg_segment_ptr 1
		.amdhsa_user_sgpr_dispatch_id 0
		.amdhsa_user_sgpr_kernarg_preload_length 0
		.amdhsa_user_sgpr_kernarg_preload_offset 0
		.amdhsa_user_sgpr_private_segment_size 0
		.amdhsa_uses_dynamic_stack 0
		.amdhsa_enable_private_segment 1
		.amdhsa_system_sgpr_workgroup_id_x 1
		.amdhsa_system_sgpr_workgroup_id_y 0
		.amdhsa_system_sgpr_workgroup_id_z 0
		.amdhsa_system_sgpr_workgroup_info 0
		.amdhsa_system_vgpr_workitem_id 0
		.amdhsa_next_free_vgpr 56
		.amdhsa_next_free_sgpr 29
		.amdhsa_accum_offset 56
		.amdhsa_reserve_vcc 1
		.amdhsa_float_round_mode_32 0
		.amdhsa_float_round_mode_16_64 0
		.amdhsa_float_denorm_mode_32 3
		.amdhsa_float_denorm_mode_16_64 3
		.amdhsa_dx10_clamp 1
		.amdhsa_ieee_mode 1
		.amdhsa_fp16_overflow 0
		.amdhsa_tg_split 0
		.amdhsa_exception_fp_ieee_invalid_op 0
		.amdhsa_exception_fp_denorm_src 0
		.amdhsa_exception_fp_ieee_div_zero 0
		.amdhsa_exception_fp_ieee_overflow 0
		.amdhsa_exception_fp_ieee_underflow 0
		.amdhsa_exception_fp_ieee_inexact 0
		.amdhsa_exception_int_div_zero 0
	.end_amdhsa_kernel
	.section	.text._ZN9rocsolver6v33100L18trti2_kernel_smallILi21EdPKPdEEv13rocblas_fill_17rocblas_diagonal_T1_iil,"axG",@progbits,_ZN9rocsolver6v33100L18trti2_kernel_smallILi21EdPKPdEEv13rocblas_fill_17rocblas_diagonal_T1_iil,comdat
.Lfunc_end84:
	.size	_ZN9rocsolver6v33100L18trti2_kernel_smallILi21EdPKPdEEv13rocblas_fill_17rocblas_diagonal_T1_iil, .Lfunc_end84-_ZN9rocsolver6v33100L18trti2_kernel_smallILi21EdPKPdEEv13rocblas_fill_17rocblas_diagonal_T1_iil
                                        ; -- End function
	.set _ZN9rocsolver6v33100L18trti2_kernel_smallILi21EdPKPdEEv13rocblas_fill_17rocblas_diagonal_T1_iil.num_vgpr, 56
	.set _ZN9rocsolver6v33100L18trti2_kernel_smallILi21EdPKPdEEv13rocblas_fill_17rocblas_diagonal_T1_iil.num_agpr, 0
	.set _ZN9rocsolver6v33100L18trti2_kernel_smallILi21EdPKPdEEv13rocblas_fill_17rocblas_diagonal_T1_iil.numbered_sgpr, 29
	.set _ZN9rocsolver6v33100L18trti2_kernel_smallILi21EdPKPdEEv13rocblas_fill_17rocblas_diagonal_T1_iil.num_named_barrier, 0
	.set _ZN9rocsolver6v33100L18trti2_kernel_smallILi21EdPKPdEEv13rocblas_fill_17rocblas_diagonal_T1_iil.private_seg_size, 176
	.set _ZN9rocsolver6v33100L18trti2_kernel_smallILi21EdPKPdEEv13rocblas_fill_17rocblas_diagonal_T1_iil.uses_vcc, 1
	.set _ZN9rocsolver6v33100L18trti2_kernel_smallILi21EdPKPdEEv13rocblas_fill_17rocblas_diagonal_T1_iil.uses_flat_scratch, 0
	.set _ZN9rocsolver6v33100L18trti2_kernel_smallILi21EdPKPdEEv13rocblas_fill_17rocblas_diagonal_T1_iil.has_dyn_sized_stack, 0
	.set _ZN9rocsolver6v33100L18trti2_kernel_smallILi21EdPKPdEEv13rocblas_fill_17rocblas_diagonal_T1_iil.has_recursion, 0
	.set _ZN9rocsolver6v33100L18trti2_kernel_smallILi21EdPKPdEEv13rocblas_fill_17rocblas_diagonal_T1_iil.has_indirect_call, 0
	.section	.AMDGPU.csdata,"",@progbits
; Kernel info:
; codeLenInByte = 9928
; TotalNumSgprs: 35
; NumVgprs: 56
; NumAgprs: 0
; TotalNumVgprs: 56
; ScratchSize: 176
; MemoryBound: 0
; FloatMode: 240
; IeeeMode: 1
; LDSByteSize: 344 bytes/workgroup (compile time only)
; SGPRBlocks: 4
; VGPRBlocks: 6
; NumSGPRsForWavesPerEU: 35
; NumVGPRsForWavesPerEU: 56
; AccumOffset: 56
; Occupancy: 8
; WaveLimiterHint : 1
; COMPUTE_PGM_RSRC2:SCRATCH_EN: 1
; COMPUTE_PGM_RSRC2:USER_SGPR: 2
; COMPUTE_PGM_RSRC2:TRAP_HANDLER: 0
; COMPUTE_PGM_RSRC2:TGID_X_EN: 1
; COMPUTE_PGM_RSRC2:TGID_Y_EN: 0
; COMPUTE_PGM_RSRC2:TGID_Z_EN: 0
; COMPUTE_PGM_RSRC2:TIDIG_COMP_CNT: 0
; COMPUTE_PGM_RSRC3_GFX90A:ACCUM_OFFSET: 13
; COMPUTE_PGM_RSRC3_GFX90A:TG_SPLIT: 0
	.section	.text._ZN9rocsolver6v33100L18trti2_kernel_smallILi22EdPKPdEEv13rocblas_fill_17rocblas_diagonal_T1_iil,"axG",@progbits,_ZN9rocsolver6v33100L18trti2_kernel_smallILi22EdPKPdEEv13rocblas_fill_17rocblas_diagonal_T1_iil,comdat
	.globl	_ZN9rocsolver6v33100L18trti2_kernel_smallILi22EdPKPdEEv13rocblas_fill_17rocblas_diagonal_T1_iil ; -- Begin function _ZN9rocsolver6v33100L18trti2_kernel_smallILi22EdPKPdEEv13rocblas_fill_17rocblas_diagonal_T1_iil
	.p2align	8
	.type	_ZN9rocsolver6v33100L18trti2_kernel_smallILi22EdPKPdEEv13rocblas_fill_17rocblas_diagonal_T1_iil,@function
_ZN9rocsolver6v33100L18trti2_kernel_smallILi22EdPKPdEEv13rocblas_fill_17rocblas_diagonal_T1_iil: ; @_ZN9rocsolver6v33100L18trti2_kernel_smallILi22EdPKPdEEv13rocblas_fill_17rocblas_diagonal_T1_iil
; %bb.0:
	v_cmp_gt_u32_e32 vcc, 22, v0
	s_and_saveexec_b64 s[4:5], vcc
	s_cbranch_execz .LBB85_410
; %bb.1:
	s_load_dwordx2 s[8:9], s[0:1], 0x10
	s_load_dwordx4 s[4:7], s[0:1], 0x0
	s_ashr_i32 s3, s2, 31
	s_lshl_b64 s[0:1], s[2:3], 3
	v_lshlrev_b32_e32 v18, 3, v0
	s_waitcnt lgkmcnt(0)
	s_ashr_i32 s3, s8, 31
	s_add_u32 s0, s6, s0
	s_addc_u32 s1, s7, s1
	s_load_dwordx2 s[0:1], s[0:1], 0x0
	s_mov_b32 s2, s8
	s_lshl_b64 s[2:3], s[2:3], 3
	v_mov_b32_e32 v19, 0
	s_waitcnt lgkmcnt(0)
	s_add_u32 s0, s0, s2
	s_addc_u32 s1, s1, s3
	v_lshl_add_u64 v[2:3], s[0:1], 0, v[18:19]
	flat_load_dwordx2 v[6:7], v[2:3]
	s_mov_b32 s2, s9
	s_ashr_i32 s3, s9, 31
	v_lshl_add_u64 v[4:5], s[2:3], 3, v[2:3]
	s_add_i32 s2, s9, s9
	v_add_u32_e32 v10, s2, v0
	v_ashrrev_i32_e32 v11, 31, v10
	s_cmpk_lg_i32 s5, 0x84
	s_cselect_b64 s[6:7], -1, 0
	s_cmpk_eq_i32 s5, 0x84
	s_waitcnt vmcnt(0) lgkmcnt(0)
	scratch_store_dwordx2 off, v[6:7], off
	flat_load_dwordx2 v[8:9], v[4:5]
	v_lshl_add_u64 v[6:7], v[10:11], 3, s[0:1]
	v_add_u32_e32 v10, s9, v10
	v_ashrrev_i32_e32 v11, 31, v10
	v_add_u32_e32 v14, s9, v10
	v_ashrrev_i32_e32 v15, 31, v14
	s_waitcnt vmcnt(0) lgkmcnt(0)
	scratch_store_dwordx2 off, v[8:9], off offset:8
	flat_load_dwordx2 v[12:13], v[6:7]
	v_lshl_add_u64 v[8:9], v[10:11], 3, s[0:1]
	v_lshl_add_u64 v[10:11], v[14:15], 3, s[0:1]
	v_add_u32_e32 v14, s9, v14
	v_ashrrev_i32_e32 v15, 31, v14
	v_add_u32_e32 v20, s9, v14
	v_ashrrev_i32_e32 v21, 31, v20
	s_waitcnt vmcnt(0) lgkmcnt(0)
	scratch_store_dwordx2 off, v[12:13], off offset:16
	flat_load_dwordx2 v[12:13], v[8:9]
	s_waitcnt vmcnt(0) lgkmcnt(0)
	scratch_store_dwordx2 off, v[12:13], off offset:24
	flat_load_dwordx2 v[16:17], v[10:11]
	v_lshl_add_u64 v[12:13], v[14:15], 3, s[0:1]
	v_lshl_add_u64 v[14:15], v[20:21], 3, s[0:1]
	v_add_u32_e32 v20, s9, v20
	v_ashrrev_i32_e32 v21, 31, v20
	v_add_u32_e32 v24, s9, v20
	v_ashrrev_i32_e32 v25, 31, v24
	s_waitcnt vmcnt(0) lgkmcnt(0)
	scratch_store_dwordx2 off, v[16:17], off offset:32
	flat_load_dwordx2 v[16:17], v[12:13]
	;; [unrolled: 12-line block ×8, first 2 shown]
	s_waitcnt vmcnt(0) lgkmcnt(0)
	scratch_store_dwordx2 off, v[42:43], off offset:136
	flat_load_dwordx2 v[46:47], v[40:41]
	v_lshl_add_u64 v[42:43], v[44:45], 3, s[0:1]
	v_lshl_add_u64 v[44:45], v[48:49], 3, s[0:1]
	s_waitcnt vmcnt(0) lgkmcnt(0)
	scratch_store_dwordx2 off, v[46:47], off offset:144
	flat_load_dwordx2 v[46:47], v[42:43]
	s_waitcnt vmcnt(0) lgkmcnt(0)
	scratch_store_dwordx2 off, v[46:47], off offset:152
	flat_load_dwordx2 v[50:51], v[44:45]
	v_add_u32_e32 v46, s9, v48
	v_ashrrev_i32_e32 v47, 31, v46
	v_lshl_add_u64 v[46:47], v[46:47], 3, s[0:1]
	s_waitcnt vmcnt(0) lgkmcnt(0)
	scratch_store_dwordx2 off, v[50:51], off offset:160
	flat_load_dwordx2 v[48:49], v[46:47]
	s_waitcnt vmcnt(0) lgkmcnt(0)
	scratch_store_dwordx2 off, v[48:49], off offset:168
	v_mov_b64_e32 v[48:49], -1.0
	s_cbranch_scc1 .LBB85_3
; %bb.2:
	scratch_load_dwordx2 v[48:49], v18, off
	s_waitcnt vmcnt(0)
	v_div_scale_f64 v[50:51], s[0:1], v[48:49], v[48:49], 1.0
	v_rcp_f64_e32 v[52:53], v[50:51]
	v_div_scale_f64 v[54:55], vcc, 1.0, v[48:49], 1.0
	v_fma_f64 v[56:57], -v[50:51], v[52:53], 1.0
	v_fmac_f64_e32 v[52:53], v[52:53], v[56:57]
	v_fma_f64 v[56:57], -v[50:51], v[52:53], 1.0
	v_fmac_f64_e32 v[52:53], v[52:53], v[56:57]
	v_mul_f64 v[56:57], v[54:55], v[52:53]
	v_fma_f64 v[50:51], -v[50:51], v[56:57], v[54:55]
	v_div_fmas_f64 v[50:51], v[50:51], v[52:53], v[56:57]
	v_div_fixup_f64 v[48:49], v[50:51], v[48:49], 1.0
	scratch_store_dwordx2 v18, v[48:49], off
	v_xor_b32_e32 v49, 0x80000000, v49
.LBB85_3:
	s_cmpk_eq_i32 s4, 0x79
	v_add_u32_e32 v1, 0xb0, v18
	v_mov_b32_e32 v19, v18
	s_mov_b64 s[0:1], -1
	ds_write_b64 v18, v[48:49]
	s_cbranch_scc1 .LBB85_207
; %bb.4:
	scratch_load_dwordx2 v[48:49], off, off offset:160
	s_movk_i32 s8, 0x48
	s_movk_i32 s9, 0x50
	;; [unrolled: 1-line block ×11, first 2 shown]
	v_cmp_eq_u32_e64 s[0:1], 21, v0
	s_waitcnt vmcnt(0)
	ds_write_b64 v1, v[48:49]
	s_waitcnt lgkmcnt(0)
	; wave barrier
	s_and_saveexec_b64 s[2:3], s[0:1]
	s_cbranch_execz .LBB85_10
; %bb.5:
	s_and_b64 vcc, exec, s[6:7]
	s_cbranch_vccz .LBB85_7
; %bb.6:
	scratch_load_dwordx2 v[48:49], v19, off
	ds_read_b64 v[50:51], v1
	s_waitcnt vmcnt(0) lgkmcnt(0)
	v_mul_f64 v[48:49], v[48:49], v[50:51]
	s_cbranch_execz .LBB85_8
	s_branch .LBB85_9
.LBB85_7:
                                        ; implicit-def: $vgpr48_vgpr49
.LBB85_8:
	ds_read_b64 v[48:49], v1
.LBB85_9:
	v_mov_b32_e32 v50, 0
	ds_read_b64 v[50:51], v50 offset:160
	s_waitcnt lgkmcnt(0)
	v_mul_f64 v[48:49], v[48:49], v[50:51]
	scratch_store_dwordx2 off, v[48:49], off offset:160
.LBB85_10:
	s_or_b64 exec, exec, s[2:3]
	scratch_load_dwordx2 v[48:49], off, off offset:152
	s_or_b32 s10, 0, 8
	s_mov_b32 s11, 16
	s_mov_b32 s12, 24
	;; [unrolled: 1-line block ×9, first 2 shown]
	v_cmp_lt_u32_e64 s[2:3], 19, v0
	s_waitcnt vmcnt(0)
	ds_write_b64 v1, v[48:49]
	s_waitcnt lgkmcnt(0)
	; wave barrier
	s_and_saveexec_b64 s[4:5], s[2:3]
	s_cbranch_execz .LBB85_16
; %bb.11:
	s_andn2_b64 vcc, exec, s[6:7]
	s_cbranch_vccnz .LBB85_13
; %bb.12:
	scratch_load_dwordx2 v[48:49], v19, off
	ds_read_b64 v[50:51], v1
	s_waitcnt vmcnt(0) lgkmcnt(0)
	v_mul_f64 v[48:49], v[48:49], v[50:51]
	s_cbranch_execz .LBB85_14
	s_branch .LBB85_15
.LBB85_13:
                                        ; implicit-def: $vgpr48_vgpr49
.LBB85_14:
	ds_read_b64 v[48:49], v1
.LBB85_15:
	scratch_load_dwordx2 v[54:55], off, off offset:160
	v_mov_b32_e32 v50, 0
	ds_read2_b64 v[50:53], v50 offset0:19 offset1:42
	s_waitcnt vmcnt(0) lgkmcnt(0)
	v_fma_f64 v[52:53], v[54:55], v[52:53], v[48:49]
	v_cndmask_b32_e64 v49, v49, v53, s[0:1]
	v_cndmask_b32_e64 v48, v48, v52, s[0:1]
	v_mul_f64 v[48:49], v[48:49], v[50:51]
	scratch_store_dwordx2 off, v[48:49], off offset:152
.LBB85_16:
	s_or_b64 exec, exec, s[4:5]
	scratch_load_dwordx2 v[48:49], off, off offset:144
	v_cmp_lt_u32_e64 s[0:1], 18, v0
	s_waitcnt vmcnt(0)
	ds_write_b64 v1, v[48:49]
	s_waitcnt lgkmcnt(0)
	; wave barrier
	s_and_saveexec_b64 s[4:5], s[0:1]
	s_cbranch_execz .LBB85_26
; %bb.17:
	s_andn2_b64 vcc, exec, s[6:7]
	s_cbranch_vccnz .LBB85_19
; %bb.18:
	scratch_load_dwordx2 v[48:49], v19, off
	ds_read_b64 v[50:51], v1
	s_waitcnt vmcnt(0) lgkmcnt(0)
	v_mul_f64 v[48:49], v[48:49], v[50:51]
	s_cbranch_execz .LBB85_20
	s_branch .LBB85_21
.LBB85_19:
                                        ; implicit-def: $vgpr48_vgpr49
.LBB85_20:
	ds_read_b64 v[48:49], v1
.LBB85_21:
	s_and_saveexec_b64 s[8:9], s[2:3]
	s_cbranch_execz .LBB85_25
; %bb.22:
	v_subrev_u32_e32 v50, 19, v0
	s_movk_i32 s29, 0x148
	s_mov_b64 s[2:3], 0
.LBB85_23:                              ; =>This Inner Loop Header: Depth=1
	scratch_load_dwordx2 v[52:53], off, s28
	v_mov_b32_e32 v51, s29
	ds_read_b64 v[54:55], v51
	v_add_u32_e32 v50, -1, v50
	s_add_i32 s29, s29, 8
	s_add_i32 s28, s28, 8
	v_cmp_eq_u32_e32 vcc, 0, v50
	s_or_b64 s[2:3], vcc, s[2:3]
	s_waitcnt vmcnt(0) lgkmcnt(0)
	v_fmac_f64_e32 v[48:49], v[52:53], v[54:55]
	s_andn2_b64 exec, exec, s[2:3]
	s_cbranch_execnz .LBB85_23
; %bb.24:
	s_or_b64 exec, exec, s[2:3]
.LBB85_25:
	s_or_b64 exec, exec, s[8:9]
	v_mov_b32_e32 v50, 0
	ds_read_b64 v[50:51], v50 offset:144
	s_waitcnt lgkmcnt(0)
	v_mul_f64 v[48:49], v[48:49], v[50:51]
	scratch_store_dwordx2 off, v[48:49], off offset:144
.LBB85_26:
	s_or_b64 exec, exec, s[4:5]
	scratch_load_dwordx2 v[48:49], off, off offset:136
	v_cmp_lt_u32_e64 s[2:3], 17, v0
	s_waitcnt vmcnt(0)
	ds_write_b64 v1, v[48:49]
	s_waitcnt lgkmcnt(0)
	; wave barrier
	s_and_saveexec_b64 s[4:5], s[2:3]
	s_cbranch_execz .LBB85_36
; %bb.27:
	s_andn2_b64 vcc, exec, s[6:7]
	s_cbranch_vccnz .LBB85_29
; %bb.28:
	scratch_load_dwordx2 v[48:49], v19, off
	ds_read_b64 v[50:51], v1
	s_waitcnt vmcnt(0) lgkmcnt(0)
	v_mul_f64 v[48:49], v[48:49], v[50:51]
	s_cbranch_execz .LBB85_30
	s_branch .LBB85_31
.LBB85_29:
                                        ; implicit-def: $vgpr48_vgpr49
.LBB85_30:
	ds_read_b64 v[48:49], v1
.LBB85_31:
	s_and_saveexec_b64 s[8:9], s[0:1]
	s_cbranch_execz .LBB85_35
; %bb.32:
	v_subrev_u32_e32 v50, 18, v0
	s_movk_i32 s28, 0x140
	s_mov_b64 s[0:1], 0
.LBB85_33:                              ; =>This Inner Loop Header: Depth=1
	scratch_load_dwordx2 v[52:53], off, s27
	v_mov_b32_e32 v51, s28
	ds_read_b64 v[54:55], v51
	v_add_u32_e32 v50, -1, v50
	s_add_i32 s28, s28, 8
	s_add_i32 s27, s27, 8
	v_cmp_eq_u32_e32 vcc, 0, v50
	s_or_b64 s[0:1], vcc, s[0:1]
	s_waitcnt vmcnt(0) lgkmcnt(0)
	v_fmac_f64_e32 v[48:49], v[52:53], v[54:55]
	s_andn2_b64 exec, exec, s[0:1]
	s_cbranch_execnz .LBB85_33
; %bb.34:
	s_or_b64 exec, exec, s[0:1]
.LBB85_35:
	s_or_b64 exec, exec, s[8:9]
	v_mov_b32_e32 v50, 0
	ds_read_b64 v[50:51], v50 offset:136
	s_waitcnt lgkmcnt(0)
	v_mul_f64 v[48:49], v[48:49], v[50:51]
	scratch_store_dwordx2 off, v[48:49], off offset:136
.LBB85_36:
	;; [unrolled: 53-line block ×3, first 2 shown]
	s_or_b64 exec, exec, s[4:5]
	scratch_load_dwordx2 v[48:49], off, off offset:120
	v_cmp_lt_u32_e64 s[2:3], 15, v0
	s_waitcnt vmcnt(0)
	ds_write_b64 v1, v[48:49]
	s_waitcnt lgkmcnt(0)
	; wave barrier
	s_and_saveexec_b64 s[4:5], s[2:3]
	s_cbranch_execz .LBB85_56
; %bb.47:
	s_andn2_b64 vcc, exec, s[6:7]
	s_cbranch_vccnz .LBB85_49
; %bb.48:
	scratch_load_dwordx2 v[48:49], v19, off
	ds_read_b64 v[50:51], v1
	s_waitcnt vmcnt(0) lgkmcnt(0)
	v_mul_f64 v[48:49], v[48:49], v[50:51]
	s_cbranch_execz .LBB85_50
	s_branch .LBB85_51
.LBB85_49:
                                        ; implicit-def: $vgpr48_vgpr49
.LBB85_50:
	ds_read_b64 v[48:49], v1
.LBB85_51:
	s_and_saveexec_b64 s[8:9], s[0:1]
	s_cbranch_execz .LBB85_55
; %bb.52:
	v_add_u32_e32 v50, -16, v0
	s_movk_i32 s26, 0x130
	s_mov_b64 s[0:1], 0
.LBB85_53:                              ; =>This Inner Loop Header: Depth=1
	scratch_load_dwordx2 v[52:53], off, s25
	v_mov_b32_e32 v51, s26
	ds_read_b64 v[54:55], v51
	v_add_u32_e32 v50, -1, v50
	s_add_i32 s26, s26, 8
	s_add_i32 s25, s25, 8
	v_cmp_eq_u32_e32 vcc, 0, v50
	s_or_b64 s[0:1], vcc, s[0:1]
	s_waitcnt vmcnt(0) lgkmcnt(0)
	v_fmac_f64_e32 v[48:49], v[52:53], v[54:55]
	s_andn2_b64 exec, exec, s[0:1]
	s_cbranch_execnz .LBB85_53
; %bb.54:
	s_or_b64 exec, exec, s[0:1]
.LBB85_55:
	s_or_b64 exec, exec, s[8:9]
	v_mov_b32_e32 v50, 0
	ds_read_b64 v[50:51], v50 offset:120
	s_waitcnt lgkmcnt(0)
	v_mul_f64 v[48:49], v[48:49], v[50:51]
	scratch_store_dwordx2 off, v[48:49], off offset:120
.LBB85_56:
	s_or_b64 exec, exec, s[4:5]
	scratch_load_dwordx2 v[48:49], off, off offset:112
	v_cmp_lt_u32_e64 s[0:1], 14, v0
	s_waitcnt vmcnt(0)
	ds_write_b64 v1, v[48:49]
	s_waitcnt lgkmcnt(0)
	; wave barrier
	s_and_saveexec_b64 s[4:5], s[0:1]
	s_cbranch_execz .LBB85_66
; %bb.57:
	s_andn2_b64 vcc, exec, s[6:7]
	s_cbranch_vccnz .LBB85_59
; %bb.58:
	scratch_load_dwordx2 v[48:49], v19, off
	ds_read_b64 v[50:51], v1
	s_waitcnt vmcnt(0) lgkmcnt(0)
	v_mul_f64 v[48:49], v[48:49], v[50:51]
	s_cbranch_execz .LBB85_60
	s_branch .LBB85_61
.LBB85_59:
                                        ; implicit-def: $vgpr48_vgpr49
.LBB85_60:
	ds_read_b64 v[48:49], v1
.LBB85_61:
	s_and_saveexec_b64 s[8:9], s[2:3]
	s_cbranch_execz .LBB85_65
; %bb.62:
	v_add_u32_e32 v50, -15, v0
	s_movk_i32 s25, 0x128
	s_mov_b64 s[2:3], 0
.LBB85_63:                              ; =>This Inner Loop Header: Depth=1
	scratch_load_dwordx2 v[52:53], off, s24
	v_mov_b32_e32 v51, s25
	ds_read_b64 v[54:55], v51
	v_add_u32_e32 v50, -1, v50
	s_add_i32 s25, s25, 8
	s_add_i32 s24, s24, 8
	v_cmp_eq_u32_e32 vcc, 0, v50
	s_or_b64 s[2:3], vcc, s[2:3]
	s_waitcnt vmcnt(0) lgkmcnt(0)
	v_fmac_f64_e32 v[48:49], v[52:53], v[54:55]
	s_andn2_b64 exec, exec, s[2:3]
	s_cbranch_execnz .LBB85_63
; %bb.64:
	s_or_b64 exec, exec, s[2:3]
.LBB85_65:
	s_or_b64 exec, exec, s[8:9]
	v_mov_b32_e32 v50, 0
	ds_read_b64 v[50:51], v50 offset:112
	s_waitcnt lgkmcnt(0)
	v_mul_f64 v[48:49], v[48:49], v[50:51]
	scratch_store_dwordx2 off, v[48:49], off offset:112
.LBB85_66:
	;; [unrolled: 53-line block ×5, first 2 shown]
	s_or_b64 exec, exec, s[4:5]
	scratch_load_dwordx2 v[48:49], off, off offset:80
	v_cmp_lt_u32_e64 s[0:1], 10, v0
	s_waitcnt vmcnt(0)
	ds_write_b64 v1, v[48:49]
	s_waitcnt lgkmcnt(0)
	; wave barrier
	s_and_saveexec_b64 s[4:5], s[0:1]
	s_cbranch_execz .LBB85_106
; %bb.97:
	s_andn2_b64 vcc, exec, s[6:7]
	s_cbranch_vccnz .LBB85_99
; %bb.98:
	scratch_load_dwordx2 v[48:49], v19, off
	ds_read_b64 v[50:51], v1
	s_waitcnt vmcnt(0) lgkmcnt(0)
	v_mul_f64 v[48:49], v[48:49], v[50:51]
	s_cbranch_execz .LBB85_100
	s_branch .LBB85_101
.LBB85_99:
                                        ; implicit-def: $vgpr48_vgpr49
.LBB85_100:
	ds_read_b64 v[48:49], v1
.LBB85_101:
	s_and_saveexec_b64 s[8:9], s[2:3]
	s_cbranch_execz .LBB85_105
; %bb.102:
	v_add_u32_e32 v50, -11, v0
	s_movk_i32 s21, 0x108
	s_mov_b64 s[2:3], 0
.LBB85_103:                             ; =>This Inner Loop Header: Depth=1
	scratch_load_dwordx2 v[52:53], off, s20
	v_mov_b32_e32 v51, s21
	ds_read_b64 v[54:55], v51
	v_add_u32_e32 v50, -1, v50
	s_add_i32 s21, s21, 8
	s_add_i32 s20, s20, 8
	v_cmp_eq_u32_e32 vcc, 0, v50
	s_or_b64 s[2:3], vcc, s[2:3]
	s_waitcnt vmcnt(0) lgkmcnt(0)
	v_fmac_f64_e32 v[48:49], v[52:53], v[54:55]
	s_andn2_b64 exec, exec, s[2:3]
	s_cbranch_execnz .LBB85_103
; %bb.104:
	s_or_b64 exec, exec, s[2:3]
.LBB85_105:
	s_or_b64 exec, exec, s[8:9]
	v_mov_b32_e32 v50, 0
	ds_read_b64 v[50:51], v50 offset:80
	s_waitcnt lgkmcnt(0)
	v_mul_f64 v[48:49], v[48:49], v[50:51]
	scratch_store_dwordx2 off, v[48:49], off offset:80
.LBB85_106:
	s_or_b64 exec, exec, s[4:5]
	scratch_load_dwordx2 v[48:49], off, off offset:72
	v_cmp_lt_u32_e64 s[2:3], 9, v0
	s_waitcnt vmcnt(0)
	ds_write_b64 v1, v[48:49]
	s_waitcnt lgkmcnt(0)
	; wave barrier
	s_and_saveexec_b64 s[4:5], s[2:3]
	s_cbranch_execz .LBB85_116
; %bb.107:
	s_andn2_b64 vcc, exec, s[6:7]
	s_cbranch_vccnz .LBB85_109
; %bb.108:
	scratch_load_dwordx2 v[48:49], v19, off
	ds_read_b64 v[50:51], v1
	s_waitcnt vmcnt(0) lgkmcnt(0)
	v_mul_f64 v[48:49], v[48:49], v[50:51]
	s_cbranch_execz .LBB85_110
	s_branch .LBB85_111
.LBB85_109:
                                        ; implicit-def: $vgpr48_vgpr49
.LBB85_110:
	ds_read_b64 v[48:49], v1
.LBB85_111:
	s_and_saveexec_b64 s[8:9], s[0:1]
	s_cbranch_execz .LBB85_115
; %bb.112:
	v_add_u32_e32 v50, -10, v0
	s_movk_i32 s20, 0x100
	s_mov_b64 s[0:1], 0
.LBB85_113:                             ; =>This Inner Loop Header: Depth=1
	scratch_load_dwordx2 v[52:53], off, s19
	v_mov_b32_e32 v51, s20
	ds_read_b64 v[54:55], v51
	v_add_u32_e32 v50, -1, v50
	s_add_i32 s20, s20, 8
	s_add_i32 s19, s19, 8
	v_cmp_eq_u32_e32 vcc, 0, v50
	s_or_b64 s[0:1], vcc, s[0:1]
	s_waitcnt vmcnt(0) lgkmcnt(0)
	v_fmac_f64_e32 v[48:49], v[52:53], v[54:55]
	s_andn2_b64 exec, exec, s[0:1]
	s_cbranch_execnz .LBB85_113
; %bb.114:
	s_or_b64 exec, exec, s[0:1]
.LBB85_115:
	s_or_b64 exec, exec, s[8:9]
	v_mov_b32_e32 v50, 0
	ds_read_b64 v[50:51], v50 offset:72
	s_waitcnt lgkmcnt(0)
	v_mul_f64 v[48:49], v[48:49], v[50:51]
	scratch_store_dwordx2 off, v[48:49], off offset:72
.LBB85_116:
	;; [unrolled: 53-line block ×10, first 2 shown]
	s_or_b64 exec, exec, s[4:5]
	scratch_load_dwordx2 v[48:49], off, off
	v_cmp_ne_u32_e32 vcc, 0, v0
	s_waitcnt vmcnt(0)
	ds_write_b64 v1, v[48:49]
	s_waitcnt lgkmcnt(0)
	; wave barrier
	s_and_saveexec_b64 s[0:1], vcc
	s_cbranch_execz .LBB85_206
; %bb.197:
	s_andn2_b64 vcc, exec, s[6:7]
	s_cbranch_vccnz .LBB85_199
; %bb.198:
	scratch_load_dwordx2 v[48:49], v19, off
	ds_read_b64 v[50:51], v1
	s_waitcnt vmcnt(0) lgkmcnt(0)
	v_mul_f64 v[48:49], v[48:49], v[50:51]
	s_cbranch_execz .LBB85_200
	s_branch .LBB85_201
.LBB85_199:
                                        ; implicit-def: $vgpr48_vgpr49
.LBB85_200:
	ds_read_b64 v[48:49], v1
.LBB85_201:
	s_and_saveexec_b64 s[4:5], s[2:3]
	s_cbranch_execz .LBB85_205
; %bb.202:
	v_add_u32_e32 v50, -1, v0
	s_movk_i32 s8, 0xb8
	s_mov_b64 s[2:3], 0
.LBB85_203:                             ; =>This Inner Loop Header: Depth=1
	scratch_load_dwordx2 v[52:53], off, s10
	v_mov_b32_e32 v51, s8
	ds_read_b64 v[54:55], v51
	v_add_u32_e32 v50, -1, v50
	s_add_i32 s8, s8, 8
	s_add_i32 s10, s10, 8
	v_cmp_eq_u32_e32 vcc, 0, v50
	s_or_b64 s[2:3], vcc, s[2:3]
	s_waitcnt vmcnt(0) lgkmcnt(0)
	v_fmac_f64_e32 v[48:49], v[52:53], v[54:55]
	s_andn2_b64 exec, exec, s[2:3]
	s_cbranch_execnz .LBB85_203
; %bb.204:
	s_or_b64 exec, exec, s[2:3]
.LBB85_205:
	s_or_b64 exec, exec, s[4:5]
	v_mov_b32_e32 v50, 0
	ds_read_b64 v[50:51], v50
	s_waitcnt lgkmcnt(0)
	v_mul_f64 v[48:49], v[48:49], v[50:51]
	scratch_store_dwordx2 off, v[48:49], off
.LBB85_206:
	s_or_b64 exec, exec, s[0:1]
	s_mov_b64 s[0:1], 0
.LBB85_207:
	s_and_b64 vcc, exec, s[0:1]
	s_cbranch_vccz .LBB85_409
; %bb.208:
	scratch_load_dwordx2 v[48:49], off, off offset:8
	v_cmp_eq_u32_e64 s[2:3], 0, v0
	s_waitcnt vmcnt(0)
	ds_write_b64 v1, v[48:49]
	s_waitcnt lgkmcnt(0)
	; wave barrier
	s_and_saveexec_b64 s[0:1], s[2:3]
	s_cbranch_execz .LBB85_214
; %bb.209:
	s_and_b64 vcc, exec, s[6:7]
	s_cbranch_vccz .LBB85_211
; %bb.210:
	scratch_load_dwordx2 v[48:49], v19, off
	ds_read_b64 v[50:51], v1
	s_waitcnt vmcnt(0) lgkmcnt(0)
	v_mul_f64 v[48:49], v[48:49], v[50:51]
	s_cbranch_execz .LBB85_212
	s_branch .LBB85_213
.LBB85_211:
                                        ; implicit-def: $vgpr48_vgpr49
.LBB85_212:
	ds_read_b64 v[48:49], v1
.LBB85_213:
	v_mov_b32_e32 v50, 0
	ds_read_b64 v[50:51], v50 offset:8
	s_waitcnt lgkmcnt(0)
	v_mul_f64 v[48:49], v[48:49], v[50:51]
	scratch_store_dwordx2 off, v[48:49], off offset:8
.LBB85_214:
	s_or_b64 exec, exec, s[0:1]
	scratch_load_dwordx2 v[48:49], off, off offset:16
	v_cndmask_b32_e64 v50, 0, 1, s[6:7]
	v_cmp_gt_u32_e32 vcc, 2, v0
	v_cmp_ne_u32_e64 s[0:1], 1, v50
	s_waitcnt vmcnt(0)
	ds_write_b64 v1, v[48:49]
	s_waitcnt lgkmcnt(0)
	; wave barrier
	s_and_saveexec_b64 s[4:5], vcc
	s_cbranch_execz .LBB85_220
; %bb.215:
	s_and_b64 vcc, exec, s[0:1]
	s_cbranch_vccnz .LBB85_217
; %bb.216:
	scratch_load_dwordx2 v[48:49], v19, off
	ds_read_b64 v[50:51], v1
	s_waitcnt vmcnt(0) lgkmcnt(0)
	v_mul_f64 v[48:49], v[48:49], v[50:51]
	s_cbranch_execz .LBB85_218
	s_branch .LBB85_219
.LBB85_217:
                                        ; implicit-def: $vgpr48_vgpr49
.LBB85_218:
	ds_read_b64 v[48:49], v1
.LBB85_219:
	scratch_load_dwordx2 v[54:55], off, off offset:8
	v_mov_b32_e32 v50, 0
	ds_read2_b64 v[50:53], v50 offset0:2 offset1:23
	s_waitcnt vmcnt(0) lgkmcnt(0)
	v_fma_f64 v[52:53], v[54:55], v[52:53], v[48:49]
	v_cndmask_b32_e64 v49, v49, v53, s[2:3]
	v_cndmask_b32_e64 v48, v48, v52, s[2:3]
	v_mul_f64 v[48:49], v[48:49], v[50:51]
	scratch_store_dwordx2 off, v[48:49], off offset:16
.LBB85_220:
	s_or_b64 exec, exec, s[4:5]
	scratch_load_dwordx2 v[48:49], off, off offset:24
	v_cmp_gt_u32_e32 vcc, 3, v0
	s_waitcnt vmcnt(0)
	ds_write_b64 v1, v[48:49]
	s_waitcnt lgkmcnt(0)
	; wave barrier
	s_and_saveexec_b64 s[4:5], vcc
	s_cbranch_execz .LBB85_228
; %bb.221:
	s_and_b64 vcc, exec, s[0:1]
	s_cbranch_vccnz .LBB85_223
; %bb.222:
	scratch_load_dwordx2 v[48:49], v19, off
	ds_read_b64 v[50:51], v1
	s_waitcnt vmcnt(0) lgkmcnt(0)
	v_mul_f64 v[48:49], v[48:49], v[50:51]
	s_cbranch_execz .LBB85_224
	s_branch .LBB85_225
.LBB85_223:
                                        ; implicit-def: $vgpr48_vgpr49
.LBB85_224:
	ds_read_b64 v[48:49], v1
.LBB85_225:
	v_cmp_ne_u32_e32 vcc, 2, v0
	s_and_saveexec_b64 s[6:7], vcc
	s_cbranch_execz .LBB85_227
; %bb.226:
	scratch_load_dwordx2 v[50:51], v19, off offset:8
	scratch_load_dwordx2 v[52:53], off, off offset:16
	ds_read_b64 v[54:55], v1 offset:8
	v_mov_b32_e32 v56, 0
	ds_read_b64 v[56:57], v56 offset:192
	s_waitcnt vmcnt(1) lgkmcnt(1)
	v_fmac_f64_e32 v[48:49], v[50:51], v[54:55]
	s_waitcnt vmcnt(0) lgkmcnt(0)
	v_fma_f64 v[50:51], v[52:53], v[56:57], v[48:49]
	v_cndmask_b32_e64 v49, v49, v51, s[2:3]
	v_cndmask_b32_e64 v48, v48, v50, s[2:3]
.LBB85_227:
	s_or_b64 exec, exec, s[6:7]
	v_mov_b32_e32 v50, 0
	ds_read_b64 v[50:51], v50 offset:24
	s_waitcnt lgkmcnt(0)
	v_mul_f64 v[48:49], v[48:49], v[50:51]
	scratch_store_dwordx2 off, v[48:49], off offset:24
.LBB85_228:
	s_or_b64 exec, exec, s[4:5]
	scratch_load_dwordx2 v[48:49], off, off offset:32
	v_cmp_gt_u32_e32 vcc, 4, v0
	s_waitcnt vmcnt(0)
	ds_write_b64 v1, v[48:49]
	s_waitcnt lgkmcnt(0)
	; wave barrier
	s_and_saveexec_b64 s[2:3], vcc
	s_cbranch_execz .LBB85_238
; %bb.229:
	s_and_b64 vcc, exec, s[0:1]
	s_cbranch_vccnz .LBB85_231
; %bb.230:
	scratch_load_dwordx2 v[48:49], v19, off
	ds_read_b64 v[50:51], v1
	s_waitcnt vmcnt(0) lgkmcnt(0)
	v_mul_f64 v[48:49], v[48:49], v[50:51]
	s_cbranch_execz .LBB85_232
	s_branch .LBB85_233
.LBB85_231:
                                        ; implicit-def: $vgpr48_vgpr49
.LBB85_232:
	ds_read_b64 v[48:49], v1
.LBB85_233:
	v_cmp_ne_u32_e32 vcc, 3, v0
	s_and_saveexec_b64 s[4:5], vcc
	s_cbranch_execz .LBB85_237
; %bb.234:
	s_mov_b32 s6, 0
	v_add_u32_e32 v50, 0xb8, v18
	v_add3_u32 v51, v18, s6, 8
	s_mov_b64 s[6:7], 0
	v_mov_b32_e32 v52, v0
.LBB85_235:                             ; =>This Inner Loop Header: Depth=1
	scratch_load_dwordx2 v[54:55], v51, off
	ds_read_b64 v[56:57], v50
	v_add_u32_e32 v52, 1, v52
	v_cmp_lt_u32_e32 vcc, 2, v52
	v_add_u32_e32 v50, 8, v50
	v_add_u32_e32 v51, 8, v51
	s_or_b64 s[6:7], vcc, s[6:7]
	s_waitcnt vmcnt(0) lgkmcnt(0)
	v_fmac_f64_e32 v[48:49], v[54:55], v[56:57]
	s_andn2_b64 exec, exec, s[6:7]
	s_cbranch_execnz .LBB85_235
; %bb.236:
	s_or_b64 exec, exec, s[6:7]
.LBB85_237:
	s_or_b64 exec, exec, s[4:5]
	v_mov_b32_e32 v50, 0
	ds_read_b64 v[50:51], v50 offset:32
	s_waitcnt lgkmcnt(0)
	v_mul_f64 v[48:49], v[48:49], v[50:51]
	scratch_store_dwordx2 off, v[48:49], off offset:32
.LBB85_238:
	s_or_b64 exec, exec, s[2:3]
	scratch_load_dwordx2 v[48:49], off, off offset:40
	v_cmp_gt_u32_e32 vcc, 5, v0
	s_waitcnt vmcnt(0)
	ds_write_b64 v1, v[48:49]
	s_waitcnt lgkmcnt(0)
	; wave barrier
	s_and_saveexec_b64 s[2:3], vcc
	s_cbranch_execz .LBB85_248
; %bb.239:
	s_and_b64 vcc, exec, s[0:1]
	s_cbranch_vccnz .LBB85_241
; %bb.240:
	scratch_load_dwordx2 v[48:49], v19, off
	ds_read_b64 v[50:51], v1
	s_waitcnt vmcnt(0) lgkmcnt(0)
	v_mul_f64 v[48:49], v[48:49], v[50:51]
	s_cbranch_execz .LBB85_242
	s_branch .LBB85_243
.LBB85_241:
                                        ; implicit-def: $vgpr48_vgpr49
.LBB85_242:
	ds_read_b64 v[48:49], v1
.LBB85_243:
	v_cmp_ne_u32_e32 vcc, 4, v0
	s_and_saveexec_b64 s[4:5], vcc
	s_cbranch_execz .LBB85_247
; %bb.244:
	s_mov_b32 s6, 0
	v_add_u32_e32 v50, 0xb8, v18
	v_add3_u32 v51, v18, s6, 8
	s_mov_b64 s[6:7], 0
	v_mov_b32_e32 v52, v0
.LBB85_245:                             ; =>This Inner Loop Header: Depth=1
	scratch_load_dwordx2 v[54:55], v51, off
	ds_read_b64 v[56:57], v50
	v_add_u32_e32 v52, 1, v52
	v_cmp_lt_u32_e32 vcc, 3, v52
	v_add_u32_e32 v50, 8, v50
	v_add_u32_e32 v51, 8, v51
	s_or_b64 s[6:7], vcc, s[6:7]
	s_waitcnt vmcnt(0) lgkmcnt(0)
	v_fmac_f64_e32 v[48:49], v[54:55], v[56:57]
	s_andn2_b64 exec, exec, s[6:7]
	s_cbranch_execnz .LBB85_245
; %bb.246:
	s_or_b64 exec, exec, s[6:7]
.LBB85_247:
	s_or_b64 exec, exec, s[4:5]
	v_mov_b32_e32 v50, 0
	ds_read_b64 v[50:51], v50 offset:40
	s_waitcnt lgkmcnt(0)
	v_mul_f64 v[48:49], v[48:49], v[50:51]
	scratch_store_dwordx2 off, v[48:49], off offset:40
.LBB85_248:
	s_or_b64 exec, exec, s[2:3]
	scratch_load_dwordx2 v[48:49], off, off offset:48
	v_cmp_gt_u32_e32 vcc, 6, v0
	s_waitcnt vmcnt(0)
	ds_write_b64 v1, v[48:49]
	s_waitcnt lgkmcnt(0)
	; wave barrier
	s_and_saveexec_b64 s[2:3], vcc
	s_cbranch_execz .LBB85_258
; %bb.249:
	s_and_b64 vcc, exec, s[0:1]
	s_cbranch_vccnz .LBB85_251
; %bb.250:
	scratch_load_dwordx2 v[48:49], v19, off
	ds_read_b64 v[50:51], v1
	s_waitcnt vmcnt(0) lgkmcnt(0)
	v_mul_f64 v[48:49], v[48:49], v[50:51]
	s_cbranch_execz .LBB85_252
	s_branch .LBB85_253
.LBB85_251:
                                        ; implicit-def: $vgpr48_vgpr49
.LBB85_252:
	ds_read_b64 v[48:49], v1
.LBB85_253:
	v_cmp_ne_u32_e32 vcc, 5, v0
	s_and_saveexec_b64 s[4:5], vcc
	s_cbranch_execz .LBB85_257
; %bb.254:
	s_mov_b32 s6, 0
	v_add_u32_e32 v50, 0xb8, v18
	v_add3_u32 v51, v18, s6, 8
	s_mov_b64 s[6:7], 0
	v_mov_b32_e32 v52, v0
.LBB85_255:                             ; =>This Inner Loop Header: Depth=1
	scratch_load_dwordx2 v[54:55], v51, off
	ds_read_b64 v[56:57], v50
	v_add_u32_e32 v52, 1, v52
	v_cmp_lt_u32_e32 vcc, 4, v52
	v_add_u32_e32 v50, 8, v50
	v_add_u32_e32 v51, 8, v51
	s_or_b64 s[6:7], vcc, s[6:7]
	s_waitcnt vmcnt(0) lgkmcnt(0)
	v_fmac_f64_e32 v[48:49], v[54:55], v[56:57]
	s_andn2_b64 exec, exec, s[6:7]
	s_cbranch_execnz .LBB85_255
; %bb.256:
	s_or_b64 exec, exec, s[6:7]
.LBB85_257:
	s_or_b64 exec, exec, s[4:5]
	v_mov_b32_e32 v50, 0
	ds_read_b64 v[50:51], v50 offset:48
	s_waitcnt lgkmcnt(0)
	v_mul_f64 v[48:49], v[48:49], v[50:51]
	scratch_store_dwordx2 off, v[48:49], off offset:48
.LBB85_258:
	s_or_b64 exec, exec, s[2:3]
	scratch_load_dwordx2 v[48:49], off, off offset:56
	v_cmp_gt_u32_e32 vcc, 7, v0
	s_waitcnt vmcnt(0)
	ds_write_b64 v1, v[48:49]
	s_waitcnt lgkmcnt(0)
	; wave barrier
	s_and_saveexec_b64 s[2:3], vcc
	s_cbranch_execz .LBB85_268
; %bb.259:
	s_and_b64 vcc, exec, s[0:1]
	s_cbranch_vccnz .LBB85_261
; %bb.260:
	scratch_load_dwordx2 v[48:49], v19, off
	ds_read_b64 v[50:51], v1
	s_waitcnt vmcnt(0) lgkmcnt(0)
	v_mul_f64 v[48:49], v[48:49], v[50:51]
	s_cbranch_execz .LBB85_262
	s_branch .LBB85_263
.LBB85_261:
                                        ; implicit-def: $vgpr48_vgpr49
.LBB85_262:
	ds_read_b64 v[48:49], v1
.LBB85_263:
	v_cmp_ne_u32_e32 vcc, 6, v0
	s_and_saveexec_b64 s[4:5], vcc
	s_cbranch_execz .LBB85_267
; %bb.264:
	s_mov_b32 s6, 0
	v_add_u32_e32 v50, 0xb8, v18
	v_add3_u32 v51, v18, s6, 8
	s_mov_b64 s[6:7], 0
	v_mov_b32_e32 v52, v0
.LBB85_265:                             ; =>This Inner Loop Header: Depth=1
	scratch_load_dwordx2 v[54:55], v51, off
	ds_read_b64 v[56:57], v50
	v_add_u32_e32 v52, 1, v52
	v_cmp_lt_u32_e32 vcc, 5, v52
	v_add_u32_e32 v50, 8, v50
	v_add_u32_e32 v51, 8, v51
	s_or_b64 s[6:7], vcc, s[6:7]
	s_waitcnt vmcnt(0) lgkmcnt(0)
	v_fmac_f64_e32 v[48:49], v[54:55], v[56:57]
	s_andn2_b64 exec, exec, s[6:7]
	s_cbranch_execnz .LBB85_265
; %bb.266:
	s_or_b64 exec, exec, s[6:7]
.LBB85_267:
	s_or_b64 exec, exec, s[4:5]
	v_mov_b32_e32 v50, 0
	ds_read_b64 v[50:51], v50 offset:56
	s_waitcnt lgkmcnt(0)
	v_mul_f64 v[48:49], v[48:49], v[50:51]
	scratch_store_dwordx2 off, v[48:49], off offset:56
.LBB85_268:
	s_or_b64 exec, exec, s[2:3]
	scratch_load_dwordx2 v[48:49], off, off offset:64
	v_cmp_gt_u32_e32 vcc, 8, v0
	s_waitcnt vmcnt(0)
	ds_write_b64 v1, v[48:49]
	s_waitcnt lgkmcnt(0)
	; wave barrier
	s_and_saveexec_b64 s[2:3], vcc
	s_cbranch_execz .LBB85_278
; %bb.269:
	s_and_b64 vcc, exec, s[0:1]
	s_cbranch_vccnz .LBB85_271
; %bb.270:
	scratch_load_dwordx2 v[48:49], v19, off
	ds_read_b64 v[50:51], v1
	s_waitcnt vmcnt(0) lgkmcnt(0)
	v_mul_f64 v[48:49], v[48:49], v[50:51]
	s_cbranch_execz .LBB85_272
	s_branch .LBB85_273
.LBB85_271:
                                        ; implicit-def: $vgpr48_vgpr49
.LBB85_272:
	ds_read_b64 v[48:49], v1
.LBB85_273:
	v_cmp_ne_u32_e32 vcc, 7, v0
	s_and_saveexec_b64 s[4:5], vcc
	s_cbranch_execz .LBB85_277
; %bb.274:
	s_mov_b32 s6, 0
	v_add_u32_e32 v50, 0xb8, v18
	v_add3_u32 v51, v18, s6, 8
	s_mov_b64 s[6:7], 0
	v_mov_b32_e32 v52, v0
.LBB85_275:                             ; =>This Inner Loop Header: Depth=1
	scratch_load_dwordx2 v[54:55], v51, off
	ds_read_b64 v[56:57], v50
	v_add_u32_e32 v52, 1, v52
	v_cmp_lt_u32_e32 vcc, 6, v52
	v_add_u32_e32 v50, 8, v50
	v_add_u32_e32 v51, 8, v51
	s_or_b64 s[6:7], vcc, s[6:7]
	s_waitcnt vmcnt(0) lgkmcnt(0)
	v_fmac_f64_e32 v[48:49], v[54:55], v[56:57]
	s_andn2_b64 exec, exec, s[6:7]
	s_cbranch_execnz .LBB85_275
; %bb.276:
	s_or_b64 exec, exec, s[6:7]
.LBB85_277:
	s_or_b64 exec, exec, s[4:5]
	v_mov_b32_e32 v50, 0
	ds_read_b64 v[50:51], v50 offset:64
	s_waitcnt lgkmcnt(0)
	v_mul_f64 v[48:49], v[48:49], v[50:51]
	scratch_store_dwordx2 off, v[48:49], off offset:64
.LBB85_278:
	s_or_b64 exec, exec, s[2:3]
	scratch_load_dwordx2 v[48:49], off, off offset:72
	v_cmp_gt_u32_e32 vcc, 9, v0
	s_waitcnt vmcnt(0)
	ds_write_b64 v1, v[48:49]
	s_waitcnt lgkmcnt(0)
	; wave barrier
	s_and_saveexec_b64 s[2:3], vcc
	s_cbranch_execz .LBB85_288
; %bb.279:
	s_and_b64 vcc, exec, s[0:1]
	s_cbranch_vccnz .LBB85_281
; %bb.280:
	scratch_load_dwordx2 v[48:49], v19, off
	ds_read_b64 v[50:51], v1
	s_waitcnt vmcnt(0) lgkmcnt(0)
	v_mul_f64 v[48:49], v[48:49], v[50:51]
	s_cbranch_execz .LBB85_282
	s_branch .LBB85_283
.LBB85_281:
                                        ; implicit-def: $vgpr48_vgpr49
.LBB85_282:
	ds_read_b64 v[48:49], v1
.LBB85_283:
	v_cmp_ne_u32_e32 vcc, 8, v0
	s_and_saveexec_b64 s[4:5], vcc
	s_cbranch_execz .LBB85_287
; %bb.284:
	s_mov_b32 s6, 0
	v_add_u32_e32 v50, 0xb8, v18
	v_add3_u32 v51, v18, s6, 8
	s_mov_b64 s[6:7], 0
	v_mov_b32_e32 v52, v0
.LBB85_285:                             ; =>This Inner Loop Header: Depth=1
	scratch_load_dwordx2 v[54:55], v51, off
	ds_read_b64 v[56:57], v50
	v_add_u32_e32 v52, 1, v52
	v_cmp_lt_u32_e32 vcc, 7, v52
	v_add_u32_e32 v50, 8, v50
	v_add_u32_e32 v51, 8, v51
	s_or_b64 s[6:7], vcc, s[6:7]
	s_waitcnt vmcnt(0) lgkmcnt(0)
	v_fmac_f64_e32 v[48:49], v[54:55], v[56:57]
	s_andn2_b64 exec, exec, s[6:7]
	s_cbranch_execnz .LBB85_285
; %bb.286:
	s_or_b64 exec, exec, s[6:7]
.LBB85_287:
	s_or_b64 exec, exec, s[4:5]
	v_mov_b32_e32 v50, 0
	ds_read_b64 v[50:51], v50 offset:72
	s_waitcnt lgkmcnt(0)
	v_mul_f64 v[48:49], v[48:49], v[50:51]
	scratch_store_dwordx2 off, v[48:49], off offset:72
.LBB85_288:
	s_or_b64 exec, exec, s[2:3]
	scratch_load_dwordx2 v[48:49], off, off offset:80
	v_cmp_gt_u32_e32 vcc, 10, v0
	s_waitcnt vmcnt(0)
	ds_write_b64 v1, v[48:49]
	s_waitcnt lgkmcnt(0)
	; wave barrier
	s_and_saveexec_b64 s[2:3], vcc
	s_cbranch_execz .LBB85_298
; %bb.289:
	s_and_b64 vcc, exec, s[0:1]
	s_cbranch_vccnz .LBB85_291
; %bb.290:
	scratch_load_dwordx2 v[48:49], v19, off
	ds_read_b64 v[50:51], v1
	s_waitcnt vmcnt(0) lgkmcnt(0)
	v_mul_f64 v[48:49], v[48:49], v[50:51]
	s_cbranch_execz .LBB85_292
	s_branch .LBB85_293
.LBB85_291:
                                        ; implicit-def: $vgpr48_vgpr49
.LBB85_292:
	ds_read_b64 v[48:49], v1
.LBB85_293:
	v_cmp_ne_u32_e32 vcc, 9, v0
	s_and_saveexec_b64 s[4:5], vcc
	s_cbranch_execz .LBB85_297
; %bb.294:
	s_mov_b32 s6, 0
	v_add_u32_e32 v50, 0xb8, v18
	v_add3_u32 v51, v18, s6, 8
	s_mov_b64 s[6:7], 0
	v_mov_b32_e32 v52, v0
.LBB85_295:                             ; =>This Inner Loop Header: Depth=1
	scratch_load_dwordx2 v[54:55], v51, off
	ds_read_b64 v[56:57], v50
	v_add_u32_e32 v52, 1, v52
	v_cmp_lt_u32_e32 vcc, 8, v52
	v_add_u32_e32 v50, 8, v50
	v_add_u32_e32 v51, 8, v51
	s_or_b64 s[6:7], vcc, s[6:7]
	s_waitcnt vmcnt(0) lgkmcnt(0)
	v_fmac_f64_e32 v[48:49], v[54:55], v[56:57]
	s_andn2_b64 exec, exec, s[6:7]
	s_cbranch_execnz .LBB85_295
; %bb.296:
	s_or_b64 exec, exec, s[6:7]
.LBB85_297:
	s_or_b64 exec, exec, s[4:5]
	v_mov_b32_e32 v50, 0
	ds_read_b64 v[50:51], v50 offset:80
	s_waitcnt lgkmcnt(0)
	v_mul_f64 v[48:49], v[48:49], v[50:51]
	scratch_store_dwordx2 off, v[48:49], off offset:80
.LBB85_298:
	s_or_b64 exec, exec, s[2:3]
	scratch_load_dwordx2 v[48:49], off, off offset:88
	v_cmp_gt_u32_e32 vcc, 11, v0
	s_waitcnt vmcnt(0)
	ds_write_b64 v1, v[48:49]
	s_waitcnt lgkmcnt(0)
	; wave barrier
	s_and_saveexec_b64 s[2:3], vcc
	s_cbranch_execz .LBB85_308
; %bb.299:
	s_and_b64 vcc, exec, s[0:1]
	s_cbranch_vccnz .LBB85_301
; %bb.300:
	scratch_load_dwordx2 v[48:49], v19, off
	ds_read_b64 v[50:51], v1
	s_waitcnt vmcnt(0) lgkmcnt(0)
	v_mul_f64 v[48:49], v[48:49], v[50:51]
	s_cbranch_execz .LBB85_302
	s_branch .LBB85_303
.LBB85_301:
                                        ; implicit-def: $vgpr48_vgpr49
.LBB85_302:
	ds_read_b64 v[48:49], v1
.LBB85_303:
	v_cmp_ne_u32_e32 vcc, 10, v0
	s_and_saveexec_b64 s[4:5], vcc
	s_cbranch_execz .LBB85_307
; %bb.304:
	s_mov_b32 s6, 0
	v_add_u32_e32 v50, 0xb8, v18
	v_add3_u32 v51, v18, s6, 8
	s_mov_b64 s[6:7], 0
	v_mov_b32_e32 v52, v0
.LBB85_305:                             ; =>This Inner Loop Header: Depth=1
	scratch_load_dwordx2 v[54:55], v51, off
	ds_read_b64 v[56:57], v50
	v_add_u32_e32 v52, 1, v52
	v_cmp_lt_u32_e32 vcc, 9, v52
	v_add_u32_e32 v50, 8, v50
	v_add_u32_e32 v51, 8, v51
	s_or_b64 s[6:7], vcc, s[6:7]
	s_waitcnt vmcnt(0) lgkmcnt(0)
	v_fmac_f64_e32 v[48:49], v[54:55], v[56:57]
	s_andn2_b64 exec, exec, s[6:7]
	s_cbranch_execnz .LBB85_305
; %bb.306:
	s_or_b64 exec, exec, s[6:7]
.LBB85_307:
	s_or_b64 exec, exec, s[4:5]
	v_mov_b32_e32 v50, 0
	ds_read_b64 v[50:51], v50 offset:88
	s_waitcnt lgkmcnt(0)
	v_mul_f64 v[48:49], v[48:49], v[50:51]
	scratch_store_dwordx2 off, v[48:49], off offset:88
.LBB85_308:
	s_or_b64 exec, exec, s[2:3]
	scratch_load_dwordx2 v[48:49], off, off offset:96
	v_cmp_gt_u32_e32 vcc, 12, v0
	s_waitcnt vmcnt(0)
	ds_write_b64 v1, v[48:49]
	s_waitcnt lgkmcnt(0)
	; wave barrier
	s_and_saveexec_b64 s[2:3], vcc
	s_cbranch_execz .LBB85_318
; %bb.309:
	s_and_b64 vcc, exec, s[0:1]
	s_cbranch_vccnz .LBB85_311
; %bb.310:
	scratch_load_dwordx2 v[48:49], v19, off
	ds_read_b64 v[50:51], v1
	s_waitcnt vmcnt(0) lgkmcnt(0)
	v_mul_f64 v[48:49], v[48:49], v[50:51]
	s_cbranch_execz .LBB85_312
	s_branch .LBB85_313
.LBB85_311:
                                        ; implicit-def: $vgpr48_vgpr49
.LBB85_312:
	ds_read_b64 v[48:49], v1
.LBB85_313:
	v_cmp_ne_u32_e32 vcc, 11, v0
	s_and_saveexec_b64 s[4:5], vcc
	s_cbranch_execz .LBB85_317
; %bb.314:
	s_mov_b32 s6, 0
	v_add_u32_e32 v50, 0xb8, v18
	v_add3_u32 v51, v18, s6, 8
	s_mov_b64 s[6:7], 0
	v_mov_b32_e32 v52, v0
.LBB85_315:                             ; =>This Inner Loop Header: Depth=1
	scratch_load_dwordx2 v[54:55], v51, off
	ds_read_b64 v[56:57], v50
	v_add_u32_e32 v52, 1, v52
	v_cmp_lt_u32_e32 vcc, 10, v52
	v_add_u32_e32 v50, 8, v50
	v_add_u32_e32 v51, 8, v51
	s_or_b64 s[6:7], vcc, s[6:7]
	s_waitcnt vmcnt(0) lgkmcnt(0)
	v_fmac_f64_e32 v[48:49], v[54:55], v[56:57]
	s_andn2_b64 exec, exec, s[6:7]
	s_cbranch_execnz .LBB85_315
; %bb.316:
	s_or_b64 exec, exec, s[6:7]
.LBB85_317:
	s_or_b64 exec, exec, s[4:5]
	v_mov_b32_e32 v50, 0
	ds_read_b64 v[50:51], v50 offset:96
	s_waitcnt lgkmcnt(0)
	v_mul_f64 v[48:49], v[48:49], v[50:51]
	scratch_store_dwordx2 off, v[48:49], off offset:96
.LBB85_318:
	s_or_b64 exec, exec, s[2:3]
	scratch_load_dwordx2 v[48:49], off, off offset:104
	v_cmp_gt_u32_e32 vcc, 13, v0
	s_waitcnt vmcnt(0)
	ds_write_b64 v1, v[48:49]
	s_waitcnt lgkmcnt(0)
	; wave barrier
	s_and_saveexec_b64 s[2:3], vcc
	s_cbranch_execz .LBB85_328
; %bb.319:
	s_and_b64 vcc, exec, s[0:1]
	s_cbranch_vccnz .LBB85_321
; %bb.320:
	scratch_load_dwordx2 v[48:49], v19, off
	ds_read_b64 v[50:51], v1
	s_waitcnt vmcnt(0) lgkmcnt(0)
	v_mul_f64 v[48:49], v[48:49], v[50:51]
	s_cbranch_execz .LBB85_322
	s_branch .LBB85_323
.LBB85_321:
                                        ; implicit-def: $vgpr48_vgpr49
.LBB85_322:
	ds_read_b64 v[48:49], v1
.LBB85_323:
	v_cmp_ne_u32_e32 vcc, 12, v0
	s_and_saveexec_b64 s[4:5], vcc
	s_cbranch_execz .LBB85_327
; %bb.324:
	s_mov_b32 s6, 0
	v_add_u32_e32 v50, 0xb8, v18
	v_add3_u32 v51, v18, s6, 8
	s_mov_b64 s[6:7], 0
	v_mov_b32_e32 v52, v0
.LBB85_325:                             ; =>This Inner Loop Header: Depth=1
	scratch_load_dwordx2 v[54:55], v51, off
	ds_read_b64 v[56:57], v50
	v_add_u32_e32 v52, 1, v52
	v_cmp_lt_u32_e32 vcc, 11, v52
	v_add_u32_e32 v50, 8, v50
	v_add_u32_e32 v51, 8, v51
	s_or_b64 s[6:7], vcc, s[6:7]
	s_waitcnt vmcnt(0) lgkmcnt(0)
	v_fmac_f64_e32 v[48:49], v[54:55], v[56:57]
	s_andn2_b64 exec, exec, s[6:7]
	s_cbranch_execnz .LBB85_325
; %bb.326:
	s_or_b64 exec, exec, s[6:7]
.LBB85_327:
	s_or_b64 exec, exec, s[4:5]
	v_mov_b32_e32 v50, 0
	ds_read_b64 v[50:51], v50 offset:104
	s_waitcnt lgkmcnt(0)
	v_mul_f64 v[48:49], v[48:49], v[50:51]
	scratch_store_dwordx2 off, v[48:49], off offset:104
.LBB85_328:
	s_or_b64 exec, exec, s[2:3]
	scratch_load_dwordx2 v[48:49], off, off offset:112
	v_cmp_gt_u32_e32 vcc, 14, v0
	s_waitcnt vmcnt(0)
	ds_write_b64 v1, v[48:49]
	s_waitcnt lgkmcnt(0)
	; wave barrier
	s_and_saveexec_b64 s[2:3], vcc
	s_cbranch_execz .LBB85_338
; %bb.329:
	s_and_b64 vcc, exec, s[0:1]
	s_cbranch_vccnz .LBB85_331
; %bb.330:
	scratch_load_dwordx2 v[48:49], v19, off
	ds_read_b64 v[50:51], v1
	s_waitcnt vmcnt(0) lgkmcnt(0)
	v_mul_f64 v[48:49], v[48:49], v[50:51]
	s_cbranch_execz .LBB85_332
	s_branch .LBB85_333
.LBB85_331:
                                        ; implicit-def: $vgpr48_vgpr49
.LBB85_332:
	ds_read_b64 v[48:49], v1
.LBB85_333:
	v_cmp_ne_u32_e32 vcc, 13, v0
	s_and_saveexec_b64 s[4:5], vcc
	s_cbranch_execz .LBB85_337
; %bb.334:
	s_mov_b32 s6, 0
	v_add_u32_e32 v50, 0xb8, v18
	v_add3_u32 v51, v18, s6, 8
	s_mov_b64 s[6:7], 0
	v_mov_b32_e32 v52, v0
.LBB85_335:                             ; =>This Inner Loop Header: Depth=1
	scratch_load_dwordx2 v[54:55], v51, off
	ds_read_b64 v[56:57], v50
	v_add_u32_e32 v52, 1, v52
	v_cmp_lt_u32_e32 vcc, 12, v52
	v_add_u32_e32 v50, 8, v50
	v_add_u32_e32 v51, 8, v51
	s_or_b64 s[6:7], vcc, s[6:7]
	s_waitcnt vmcnt(0) lgkmcnt(0)
	v_fmac_f64_e32 v[48:49], v[54:55], v[56:57]
	s_andn2_b64 exec, exec, s[6:7]
	s_cbranch_execnz .LBB85_335
; %bb.336:
	s_or_b64 exec, exec, s[6:7]
.LBB85_337:
	s_or_b64 exec, exec, s[4:5]
	v_mov_b32_e32 v50, 0
	ds_read_b64 v[50:51], v50 offset:112
	s_waitcnt lgkmcnt(0)
	v_mul_f64 v[48:49], v[48:49], v[50:51]
	scratch_store_dwordx2 off, v[48:49], off offset:112
.LBB85_338:
	s_or_b64 exec, exec, s[2:3]
	scratch_load_dwordx2 v[48:49], off, off offset:120
	v_cmp_gt_u32_e32 vcc, 15, v0
	s_waitcnt vmcnt(0)
	ds_write_b64 v1, v[48:49]
	s_waitcnt lgkmcnt(0)
	; wave barrier
	s_and_saveexec_b64 s[2:3], vcc
	s_cbranch_execz .LBB85_348
; %bb.339:
	s_and_b64 vcc, exec, s[0:1]
	s_cbranch_vccnz .LBB85_341
; %bb.340:
	scratch_load_dwordx2 v[48:49], v19, off
	ds_read_b64 v[50:51], v1
	s_waitcnt vmcnt(0) lgkmcnt(0)
	v_mul_f64 v[48:49], v[48:49], v[50:51]
	s_cbranch_execz .LBB85_342
	s_branch .LBB85_343
.LBB85_341:
                                        ; implicit-def: $vgpr48_vgpr49
.LBB85_342:
	ds_read_b64 v[48:49], v1
.LBB85_343:
	v_cmp_ne_u32_e32 vcc, 14, v0
	s_and_saveexec_b64 s[4:5], vcc
	s_cbranch_execz .LBB85_347
; %bb.344:
	s_mov_b32 s6, 0
	v_add_u32_e32 v50, 0xb8, v18
	v_add3_u32 v51, v18, s6, 8
	s_mov_b64 s[6:7], 0
	v_mov_b32_e32 v52, v0
.LBB85_345:                             ; =>This Inner Loop Header: Depth=1
	scratch_load_dwordx2 v[54:55], v51, off
	ds_read_b64 v[56:57], v50
	v_add_u32_e32 v52, 1, v52
	v_cmp_lt_u32_e32 vcc, 13, v52
	v_add_u32_e32 v50, 8, v50
	v_add_u32_e32 v51, 8, v51
	s_or_b64 s[6:7], vcc, s[6:7]
	s_waitcnt vmcnt(0) lgkmcnt(0)
	v_fmac_f64_e32 v[48:49], v[54:55], v[56:57]
	s_andn2_b64 exec, exec, s[6:7]
	s_cbranch_execnz .LBB85_345
; %bb.346:
	s_or_b64 exec, exec, s[6:7]
.LBB85_347:
	s_or_b64 exec, exec, s[4:5]
	v_mov_b32_e32 v50, 0
	ds_read_b64 v[50:51], v50 offset:120
	s_waitcnt lgkmcnt(0)
	v_mul_f64 v[48:49], v[48:49], v[50:51]
	scratch_store_dwordx2 off, v[48:49], off offset:120
.LBB85_348:
	s_or_b64 exec, exec, s[2:3]
	scratch_load_dwordx2 v[48:49], off, off offset:128
	v_cmp_gt_u32_e32 vcc, 16, v0
	s_waitcnt vmcnt(0)
	ds_write_b64 v1, v[48:49]
	s_waitcnt lgkmcnt(0)
	; wave barrier
	s_and_saveexec_b64 s[2:3], vcc
	s_cbranch_execz .LBB85_358
; %bb.349:
	s_and_b64 vcc, exec, s[0:1]
	s_cbranch_vccnz .LBB85_351
; %bb.350:
	scratch_load_dwordx2 v[48:49], v19, off
	ds_read_b64 v[50:51], v1
	s_waitcnt vmcnt(0) lgkmcnt(0)
	v_mul_f64 v[48:49], v[48:49], v[50:51]
	s_cbranch_execz .LBB85_352
	s_branch .LBB85_353
.LBB85_351:
                                        ; implicit-def: $vgpr48_vgpr49
.LBB85_352:
	ds_read_b64 v[48:49], v1
.LBB85_353:
	v_cmp_ne_u32_e32 vcc, 15, v0
	s_and_saveexec_b64 s[4:5], vcc
	s_cbranch_execz .LBB85_357
; %bb.354:
	s_mov_b32 s6, 0
	v_add_u32_e32 v50, 0xb8, v18
	v_add3_u32 v51, v18, s6, 8
	s_mov_b64 s[6:7], 0
	v_mov_b32_e32 v52, v0
.LBB85_355:                             ; =>This Inner Loop Header: Depth=1
	scratch_load_dwordx2 v[54:55], v51, off
	ds_read_b64 v[56:57], v50
	v_add_u32_e32 v52, 1, v52
	v_cmp_lt_u32_e32 vcc, 14, v52
	v_add_u32_e32 v50, 8, v50
	v_add_u32_e32 v51, 8, v51
	s_or_b64 s[6:7], vcc, s[6:7]
	s_waitcnt vmcnt(0) lgkmcnt(0)
	v_fmac_f64_e32 v[48:49], v[54:55], v[56:57]
	s_andn2_b64 exec, exec, s[6:7]
	s_cbranch_execnz .LBB85_355
; %bb.356:
	s_or_b64 exec, exec, s[6:7]
.LBB85_357:
	s_or_b64 exec, exec, s[4:5]
	v_mov_b32_e32 v50, 0
	ds_read_b64 v[50:51], v50 offset:128
	s_waitcnt lgkmcnt(0)
	v_mul_f64 v[48:49], v[48:49], v[50:51]
	scratch_store_dwordx2 off, v[48:49], off offset:128
.LBB85_358:
	s_or_b64 exec, exec, s[2:3]
	scratch_load_dwordx2 v[48:49], off, off offset:136
	v_cmp_gt_u32_e32 vcc, 17, v0
	s_waitcnt vmcnt(0)
	ds_write_b64 v1, v[48:49]
	s_waitcnt lgkmcnt(0)
	; wave barrier
	s_and_saveexec_b64 s[2:3], vcc
	s_cbranch_execz .LBB85_368
; %bb.359:
	s_and_b64 vcc, exec, s[0:1]
	s_cbranch_vccnz .LBB85_361
; %bb.360:
	scratch_load_dwordx2 v[48:49], v19, off
	ds_read_b64 v[50:51], v1
	s_waitcnt vmcnt(0) lgkmcnt(0)
	v_mul_f64 v[48:49], v[48:49], v[50:51]
	s_cbranch_execz .LBB85_362
	s_branch .LBB85_363
.LBB85_361:
                                        ; implicit-def: $vgpr48_vgpr49
.LBB85_362:
	ds_read_b64 v[48:49], v1
.LBB85_363:
	v_cmp_ne_u32_e32 vcc, 16, v0
	s_and_saveexec_b64 s[4:5], vcc
	s_cbranch_execz .LBB85_367
; %bb.364:
	s_mov_b32 s6, 0
	v_add_u32_e32 v50, 0xb8, v18
	v_add3_u32 v51, v18, s6, 8
	s_mov_b64 s[6:7], 0
	v_mov_b32_e32 v52, v0
.LBB85_365:                             ; =>This Inner Loop Header: Depth=1
	scratch_load_dwordx2 v[54:55], v51, off
	ds_read_b64 v[56:57], v50
	v_add_u32_e32 v52, 1, v52
	v_cmp_lt_u32_e32 vcc, 15, v52
	v_add_u32_e32 v50, 8, v50
	v_add_u32_e32 v51, 8, v51
	s_or_b64 s[6:7], vcc, s[6:7]
	s_waitcnt vmcnt(0) lgkmcnt(0)
	v_fmac_f64_e32 v[48:49], v[54:55], v[56:57]
	s_andn2_b64 exec, exec, s[6:7]
	s_cbranch_execnz .LBB85_365
; %bb.366:
	s_or_b64 exec, exec, s[6:7]
.LBB85_367:
	s_or_b64 exec, exec, s[4:5]
	v_mov_b32_e32 v50, 0
	ds_read_b64 v[50:51], v50 offset:136
	s_waitcnt lgkmcnt(0)
	v_mul_f64 v[48:49], v[48:49], v[50:51]
	scratch_store_dwordx2 off, v[48:49], off offset:136
.LBB85_368:
	s_or_b64 exec, exec, s[2:3]
	scratch_load_dwordx2 v[48:49], off, off offset:144
	v_cmp_gt_u32_e32 vcc, 18, v0
	s_waitcnt vmcnt(0)
	ds_write_b64 v1, v[48:49]
	s_waitcnt lgkmcnt(0)
	; wave barrier
	s_and_saveexec_b64 s[2:3], vcc
	s_cbranch_execz .LBB85_378
; %bb.369:
	s_and_b64 vcc, exec, s[0:1]
	s_cbranch_vccnz .LBB85_371
; %bb.370:
	scratch_load_dwordx2 v[48:49], v19, off
	ds_read_b64 v[50:51], v1
	s_waitcnt vmcnt(0) lgkmcnt(0)
	v_mul_f64 v[48:49], v[48:49], v[50:51]
	s_cbranch_execz .LBB85_372
	s_branch .LBB85_373
.LBB85_371:
                                        ; implicit-def: $vgpr48_vgpr49
.LBB85_372:
	ds_read_b64 v[48:49], v1
.LBB85_373:
	v_cmp_ne_u32_e32 vcc, 17, v0
	s_and_saveexec_b64 s[4:5], vcc
	s_cbranch_execz .LBB85_377
; %bb.374:
	s_mov_b32 s6, 0
	v_add_u32_e32 v50, 0xb8, v18
	v_add3_u32 v51, v18, s6, 8
	s_mov_b64 s[6:7], 0
	v_mov_b32_e32 v52, v0
.LBB85_375:                             ; =>This Inner Loop Header: Depth=1
	scratch_load_dwordx2 v[54:55], v51, off
	ds_read_b64 v[56:57], v50
	v_add_u32_e32 v52, 1, v52
	v_cmp_lt_u32_e32 vcc, 16, v52
	v_add_u32_e32 v50, 8, v50
	v_add_u32_e32 v51, 8, v51
	s_or_b64 s[6:7], vcc, s[6:7]
	s_waitcnt vmcnt(0) lgkmcnt(0)
	v_fmac_f64_e32 v[48:49], v[54:55], v[56:57]
	s_andn2_b64 exec, exec, s[6:7]
	s_cbranch_execnz .LBB85_375
; %bb.376:
	s_or_b64 exec, exec, s[6:7]
.LBB85_377:
	s_or_b64 exec, exec, s[4:5]
	v_mov_b32_e32 v50, 0
	ds_read_b64 v[50:51], v50 offset:144
	s_waitcnt lgkmcnt(0)
	v_mul_f64 v[48:49], v[48:49], v[50:51]
	scratch_store_dwordx2 off, v[48:49], off offset:144
.LBB85_378:
	s_or_b64 exec, exec, s[2:3]
	scratch_load_dwordx2 v[48:49], off, off offset:152
	v_cmp_gt_u32_e32 vcc, 19, v0
	s_waitcnt vmcnt(0)
	ds_write_b64 v1, v[48:49]
	s_waitcnt lgkmcnt(0)
	; wave barrier
	s_and_saveexec_b64 s[2:3], vcc
	s_cbranch_execz .LBB85_388
; %bb.379:
	s_and_b64 vcc, exec, s[0:1]
	s_cbranch_vccnz .LBB85_381
; %bb.380:
	scratch_load_dwordx2 v[48:49], v19, off
	ds_read_b64 v[50:51], v1
	s_waitcnt vmcnt(0) lgkmcnt(0)
	v_mul_f64 v[48:49], v[48:49], v[50:51]
	s_cbranch_execz .LBB85_382
	s_branch .LBB85_383
.LBB85_381:
                                        ; implicit-def: $vgpr48_vgpr49
.LBB85_382:
	ds_read_b64 v[48:49], v1
.LBB85_383:
	v_cmp_ne_u32_e32 vcc, 18, v0
	s_and_saveexec_b64 s[4:5], vcc
	s_cbranch_execz .LBB85_387
; %bb.384:
	s_mov_b32 s6, 0
	v_add_u32_e32 v50, 0xb8, v18
	v_add3_u32 v51, v18, s6, 8
	s_mov_b64 s[6:7], 0
	v_mov_b32_e32 v52, v0
.LBB85_385:                             ; =>This Inner Loop Header: Depth=1
	scratch_load_dwordx2 v[54:55], v51, off
	ds_read_b64 v[56:57], v50
	v_add_u32_e32 v52, 1, v52
	v_cmp_lt_u32_e32 vcc, 17, v52
	v_add_u32_e32 v50, 8, v50
	v_add_u32_e32 v51, 8, v51
	s_or_b64 s[6:7], vcc, s[6:7]
	s_waitcnt vmcnt(0) lgkmcnt(0)
	v_fmac_f64_e32 v[48:49], v[54:55], v[56:57]
	s_andn2_b64 exec, exec, s[6:7]
	s_cbranch_execnz .LBB85_385
; %bb.386:
	s_or_b64 exec, exec, s[6:7]
.LBB85_387:
	s_or_b64 exec, exec, s[4:5]
	v_mov_b32_e32 v50, 0
	ds_read_b64 v[50:51], v50 offset:152
	s_waitcnt lgkmcnt(0)
	v_mul_f64 v[48:49], v[48:49], v[50:51]
	scratch_store_dwordx2 off, v[48:49], off offset:152
.LBB85_388:
	s_or_b64 exec, exec, s[2:3]
	scratch_load_dwordx2 v[48:49], off, off offset:160
	v_cmp_gt_u32_e64 s[2:3], 20, v0
	s_waitcnt vmcnt(0)
	ds_write_b64 v1, v[48:49]
	s_waitcnt lgkmcnt(0)
	; wave barrier
	s_and_saveexec_b64 s[4:5], s[2:3]
	s_cbranch_execz .LBB85_398
; %bb.389:
	s_and_b64 vcc, exec, s[0:1]
	s_cbranch_vccnz .LBB85_391
; %bb.390:
	scratch_load_dwordx2 v[48:49], v19, off
	ds_read_b64 v[50:51], v1
	s_waitcnt vmcnt(0) lgkmcnt(0)
	v_mul_f64 v[48:49], v[48:49], v[50:51]
	s_cbranch_execz .LBB85_392
	s_branch .LBB85_393
.LBB85_391:
                                        ; implicit-def: $vgpr48_vgpr49
.LBB85_392:
	ds_read_b64 v[48:49], v1
.LBB85_393:
	v_cmp_ne_u32_e32 vcc, 19, v0
	s_and_saveexec_b64 s[6:7], vcc
	s_cbranch_execz .LBB85_397
; %bb.394:
	s_mov_b32 s8, 0
	v_add_u32_e32 v50, 0xb8, v18
	v_add3_u32 v51, v18, s8, 8
	s_mov_b64 s[8:9], 0
	v_mov_b32_e32 v52, v0
.LBB85_395:                             ; =>This Inner Loop Header: Depth=1
	scratch_load_dwordx2 v[54:55], v51, off
	ds_read_b64 v[56:57], v50
	v_add_u32_e32 v52, 1, v52
	v_cmp_lt_u32_e32 vcc, 18, v52
	v_add_u32_e32 v50, 8, v50
	v_add_u32_e32 v51, 8, v51
	s_or_b64 s[8:9], vcc, s[8:9]
	s_waitcnt vmcnt(0) lgkmcnt(0)
	v_fmac_f64_e32 v[48:49], v[54:55], v[56:57]
	s_andn2_b64 exec, exec, s[8:9]
	s_cbranch_execnz .LBB85_395
; %bb.396:
	s_or_b64 exec, exec, s[8:9]
.LBB85_397:
	s_or_b64 exec, exec, s[6:7]
	v_mov_b32_e32 v50, 0
	ds_read_b64 v[50:51], v50 offset:160
	s_waitcnt lgkmcnt(0)
	v_mul_f64 v[48:49], v[48:49], v[50:51]
	scratch_store_dwordx2 off, v[48:49], off offset:160
.LBB85_398:
	s_or_b64 exec, exec, s[4:5]
	scratch_load_dwordx2 v[48:49], off, off offset:168
	v_cmp_ne_u32_e32 vcc, 21, v0
	s_waitcnt vmcnt(0)
	ds_write_b64 v1, v[48:49]
	s_waitcnt lgkmcnt(0)
	; wave barrier
	s_and_saveexec_b64 s[4:5], vcc
	s_cbranch_execz .LBB85_408
; %bb.399:
	s_and_b64 vcc, exec, s[0:1]
	s_cbranch_vccnz .LBB85_401
; %bb.400:
	scratch_load_dwordx2 v[48:49], v19, off
	ds_read_b64 v[50:51], v1
	s_waitcnt vmcnt(0) lgkmcnt(0)
	v_mul_f64 v[48:49], v[48:49], v[50:51]
	s_cbranch_execz .LBB85_402
	s_branch .LBB85_403
.LBB85_401:
                                        ; implicit-def: $vgpr48_vgpr49
.LBB85_402:
	ds_read_b64 v[48:49], v1
.LBB85_403:
	s_and_saveexec_b64 s[0:1], s[2:3]
	s_cbranch_execz .LBB85_407
; %bb.404:
	s_mov_b32 s2, 0
	v_add_u32_e32 v1, 0xb8, v18
	v_add3_u32 v18, v18, s2, 8
	s_mov_b64 s[2:3], 0
.LBB85_405:                             ; =>This Inner Loop Header: Depth=1
	scratch_load_dwordx2 v[50:51], v18, off
	ds_read_b64 v[52:53], v1
	v_add_u32_e32 v0, 1, v0
	v_cmp_lt_u32_e32 vcc, 19, v0
	v_add_u32_e32 v1, 8, v1
	v_add_u32_e32 v18, 8, v18
	s_or_b64 s[2:3], vcc, s[2:3]
	s_waitcnt vmcnt(0) lgkmcnt(0)
	v_fmac_f64_e32 v[48:49], v[50:51], v[52:53]
	s_andn2_b64 exec, exec, s[2:3]
	s_cbranch_execnz .LBB85_405
; %bb.406:
	s_or_b64 exec, exec, s[2:3]
.LBB85_407:
	s_or_b64 exec, exec, s[0:1]
	v_mov_b32_e32 v0, 0
	ds_read_b64 v[0:1], v0 offset:168
	s_waitcnt lgkmcnt(0)
	v_mul_f64 v[0:1], v[48:49], v[0:1]
	scratch_store_dwordx2 off, v[0:1], off offset:168
.LBB85_408:
	s_or_b64 exec, exec, s[4:5]
.LBB85_409:
	scratch_load_dwordx2 v[0:1], off, off
	s_waitcnt vmcnt(0)
	flat_store_dwordx2 v[2:3], v[0:1]
	scratch_load_dwordx2 v[0:1], off, off offset:8
	s_waitcnt vmcnt(0)
	flat_store_dwordx2 v[4:5], v[0:1]
	scratch_load_dwordx2 v[0:1], off, off offset:16
	;; [unrolled: 3-line block ×21, first 2 shown]
	s_waitcnt vmcnt(0)
	flat_store_dwordx2 v[46:47], v[0:1]
.LBB85_410:
	s_endpgm
	.section	.rodata,"a",@progbits
	.p2align	6, 0x0
	.amdhsa_kernel _ZN9rocsolver6v33100L18trti2_kernel_smallILi22EdPKPdEEv13rocblas_fill_17rocblas_diagonal_T1_iil
		.amdhsa_group_segment_fixed_size 352
		.amdhsa_private_segment_fixed_size 192
		.amdhsa_kernarg_size 32
		.amdhsa_user_sgpr_count 2
		.amdhsa_user_sgpr_dispatch_ptr 0
		.amdhsa_user_sgpr_queue_ptr 0
		.amdhsa_user_sgpr_kernarg_segment_ptr 1
		.amdhsa_user_sgpr_dispatch_id 0
		.amdhsa_user_sgpr_kernarg_preload_length 0
		.amdhsa_user_sgpr_kernarg_preload_offset 0
		.amdhsa_user_sgpr_private_segment_size 0
		.amdhsa_uses_dynamic_stack 0
		.amdhsa_enable_private_segment 1
		.amdhsa_system_sgpr_workgroup_id_x 1
		.amdhsa_system_sgpr_workgroup_id_y 0
		.amdhsa_system_sgpr_workgroup_id_z 0
		.amdhsa_system_sgpr_workgroup_info 0
		.amdhsa_system_vgpr_workitem_id 0
		.amdhsa_next_free_vgpr 58
		.amdhsa_next_free_sgpr 30
		.amdhsa_accum_offset 60
		.amdhsa_reserve_vcc 1
		.amdhsa_float_round_mode_32 0
		.amdhsa_float_round_mode_16_64 0
		.amdhsa_float_denorm_mode_32 3
		.amdhsa_float_denorm_mode_16_64 3
		.amdhsa_dx10_clamp 1
		.amdhsa_ieee_mode 1
		.amdhsa_fp16_overflow 0
		.amdhsa_tg_split 0
		.amdhsa_exception_fp_ieee_invalid_op 0
		.amdhsa_exception_fp_denorm_src 0
		.amdhsa_exception_fp_ieee_div_zero 0
		.amdhsa_exception_fp_ieee_overflow 0
		.amdhsa_exception_fp_ieee_underflow 0
		.amdhsa_exception_fp_ieee_inexact 0
		.amdhsa_exception_int_div_zero 0
	.end_amdhsa_kernel
	.section	.text._ZN9rocsolver6v33100L18trti2_kernel_smallILi22EdPKPdEEv13rocblas_fill_17rocblas_diagonal_T1_iil,"axG",@progbits,_ZN9rocsolver6v33100L18trti2_kernel_smallILi22EdPKPdEEv13rocblas_fill_17rocblas_diagonal_T1_iil,comdat
.Lfunc_end85:
	.size	_ZN9rocsolver6v33100L18trti2_kernel_smallILi22EdPKPdEEv13rocblas_fill_17rocblas_diagonal_T1_iil, .Lfunc_end85-_ZN9rocsolver6v33100L18trti2_kernel_smallILi22EdPKPdEEv13rocblas_fill_17rocblas_diagonal_T1_iil
                                        ; -- End function
	.set _ZN9rocsolver6v33100L18trti2_kernel_smallILi22EdPKPdEEv13rocblas_fill_17rocblas_diagonal_T1_iil.num_vgpr, 58
	.set _ZN9rocsolver6v33100L18trti2_kernel_smallILi22EdPKPdEEv13rocblas_fill_17rocblas_diagonal_T1_iil.num_agpr, 0
	.set _ZN9rocsolver6v33100L18trti2_kernel_smallILi22EdPKPdEEv13rocblas_fill_17rocblas_diagonal_T1_iil.numbered_sgpr, 30
	.set _ZN9rocsolver6v33100L18trti2_kernel_smallILi22EdPKPdEEv13rocblas_fill_17rocblas_diagonal_T1_iil.num_named_barrier, 0
	.set _ZN9rocsolver6v33100L18trti2_kernel_smallILi22EdPKPdEEv13rocblas_fill_17rocblas_diagonal_T1_iil.private_seg_size, 192
	.set _ZN9rocsolver6v33100L18trti2_kernel_smallILi22EdPKPdEEv13rocblas_fill_17rocblas_diagonal_T1_iil.uses_vcc, 1
	.set _ZN9rocsolver6v33100L18trti2_kernel_smallILi22EdPKPdEEv13rocblas_fill_17rocblas_diagonal_T1_iil.uses_flat_scratch, 0
	.set _ZN9rocsolver6v33100L18trti2_kernel_smallILi22EdPKPdEEv13rocblas_fill_17rocblas_diagonal_T1_iil.has_dyn_sized_stack, 0
	.set _ZN9rocsolver6v33100L18trti2_kernel_smallILi22EdPKPdEEv13rocblas_fill_17rocblas_diagonal_T1_iil.has_recursion, 0
	.set _ZN9rocsolver6v33100L18trti2_kernel_smallILi22EdPKPdEEv13rocblas_fill_17rocblas_diagonal_T1_iil.has_indirect_call, 0
	.section	.AMDGPU.csdata,"",@progbits
; Kernel info:
; codeLenInByte = 10424
; TotalNumSgprs: 36
; NumVgprs: 58
; NumAgprs: 0
; TotalNumVgprs: 58
; ScratchSize: 192
; MemoryBound: 0
; FloatMode: 240
; IeeeMode: 1
; LDSByteSize: 352 bytes/workgroup (compile time only)
; SGPRBlocks: 4
; VGPRBlocks: 7
; NumSGPRsForWavesPerEU: 36
; NumVGPRsForWavesPerEU: 58
; AccumOffset: 60
; Occupancy: 8
; WaveLimiterHint : 1
; COMPUTE_PGM_RSRC2:SCRATCH_EN: 1
; COMPUTE_PGM_RSRC2:USER_SGPR: 2
; COMPUTE_PGM_RSRC2:TRAP_HANDLER: 0
; COMPUTE_PGM_RSRC2:TGID_X_EN: 1
; COMPUTE_PGM_RSRC2:TGID_Y_EN: 0
; COMPUTE_PGM_RSRC2:TGID_Z_EN: 0
; COMPUTE_PGM_RSRC2:TIDIG_COMP_CNT: 0
; COMPUTE_PGM_RSRC3_GFX90A:ACCUM_OFFSET: 14
; COMPUTE_PGM_RSRC3_GFX90A:TG_SPLIT: 0
	.section	.text._ZN9rocsolver6v33100L18trti2_kernel_smallILi23EdPKPdEEv13rocblas_fill_17rocblas_diagonal_T1_iil,"axG",@progbits,_ZN9rocsolver6v33100L18trti2_kernel_smallILi23EdPKPdEEv13rocblas_fill_17rocblas_diagonal_T1_iil,comdat
	.globl	_ZN9rocsolver6v33100L18trti2_kernel_smallILi23EdPKPdEEv13rocblas_fill_17rocblas_diagonal_T1_iil ; -- Begin function _ZN9rocsolver6v33100L18trti2_kernel_smallILi23EdPKPdEEv13rocblas_fill_17rocblas_diagonal_T1_iil
	.p2align	8
	.type	_ZN9rocsolver6v33100L18trti2_kernel_smallILi23EdPKPdEEv13rocblas_fill_17rocblas_diagonal_T1_iil,@function
_ZN9rocsolver6v33100L18trti2_kernel_smallILi23EdPKPdEEv13rocblas_fill_17rocblas_diagonal_T1_iil: ; @_ZN9rocsolver6v33100L18trti2_kernel_smallILi23EdPKPdEEv13rocblas_fill_17rocblas_diagonal_T1_iil
; %bb.0:
	v_cmp_gt_u32_e32 vcc, 23, v0
	s_and_saveexec_b64 s[4:5], vcc
	s_cbranch_execz .LBB86_430
; %bb.1:
	s_load_dwordx2 s[8:9], s[0:1], 0x10
	s_load_dwordx4 s[4:7], s[0:1], 0x0
	s_ashr_i32 s3, s2, 31
	s_lshl_b64 s[0:1], s[2:3], 3
	v_lshlrev_b32_e32 v18, 3, v0
	s_waitcnt lgkmcnt(0)
	s_ashr_i32 s3, s8, 31
	s_add_u32 s0, s6, s0
	s_addc_u32 s1, s7, s1
	s_load_dwordx2 s[0:1], s[0:1], 0x0
	s_mov_b32 s2, s8
	s_lshl_b64 s[2:3], s[2:3], 3
	v_mov_b32_e32 v19, 0
	s_waitcnt lgkmcnt(0)
	s_add_u32 s0, s0, s2
	s_addc_u32 s1, s1, s3
	v_lshl_add_u64 v[2:3], s[0:1], 0, v[18:19]
	flat_load_dwordx2 v[6:7], v[2:3]
	s_mov_b32 s2, s9
	s_ashr_i32 s3, s9, 31
	v_lshl_add_u64 v[4:5], s[2:3], 3, v[2:3]
	s_add_i32 s2, s9, s9
	v_add_u32_e32 v10, s2, v0
	v_ashrrev_i32_e32 v11, 31, v10
	s_cmpk_lg_i32 s5, 0x84
	s_cselect_b64 s[6:7], -1, 0
	s_cmpk_eq_i32 s5, 0x84
	s_waitcnt vmcnt(0) lgkmcnt(0)
	scratch_store_dwordx2 off, v[6:7], off
	flat_load_dwordx2 v[8:9], v[4:5]
	v_lshl_add_u64 v[6:7], v[10:11], 3, s[0:1]
	v_add_u32_e32 v10, s9, v10
	v_ashrrev_i32_e32 v11, 31, v10
	v_add_u32_e32 v14, s9, v10
	v_ashrrev_i32_e32 v15, 31, v14
	s_waitcnt vmcnt(0) lgkmcnt(0)
	scratch_store_dwordx2 off, v[8:9], off offset:8
	flat_load_dwordx2 v[12:13], v[6:7]
	v_lshl_add_u64 v[8:9], v[10:11], 3, s[0:1]
	v_lshl_add_u64 v[10:11], v[14:15], 3, s[0:1]
	v_add_u32_e32 v14, s9, v14
	v_ashrrev_i32_e32 v15, 31, v14
	v_add_u32_e32 v20, s9, v14
	v_ashrrev_i32_e32 v21, 31, v20
	s_waitcnt vmcnt(0) lgkmcnt(0)
	scratch_store_dwordx2 off, v[12:13], off offset:16
	flat_load_dwordx2 v[12:13], v[8:9]
	s_waitcnt vmcnt(0) lgkmcnt(0)
	scratch_store_dwordx2 off, v[12:13], off offset:24
	flat_load_dwordx2 v[16:17], v[10:11]
	v_lshl_add_u64 v[12:13], v[14:15], 3, s[0:1]
	v_lshl_add_u64 v[14:15], v[20:21], 3, s[0:1]
	v_add_u32_e32 v20, s9, v20
	v_ashrrev_i32_e32 v21, 31, v20
	v_add_u32_e32 v24, s9, v20
	v_ashrrev_i32_e32 v25, 31, v24
	s_waitcnt vmcnt(0) lgkmcnt(0)
	scratch_store_dwordx2 off, v[16:17], off offset:32
	flat_load_dwordx2 v[16:17], v[12:13]
	;; [unrolled: 12-line block ×8, first 2 shown]
	s_waitcnt vmcnt(0) lgkmcnt(0)
	scratch_store_dwordx2 off, v[42:43], off offset:136
	flat_load_dwordx2 v[46:47], v[40:41]
	v_lshl_add_u64 v[42:43], v[44:45], 3, s[0:1]
	v_lshl_add_u64 v[44:45], v[48:49], 3, s[0:1]
	v_add_u32_e32 v48, s9, v48
	v_ashrrev_i32_e32 v49, 31, v48
	s_waitcnt vmcnt(0) lgkmcnt(0)
	scratch_store_dwordx2 off, v[46:47], off offset:144
	flat_load_dwordx2 v[46:47], v[42:43]
	s_waitcnt vmcnt(0) lgkmcnt(0)
	scratch_store_dwordx2 off, v[46:47], off offset:152
	flat_load_dwordx2 v[50:51], v[44:45]
	v_lshl_add_u64 v[46:47], v[48:49], 3, s[0:1]
	v_add_u32_e32 v48, s9, v48
	v_ashrrev_i32_e32 v49, 31, v48
	v_lshl_add_u64 v[48:49], v[48:49], 3, s[0:1]
	s_waitcnt vmcnt(0) lgkmcnt(0)
	scratch_store_dwordx2 off, v[50:51], off offset:160
	flat_load_dwordx2 v[50:51], v[46:47]
	s_waitcnt vmcnt(0) lgkmcnt(0)
	scratch_store_dwordx2 off, v[50:51], off offset:168
	flat_load_dwordx2 v[50:51], v[48:49]
	s_waitcnt vmcnt(0) lgkmcnt(0)
	scratch_store_dwordx2 off, v[50:51], off offset:176
	v_mov_b64_e32 v[50:51], -1.0
	s_cbranch_scc1 .LBB86_3
; %bb.2:
	scratch_load_dwordx2 v[50:51], v18, off
	s_waitcnt vmcnt(0)
	v_div_scale_f64 v[52:53], s[0:1], v[50:51], v[50:51], 1.0
	v_rcp_f64_e32 v[54:55], v[52:53]
	v_div_scale_f64 v[56:57], vcc, 1.0, v[50:51], 1.0
	v_fma_f64 v[58:59], -v[52:53], v[54:55], 1.0
	v_fmac_f64_e32 v[54:55], v[54:55], v[58:59]
	v_fma_f64 v[58:59], -v[52:53], v[54:55], 1.0
	v_fmac_f64_e32 v[54:55], v[54:55], v[58:59]
	v_mul_f64 v[58:59], v[56:57], v[54:55]
	v_fma_f64 v[52:53], -v[52:53], v[58:59], v[56:57]
	v_div_fmas_f64 v[52:53], v[52:53], v[54:55], v[58:59]
	v_div_fixup_f64 v[50:51], v[52:53], v[50:51], 1.0
	scratch_store_dwordx2 v18, v[50:51], off
	v_xor_b32_e32 v51, 0x80000000, v51
.LBB86_3:
	s_cmpk_eq_i32 s4, 0x79
	v_add_u32_e32 v1, 0xc0, v18
	v_mov_b32_e32 v19, v18
	s_mov_b64 s[0:1], -1
	ds_write_b64 v18, v[50:51]
	s_cbranch_scc1 .LBB86_217
; %bb.4:
	scratch_load_dwordx2 v[50:51], off, off offset:168
	s_movk_i32 s8, 0x48
	s_movk_i32 s9, 0x50
	;; [unrolled: 1-line block ×12, first 2 shown]
	v_cmp_eq_u32_e64 s[0:1], 22, v0
	s_waitcnt vmcnt(0)
	ds_write_b64 v1, v[50:51]
	s_waitcnt lgkmcnt(0)
	; wave barrier
	s_and_saveexec_b64 s[2:3], s[0:1]
	s_cbranch_execz .LBB86_10
; %bb.5:
	s_and_b64 vcc, exec, s[6:7]
	s_cbranch_vccz .LBB86_7
; %bb.6:
	scratch_load_dwordx2 v[50:51], v19, off
	ds_read_b64 v[52:53], v1
	s_waitcnt vmcnt(0) lgkmcnt(0)
	v_mul_f64 v[50:51], v[50:51], v[52:53]
	s_cbranch_execz .LBB86_8
	s_branch .LBB86_9
.LBB86_7:
                                        ; implicit-def: $vgpr50_vgpr51
.LBB86_8:
	ds_read_b64 v[50:51], v1
.LBB86_9:
	v_mov_b32_e32 v52, 0
	ds_read_b64 v[52:53], v52 offset:168
	s_waitcnt lgkmcnt(0)
	v_mul_f64 v[50:51], v[50:51], v[52:53]
	scratch_store_dwordx2 off, v[50:51], off offset:168
.LBB86_10:
	s_or_b64 exec, exec, s[2:3]
	scratch_load_dwordx2 v[50:51], off, off offset:160
	s_or_b32 s10, 0, 8
	s_mov_b32 s11, 16
	s_mov_b32 s12, 24
	;; [unrolled: 1-line block ×9, first 2 shown]
	v_cmp_lt_u32_e64 s[2:3], 20, v0
	s_waitcnt vmcnt(0)
	ds_write_b64 v1, v[50:51]
	s_waitcnt lgkmcnt(0)
	; wave barrier
	s_and_saveexec_b64 s[4:5], s[2:3]
	s_cbranch_execz .LBB86_16
; %bb.11:
	s_andn2_b64 vcc, exec, s[6:7]
	s_cbranch_vccnz .LBB86_13
; %bb.12:
	scratch_load_dwordx2 v[50:51], v19, off
	ds_read_b64 v[52:53], v1
	s_waitcnt vmcnt(0) lgkmcnt(0)
	v_mul_f64 v[50:51], v[50:51], v[52:53]
	s_cbranch_execz .LBB86_14
	s_branch .LBB86_15
.LBB86_13:
                                        ; implicit-def: $vgpr50_vgpr51
.LBB86_14:
	ds_read_b64 v[50:51], v1
.LBB86_15:
	scratch_load_dwordx2 v[56:57], off, off offset:168
	v_mov_b32_e32 v52, 0
	ds_read2_b64 v[52:55], v52 offset0:20 offset1:45
	s_waitcnt vmcnt(0) lgkmcnt(0)
	v_fma_f64 v[54:55], v[56:57], v[54:55], v[50:51]
	v_cndmask_b32_e64 v51, v51, v55, s[0:1]
	v_cndmask_b32_e64 v50, v50, v54, s[0:1]
	v_mul_f64 v[50:51], v[50:51], v[52:53]
	scratch_store_dwordx2 off, v[50:51], off offset:160
.LBB86_16:
	s_or_b64 exec, exec, s[4:5]
	scratch_load_dwordx2 v[50:51], off, off offset:152
	v_cmp_lt_u32_e64 s[0:1], 19, v0
	s_waitcnt vmcnt(0)
	ds_write_b64 v1, v[50:51]
	s_waitcnt lgkmcnt(0)
	; wave barrier
	s_and_saveexec_b64 s[4:5], s[0:1]
	s_cbranch_execz .LBB86_26
; %bb.17:
	s_andn2_b64 vcc, exec, s[6:7]
	s_cbranch_vccnz .LBB86_19
; %bb.18:
	scratch_load_dwordx2 v[50:51], v19, off
	ds_read_b64 v[52:53], v1
	s_waitcnt vmcnt(0) lgkmcnt(0)
	v_mul_f64 v[50:51], v[50:51], v[52:53]
	s_cbranch_execz .LBB86_20
	s_branch .LBB86_21
.LBB86_19:
                                        ; implicit-def: $vgpr50_vgpr51
.LBB86_20:
	ds_read_b64 v[50:51], v1
.LBB86_21:
	s_and_saveexec_b64 s[8:9], s[2:3]
	s_cbranch_execz .LBB86_25
; %bb.22:
	v_subrev_u32_e32 v52, 20, v0
	s_movk_i32 s30, 0x160
	s_mov_b64 s[2:3], 0
.LBB86_23:                              ; =>This Inner Loop Header: Depth=1
	scratch_load_dwordx2 v[54:55], off, s29
	v_mov_b32_e32 v53, s30
	ds_read_b64 v[56:57], v53
	v_add_u32_e32 v52, -1, v52
	s_add_i32 s30, s30, 8
	s_add_i32 s29, s29, 8
	v_cmp_eq_u32_e32 vcc, 0, v52
	s_or_b64 s[2:3], vcc, s[2:3]
	s_waitcnt vmcnt(0) lgkmcnt(0)
	v_fmac_f64_e32 v[50:51], v[54:55], v[56:57]
	s_andn2_b64 exec, exec, s[2:3]
	s_cbranch_execnz .LBB86_23
; %bb.24:
	s_or_b64 exec, exec, s[2:3]
.LBB86_25:
	s_or_b64 exec, exec, s[8:9]
	v_mov_b32_e32 v52, 0
	ds_read_b64 v[52:53], v52 offset:152
	s_waitcnt lgkmcnt(0)
	v_mul_f64 v[50:51], v[50:51], v[52:53]
	scratch_store_dwordx2 off, v[50:51], off offset:152
.LBB86_26:
	s_or_b64 exec, exec, s[4:5]
	scratch_load_dwordx2 v[50:51], off, off offset:144
	v_cmp_lt_u32_e64 s[2:3], 18, v0
	s_waitcnt vmcnt(0)
	ds_write_b64 v1, v[50:51]
	s_waitcnt lgkmcnt(0)
	; wave barrier
	s_and_saveexec_b64 s[4:5], s[2:3]
	s_cbranch_execz .LBB86_36
; %bb.27:
	s_andn2_b64 vcc, exec, s[6:7]
	s_cbranch_vccnz .LBB86_29
; %bb.28:
	scratch_load_dwordx2 v[50:51], v19, off
	ds_read_b64 v[52:53], v1
	s_waitcnt vmcnt(0) lgkmcnt(0)
	v_mul_f64 v[50:51], v[50:51], v[52:53]
	s_cbranch_execz .LBB86_30
	s_branch .LBB86_31
.LBB86_29:
                                        ; implicit-def: $vgpr50_vgpr51
.LBB86_30:
	ds_read_b64 v[50:51], v1
.LBB86_31:
	s_and_saveexec_b64 s[8:9], s[0:1]
	s_cbranch_execz .LBB86_35
; %bb.32:
	v_subrev_u32_e32 v52, 19, v0
	s_movk_i32 s29, 0x158
	s_mov_b64 s[0:1], 0
.LBB86_33:                              ; =>This Inner Loop Header: Depth=1
	scratch_load_dwordx2 v[54:55], off, s28
	v_mov_b32_e32 v53, s29
	ds_read_b64 v[56:57], v53
	v_add_u32_e32 v52, -1, v52
	s_add_i32 s29, s29, 8
	s_add_i32 s28, s28, 8
	v_cmp_eq_u32_e32 vcc, 0, v52
	s_or_b64 s[0:1], vcc, s[0:1]
	s_waitcnt vmcnt(0) lgkmcnt(0)
	v_fmac_f64_e32 v[50:51], v[54:55], v[56:57]
	s_andn2_b64 exec, exec, s[0:1]
	s_cbranch_execnz .LBB86_33
; %bb.34:
	s_or_b64 exec, exec, s[0:1]
.LBB86_35:
	s_or_b64 exec, exec, s[8:9]
	v_mov_b32_e32 v52, 0
	ds_read_b64 v[52:53], v52 offset:144
	s_waitcnt lgkmcnt(0)
	v_mul_f64 v[50:51], v[50:51], v[52:53]
	scratch_store_dwordx2 off, v[50:51], off offset:144
.LBB86_36:
	;; [unrolled: 53-line block ×4, first 2 shown]
	s_or_b64 exec, exec, s[4:5]
	scratch_load_dwordx2 v[50:51], off, off offset:120
	v_cmp_lt_u32_e64 s[0:1], 15, v0
	s_waitcnt vmcnt(0)
	ds_write_b64 v1, v[50:51]
	s_waitcnt lgkmcnt(0)
	; wave barrier
	s_and_saveexec_b64 s[4:5], s[0:1]
	s_cbranch_execz .LBB86_66
; %bb.57:
	s_andn2_b64 vcc, exec, s[6:7]
	s_cbranch_vccnz .LBB86_59
; %bb.58:
	scratch_load_dwordx2 v[50:51], v19, off
	ds_read_b64 v[52:53], v1
	s_waitcnt vmcnt(0) lgkmcnt(0)
	v_mul_f64 v[50:51], v[50:51], v[52:53]
	s_cbranch_execz .LBB86_60
	s_branch .LBB86_61
.LBB86_59:
                                        ; implicit-def: $vgpr50_vgpr51
.LBB86_60:
	ds_read_b64 v[50:51], v1
.LBB86_61:
	s_and_saveexec_b64 s[8:9], s[2:3]
	s_cbranch_execz .LBB86_65
; %bb.62:
	v_add_u32_e32 v52, -16, v0
	s_movk_i32 s26, 0x140
	s_mov_b64 s[2:3], 0
.LBB86_63:                              ; =>This Inner Loop Header: Depth=1
	scratch_load_dwordx2 v[54:55], off, s25
	v_mov_b32_e32 v53, s26
	ds_read_b64 v[56:57], v53
	v_add_u32_e32 v52, -1, v52
	s_add_i32 s26, s26, 8
	s_add_i32 s25, s25, 8
	v_cmp_eq_u32_e32 vcc, 0, v52
	s_or_b64 s[2:3], vcc, s[2:3]
	s_waitcnt vmcnt(0) lgkmcnt(0)
	v_fmac_f64_e32 v[50:51], v[54:55], v[56:57]
	s_andn2_b64 exec, exec, s[2:3]
	s_cbranch_execnz .LBB86_63
; %bb.64:
	s_or_b64 exec, exec, s[2:3]
.LBB86_65:
	s_or_b64 exec, exec, s[8:9]
	v_mov_b32_e32 v52, 0
	ds_read_b64 v[52:53], v52 offset:120
	s_waitcnt lgkmcnt(0)
	v_mul_f64 v[50:51], v[50:51], v[52:53]
	scratch_store_dwordx2 off, v[50:51], off offset:120
.LBB86_66:
	s_or_b64 exec, exec, s[4:5]
	scratch_load_dwordx2 v[50:51], off, off offset:112
	v_cmp_lt_u32_e64 s[2:3], 14, v0
	s_waitcnt vmcnt(0)
	ds_write_b64 v1, v[50:51]
	s_waitcnt lgkmcnt(0)
	; wave barrier
	s_and_saveexec_b64 s[4:5], s[2:3]
	s_cbranch_execz .LBB86_76
; %bb.67:
	s_andn2_b64 vcc, exec, s[6:7]
	s_cbranch_vccnz .LBB86_69
; %bb.68:
	scratch_load_dwordx2 v[50:51], v19, off
	ds_read_b64 v[52:53], v1
	s_waitcnt vmcnt(0) lgkmcnt(0)
	v_mul_f64 v[50:51], v[50:51], v[52:53]
	s_cbranch_execz .LBB86_70
	s_branch .LBB86_71
.LBB86_69:
                                        ; implicit-def: $vgpr50_vgpr51
.LBB86_70:
	ds_read_b64 v[50:51], v1
.LBB86_71:
	s_and_saveexec_b64 s[8:9], s[0:1]
	s_cbranch_execz .LBB86_75
; %bb.72:
	v_add_u32_e32 v52, -15, v0
	s_movk_i32 s25, 0x138
	s_mov_b64 s[0:1], 0
.LBB86_73:                              ; =>This Inner Loop Header: Depth=1
	scratch_load_dwordx2 v[54:55], off, s24
	v_mov_b32_e32 v53, s25
	ds_read_b64 v[56:57], v53
	v_add_u32_e32 v52, -1, v52
	s_add_i32 s25, s25, 8
	s_add_i32 s24, s24, 8
	v_cmp_eq_u32_e32 vcc, 0, v52
	s_or_b64 s[0:1], vcc, s[0:1]
	s_waitcnt vmcnt(0) lgkmcnt(0)
	v_fmac_f64_e32 v[50:51], v[54:55], v[56:57]
	s_andn2_b64 exec, exec, s[0:1]
	s_cbranch_execnz .LBB86_73
; %bb.74:
	s_or_b64 exec, exec, s[0:1]
.LBB86_75:
	s_or_b64 exec, exec, s[8:9]
	v_mov_b32_e32 v52, 0
	ds_read_b64 v[52:53], v52 offset:112
	s_waitcnt lgkmcnt(0)
	v_mul_f64 v[50:51], v[50:51], v[52:53]
	scratch_store_dwordx2 off, v[50:51], off offset:112
.LBB86_76:
	;; [unrolled: 53-line block ×4, first 2 shown]
	s_or_b64 exec, exec, s[4:5]
	scratch_load_dwordx2 v[50:51], off, off offset:88
	v_cmp_lt_u32_e64 s[0:1], 11, v0
	s_waitcnt vmcnt(0)
	ds_write_b64 v1, v[50:51]
	s_waitcnt lgkmcnt(0)
	; wave barrier
	s_and_saveexec_b64 s[4:5], s[0:1]
	s_cbranch_execz .LBB86_106
; %bb.97:
	s_andn2_b64 vcc, exec, s[6:7]
	s_cbranch_vccnz .LBB86_99
; %bb.98:
	scratch_load_dwordx2 v[50:51], v19, off
	ds_read_b64 v[52:53], v1
	s_waitcnt vmcnt(0) lgkmcnt(0)
	v_mul_f64 v[50:51], v[50:51], v[52:53]
	s_cbranch_execz .LBB86_100
	s_branch .LBB86_101
.LBB86_99:
                                        ; implicit-def: $vgpr50_vgpr51
.LBB86_100:
	ds_read_b64 v[50:51], v1
.LBB86_101:
	s_and_saveexec_b64 s[8:9], s[2:3]
	s_cbranch_execz .LBB86_105
; %bb.102:
	v_add_u32_e32 v52, -12, v0
	s_movk_i32 s22, 0x120
	s_mov_b64 s[2:3], 0
.LBB86_103:                             ; =>This Inner Loop Header: Depth=1
	scratch_load_dwordx2 v[54:55], off, s21
	v_mov_b32_e32 v53, s22
	ds_read_b64 v[56:57], v53
	v_add_u32_e32 v52, -1, v52
	s_add_i32 s22, s22, 8
	s_add_i32 s21, s21, 8
	v_cmp_eq_u32_e32 vcc, 0, v52
	s_or_b64 s[2:3], vcc, s[2:3]
	s_waitcnt vmcnt(0) lgkmcnt(0)
	v_fmac_f64_e32 v[50:51], v[54:55], v[56:57]
	s_andn2_b64 exec, exec, s[2:3]
	s_cbranch_execnz .LBB86_103
; %bb.104:
	s_or_b64 exec, exec, s[2:3]
.LBB86_105:
	s_or_b64 exec, exec, s[8:9]
	v_mov_b32_e32 v52, 0
	ds_read_b64 v[52:53], v52 offset:88
	s_waitcnt lgkmcnt(0)
	v_mul_f64 v[50:51], v[50:51], v[52:53]
	scratch_store_dwordx2 off, v[50:51], off offset:88
.LBB86_106:
	s_or_b64 exec, exec, s[4:5]
	scratch_load_dwordx2 v[50:51], off, off offset:80
	v_cmp_lt_u32_e64 s[2:3], 10, v0
	s_waitcnt vmcnt(0)
	ds_write_b64 v1, v[50:51]
	s_waitcnt lgkmcnt(0)
	; wave barrier
	s_and_saveexec_b64 s[4:5], s[2:3]
	s_cbranch_execz .LBB86_116
; %bb.107:
	s_andn2_b64 vcc, exec, s[6:7]
	s_cbranch_vccnz .LBB86_109
; %bb.108:
	scratch_load_dwordx2 v[50:51], v19, off
	ds_read_b64 v[52:53], v1
	s_waitcnt vmcnt(0) lgkmcnt(0)
	v_mul_f64 v[50:51], v[50:51], v[52:53]
	s_cbranch_execz .LBB86_110
	s_branch .LBB86_111
.LBB86_109:
                                        ; implicit-def: $vgpr50_vgpr51
.LBB86_110:
	ds_read_b64 v[50:51], v1
.LBB86_111:
	s_and_saveexec_b64 s[8:9], s[0:1]
	s_cbranch_execz .LBB86_115
; %bb.112:
	v_add_u32_e32 v52, -11, v0
	s_movk_i32 s21, 0x118
	s_mov_b64 s[0:1], 0
.LBB86_113:                             ; =>This Inner Loop Header: Depth=1
	scratch_load_dwordx2 v[54:55], off, s20
	v_mov_b32_e32 v53, s21
	ds_read_b64 v[56:57], v53
	v_add_u32_e32 v52, -1, v52
	s_add_i32 s21, s21, 8
	s_add_i32 s20, s20, 8
	v_cmp_eq_u32_e32 vcc, 0, v52
	s_or_b64 s[0:1], vcc, s[0:1]
	s_waitcnt vmcnt(0) lgkmcnt(0)
	v_fmac_f64_e32 v[50:51], v[54:55], v[56:57]
	s_andn2_b64 exec, exec, s[0:1]
	s_cbranch_execnz .LBB86_113
; %bb.114:
	s_or_b64 exec, exec, s[0:1]
.LBB86_115:
	s_or_b64 exec, exec, s[8:9]
	v_mov_b32_e32 v52, 0
	ds_read_b64 v[52:53], v52 offset:80
	s_waitcnt lgkmcnt(0)
	v_mul_f64 v[50:51], v[50:51], v[52:53]
	scratch_store_dwordx2 off, v[50:51], off offset:80
.LBB86_116:
	;; [unrolled: 53-line block ×11, first 2 shown]
	s_or_b64 exec, exec, s[4:5]
	scratch_load_dwordx2 v[50:51], off, off
	v_cmp_ne_u32_e32 vcc, 0, v0
	s_waitcnt vmcnt(0)
	ds_write_b64 v1, v[50:51]
	s_waitcnt lgkmcnt(0)
	; wave barrier
	s_and_saveexec_b64 s[2:3], vcc
	s_cbranch_execz .LBB86_216
; %bb.207:
	s_andn2_b64 vcc, exec, s[6:7]
	s_cbranch_vccnz .LBB86_209
; %bb.208:
	scratch_load_dwordx2 v[50:51], v19, off
	ds_read_b64 v[52:53], v1
	s_waitcnt vmcnt(0) lgkmcnt(0)
	v_mul_f64 v[50:51], v[50:51], v[52:53]
	s_cbranch_execz .LBB86_210
	s_branch .LBB86_211
.LBB86_209:
                                        ; implicit-def: $vgpr50_vgpr51
.LBB86_210:
	ds_read_b64 v[50:51], v1
.LBB86_211:
	s_and_saveexec_b64 s[4:5], s[0:1]
	s_cbranch_execz .LBB86_215
; %bb.212:
	v_add_u32_e32 v52, -1, v0
	s_movk_i32 s8, 0xc8
	s_mov_b64 s[0:1], 0
.LBB86_213:                             ; =>This Inner Loop Header: Depth=1
	scratch_load_dwordx2 v[54:55], off, s10
	v_mov_b32_e32 v53, s8
	ds_read_b64 v[56:57], v53
	v_add_u32_e32 v52, -1, v52
	s_add_i32 s8, s8, 8
	s_add_i32 s10, s10, 8
	v_cmp_eq_u32_e32 vcc, 0, v52
	s_or_b64 s[0:1], vcc, s[0:1]
	s_waitcnt vmcnt(0) lgkmcnt(0)
	v_fmac_f64_e32 v[50:51], v[54:55], v[56:57]
	s_andn2_b64 exec, exec, s[0:1]
	s_cbranch_execnz .LBB86_213
; %bb.214:
	s_or_b64 exec, exec, s[0:1]
.LBB86_215:
	s_or_b64 exec, exec, s[4:5]
	v_mov_b32_e32 v52, 0
	ds_read_b64 v[52:53], v52
	s_waitcnt lgkmcnt(0)
	v_mul_f64 v[50:51], v[50:51], v[52:53]
	scratch_store_dwordx2 off, v[50:51], off
.LBB86_216:
	s_or_b64 exec, exec, s[2:3]
	s_mov_b64 s[0:1], 0
.LBB86_217:
	s_and_b64 vcc, exec, s[0:1]
	s_cbranch_vccz .LBB86_429
; %bb.218:
	scratch_load_dwordx2 v[50:51], off, off offset:8
	v_cmp_eq_u32_e64 s[2:3], 0, v0
	s_waitcnt vmcnt(0)
	ds_write_b64 v1, v[50:51]
	s_waitcnt lgkmcnt(0)
	; wave barrier
	s_and_saveexec_b64 s[0:1], s[2:3]
	s_cbranch_execz .LBB86_224
; %bb.219:
	s_and_b64 vcc, exec, s[6:7]
	s_cbranch_vccz .LBB86_221
; %bb.220:
	scratch_load_dwordx2 v[50:51], v19, off
	ds_read_b64 v[52:53], v1
	s_waitcnt vmcnt(0) lgkmcnt(0)
	v_mul_f64 v[50:51], v[50:51], v[52:53]
	s_cbranch_execz .LBB86_222
	s_branch .LBB86_223
.LBB86_221:
                                        ; implicit-def: $vgpr50_vgpr51
.LBB86_222:
	ds_read_b64 v[50:51], v1
.LBB86_223:
	v_mov_b32_e32 v52, 0
	ds_read_b64 v[52:53], v52 offset:8
	s_waitcnt lgkmcnt(0)
	v_mul_f64 v[50:51], v[50:51], v[52:53]
	scratch_store_dwordx2 off, v[50:51], off offset:8
.LBB86_224:
	s_or_b64 exec, exec, s[0:1]
	scratch_load_dwordx2 v[50:51], off, off offset:16
	v_cndmask_b32_e64 v52, 0, 1, s[6:7]
	v_cmp_gt_u32_e32 vcc, 2, v0
	v_cmp_ne_u32_e64 s[0:1], 1, v52
	s_waitcnt vmcnt(0)
	ds_write_b64 v1, v[50:51]
	s_waitcnt lgkmcnt(0)
	; wave barrier
	s_and_saveexec_b64 s[4:5], vcc
	s_cbranch_execz .LBB86_230
; %bb.225:
	s_and_b64 vcc, exec, s[0:1]
	s_cbranch_vccnz .LBB86_227
; %bb.226:
	scratch_load_dwordx2 v[50:51], v19, off
	ds_read_b64 v[52:53], v1
	s_waitcnt vmcnt(0) lgkmcnt(0)
	v_mul_f64 v[50:51], v[50:51], v[52:53]
	s_cbranch_execz .LBB86_228
	s_branch .LBB86_229
.LBB86_227:
                                        ; implicit-def: $vgpr50_vgpr51
.LBB86_228:
	ds_read_b64 v[50:51], v1
.LBB86_229:
	scratch_load_dwordx2 v[56:57], off, off offset:8
	v_mov_b32_e32 v52, 0
	ds_read2_b64 v[52:55], v52 offset0:2 offset1:25
	s_waitcnt vmcnt(0) lgkmcnt(0)
	v_fma_f64 v[54:55], v[56:57], v[54:55], v[50:51]
	v_cndmask_b32_e64 v51, v51, v55, s[2:3]
	v_cndmask_b32_e64 v50, v50, v54, s[2:3]
	v_mul_f64 v[50:51], v[50:51], v[52:53]
	scratch_store_dwordx2 off, v[50:51], off offset:16
.LBB86_230:
	s_or_b64 exec, exec, s[4:5]
	scratch_load_dwordx2 v[50:51], off, off offset:24
	v_cmp_gt_u32_e32 vcc, 3, v0
	s_waitcnt vmcnt(0)
	ds_write_b64 v1, v[50:51]
	s_waitcnt lgkmcnt(0)
	; wave barrier
	s_and_saveexec_b64 s[4:5], vcc
	s_cbranch_execz .LBB86_238
; %bb.231:
	s_and_b64 vcc, exec, s[0:1]
	s_cbranch_vccnz .LBB86_233
; %bb.232:
	scratch_load_dwordx2 v[50:51], v19, off
	ds_read_b64 v[52:53], v1
	s_waitcnt vmcnt(0) lgkmcnt(0)
	v_mul_f64 v[50:51], v[50:51], v[52:53]
	s_cbranch_execz .LBB86_234
	s_branch .LBB86_235
.LBB86_233:
                                        ; implicit-def: $vgpr50_vgpr51
.LBB86_234:
	ds_read_b64 v[50:51], v1
.LBB86_235:
	v_cmp_ne_u32_e32 vcc, 2, v0
	s_and_saveexec_b64 s[6:7], vcc
	s_cbranch_execz .LBB86_237
; %bb.236:
	scratch_load_dwordx2 v[52:53], v19, off offset:8
	scratch_load_dwordx2 v[54:55], off, off offset:16
	ds_read_b64 v[56:57], v1 offset:8
	v_mov_b32_e32 v58, 0
	ds_read_b64 v[58:59], v58 offset:208
	s_waitcnt vmcnt(1) lgkmcnt(1)
	v_fmac_f64_e32 v[50:51], v[52:53], v[56:57]
	s_waitcnt vmcnt(0) lgkmcnt(0)
	v_fma_f64 v[52:53], v[54:55], v[58:59], v[50:51]
	v_cndmask_b32_e64 v51, v51, v53, s[2:3]
	v_cndmask_b32_e64 v50, v50, v52, s[2:3]
.LBB86_237:
	s_or_b64 exec, exec, s[6:7]
	v_mov_b32_e32 v52, 0
	ds_read_b64 v[52:53], v52 offset:24
	s_waitcnt lgkmcnt(0)
	v_mul_f64 v[50:51], v[50:51], v[52:53]
	scratch_store_dwordx2 off, v[50:51], off offset:24
.LBB86_238:
	s_or_b64 exec, exec, s[4:5]
	scratch_load_dwordx2 v[50:51], off, off offset:32
	v_cmp_gt_u32_e32 vcc, 4, v0
	s_waitcnt vmcnt(0)
	ds_write_b64 v1, v[50:51]
	s_waitcnt lgkmcnt(0)
	; wave barrier
	s_and_saveexec_b64 s[2:3], vcc
	s_cbranch_execz .LBB86_248
; %bb.239:
	s_and_b64 vcc, exec, s[0:1]
	s_cbranch_vccnz .LBB86_241
; %bb.240:
	scratch_load_dwordx2 v[50:51], v19, off
	ds_read_b64 v[52:53], v1
	s_waitcnt vmcnt(0) lgkmcnt(0)
	v_mul_f64 v[50:51], v[50:51], v[52:53]
	s_cbranch_execz .LBB86_242
	s_branch .LBB86_243
.LBB86_241:
                                        ; implicit-def: $vgpr50_vgpr51
.LBB86_242:
	ds_read_b64 v[50:51], v1
.LBB86_243:
	v_cmp_ne_u32_e32 vcc, 3, v0
	s_and_saveexec_b64 s[4:5], vcc
	s_cbranch_execz .LBB86_247
; %bb.244:
	s_mov_b32 s6, 0
	v_add_u32_e32 v52, 0xc8, v18
	v_add3_u32 v53, v18, s6, 8
	s_mov_b64 s[6:7], 0
	v_mov_b32_e32 v54, v0
.LBB86_245:                             ; =>This Inner Loop Header: Depth=1
	scratch_load_dwordx2 v[56:57], v53, off
	ds_read_b64 v[58:59], v52
	v_add_u32_e32 v54, 1, v54
	v_cmp_lt_u32_e32 vcc, 2, v54
	v_add_u32_e32 v52, 8, v52
	v_add_u32_e32 v53, 8, v53
	s_or_b64 s[6:7], vcc, s[6:7]
	s_waitcnt vmcnt(0) lgkmcnt(0)
	v_fmac_f64_e32 v[50:51], v[56:57], v[58:59]
	s_andn2_b64 exec, exec, s[6:7]
	s_cbranch_execnz .LBB86_245
; %bb.246:
	s_or_b64 exec, exec, s[6:7]
.LBB86_247:
	s_or_b64 exec, exec, s[4:5]
	v_mov_b32_e32 v52, 0
	ds_read_b64 v[52:53], v52 offset:32
	s_waitcnt lgkmcnt(0)
	v_mul_f64 v[50:51], v[50:51], v[52:53]
	scratch_store_dwordx2 off, v[50:51], off offset:32
.LBB86_248:
	s_or_b64 exec, exec, s[2:3]
	scratch_load_dwordx2 v[50:51], off, off offset:40
	v_cmp_gt_u32_e32 vcc, 5, v0
	s_waitcnt vmcnt(0)
	ds_write_b64 v1, v[50:51]
	s_waitcnt lgkmcnt(0)
	; wave barrier
	s_and_saveexec_b64 s[2:3], vcc
	s_cbranch_execz .LBB86_258
; %bb.249:
	s_and_b64 vcc, exec, s[0:1]
	s_cbranch_vccnz .LBB86_251
; %bb.250:
	scratch_load_dwordx2 v[50:51], v19, off
	ds_read_b64 v[52:53], v1
	s_waitcnt vmcnt(0) lgkmcnt(0)
	v_mul_f64 v[50:51], v[50:51], v[52:53]
	s_cbranch_execz .LBB86_252
	s_branch .LBB86_253
.LBB86_251:
                                        ; implicit-def: $vgpr50_vgpr51
.LBB86_252:
	ds_read_b64 v[50:51], v1
.LBB86_253:
	v_cmp_ne_u32_e32 vcc, 4, v0
	s_and_saveexec_b64 s[4:5], vcc
	s_cbranch_execz .LBB86_257
; %bb.254:
	s_mov_b32 s6, 0
	v_add_u32_e32 v52, 0xc8, v18
	v_add3_u32 v53, v18, s6, 8
	s_mov_b64 s[6:7], 0
	v_mov_b32_e32 v54, v0
.LBB86_255:                             ; =>This Inner Loop Header: Depth=1
	scratch_load_dwordx2 v[56:57], v53, off
	ds_read_b64 v[58:59], v52
	v_add_u32_e32 v54, 1, v54
	v_cmp_lt_u32_e32 vcc, 3, v54
	v_add_u32_e32 v52, 8, v52
	v_add_u32_e32 v53, 8, v53
	s_or_b64 s[6:7], vcc, s[6:7]
	s_waitcnt vmcnt(0) lgkmcnt(0)
	v_fmac_f64_e32 v[50:51], v[56:57], v[58:59]
	s_andn2_b64 exec, exec, s[6:7]
	s_cbranch_execnz .LBB86_255
; %bb.256:
	s_or_b64 exec, exec, s[6:7]
.LBB86_257:
	s_or_b64 exec, exec, s[4:5]
	v_mov_b32_e32 v52, 0
	ds_read_b64 v[52:53], v52 offset:40
	s_waitcnt lgkmcnt(0)
	v_mul_f64 v[50:51], v[50:51], v[52:53]
	scratch_store_dwordx2 off, v[50:51], off offset:40
.LBB86_258:
	;; [unrolled: 55-line block ×17, first 2 shown]
	s_or_b64 exec, exec, s[2:3]
	scratch_load_dwordx2 v[50:51], off, off offset:168
	v_cmp_gt_u32_e64 s[2:3], 21, v0
	s_waitcnt vmcnt(0)
	ds_write_b64 v1, v[50:51]
	s_waitcnt lgkmcnt(0)
	; wave barrier
	s_and_saveexec_b64 s[4:5], s[2:3]
	s_cbranch_execz .LBB86_418
; %bb.409:
	s_and_b64 vcc, exec, s[0:1]
	s_cbranch_vccnz .LBB86_411
; %bb.410:
	scratch_load_dwordx2 v[50:51], v19, off
	ds_read_b64 v[52:53], v1
	s_waitcnt vmcnt(0) lgkmcnt(0)
	v_mul_f64 v[50:51], v[50:51], v[52:53]
	s_cbranch_execz .LBB86_412
	s_branch .LBB86_413
.LBB86_411:
                                        ; implicit-def: $vgpr50_vgpr51
.LBB86_412:
	ds_read_b64 v[50:51], v1
.LBB86_413:
	v_cmp_ne_u32_e32 vcc, 20, v0
	s_and_saveexec_b64 s[6:7], vcc
	s_cbranch_execz .LBB86_417
; %bb.414:
	s_mov_b32 s8, 0
	v_add_u32_e32 v52, 0xc8, v18
	v_add3_u32 v53, v18, s8, 8
	s_mov_b64 s[8:9], 0
	v_mov_b32_e32 v54, v0
.LBB86_415:                             ; =>This Inner Loop Header: Depth=1
	scratch_load_dwordx2 v[56:57], v53, off
	ds_read_b64 v[58:59], v52
	v_add_u32_e32 v54, 1, v54
	v_cmp_lt_u32_e32 vcc, 19, v54
	v_add_u32_e32 v52, 8, v52
	v_add_u32_e32 v53, 8, v53
	s_or_b64 s[8:9], vcc, s[8:9]
	s_waitcnt vmcnt(0) lgkmcnt(0)
	v_fmac_f64_e32 v[50:51], v[56:57], v[58:59]
	s_andn2_b64 exec, exec, s[8:9]
	s_cbranch_execnz .LBB86_415
; %bb.416:
	s_or_b64 exec, exec, s[8:9]
.LBB86_417:
	s_or_b64 exec, exec, s[6:7]
	v_mov_b32_e32 v52, 0
	ds_read_b64 v[52:53], v52 offset:168
	s_waitcnt lgkmcnt(0)
	v_mul_f64 v[50:51], v[50:51], v[52:53]
	scratch_store_dwordx2 off, v[50:51], off offset:168
.LBB86_418:
	s_or_b64 exec, exec, s[4:5]
	scratch_load_dwordx2 v[50:51], off, off offset:176
	v_cmp_ne_u32_e32 vcc, 22, v0
	s_waitcnt vmcnt(0)
	ds_write_b64 v1, v[50:51]
	s_waitcnt lgkmcnt(0)
	; wave barrier
	s_and_saveexec_b64 s[4:5], vcc
	s_cbranch_execz .LBB86_428
; %bb.419:
	s_and_b64 vcc, exec, s[0:1]
	s_cbranch_vccnz .LBB86_421
; %bb.420:
	scratch_load_dwordx2 v[50:51], v19, off
	ds_read_b64 v[52:53], v1
	s_waitcnt vmcnt(0) lgkmcnt(0)
	v_mul_f64 v[50:51], v[50:51], v[52:53]
	s_cbranch_execz .LBB86_422
	s_branch .LBB86_423
.LBB86_421:
                                        ; implicit-def: $vgpr50_vgpr51
.LBB86_422:
	ds_read_b64 v[50:51], v1
.LBB86_423:
	s_and_saveexec_b64 s[0:1], s[2:3]
	s_cbranch_execz .LBB86_427
; %bb.424:
	s_mov_b32 s2, 0
	v_add_u32_e32 v1, 0xc8, v18
	v_add3_u32 v18, v18, s2, 8
	s_mov_b64 s[2:3], 0
.LBB86_425:                             ; =>This Inner Loop Header: Depth=1
	scratch_load_dwordx2 v[52:53], v18, off
	ds_read_b64 v[54:55], v1
	v_add_u32_e32 v0, 1, v0
	v_cmp_lt_u32_e32 vcc, 20, v0
	v_add_u32_e32 v1, 8, v1
	v_add_u32_e32 v18, 8, v18
	s_or_b64 s[2:3], vcc, s[2:3]
	s_waitcnt vmcnt(0) lgkmcnt(0)
	v_fmac_f64_e32 v[50:51], v[52:53], v[54:55]
	s_andn2_b64 exec, exec, s[2:3]
	s_cbranch_execnz .LBB86_425
; %bb.426:
	s_or_b64 exec, exec, s[2:3]
.LBB86_427:
	s_or_b64 exec, exec, s[0:1]
	v_mov_b32_e32 v0, 0
	ds_read_b64 v[0:1], v0 offset:176
	s_waitcnt lgkmcnt(0)
	v_mul_f64 v[0:1], v[50:51], v[0:1]
	scratch_store_dwordx2 off, v[0:1], off offset:176
.LBB86_428:
	s_or_b64 exec, exec, s[4:5]
.LBB86_429:
	scratch_load_dwordx2 v[0:1], off, off
	s_waitcnt vmcnt(0)
	flat_store_dwordx2 v[2:3], v[0:1]
	scratch_load_dwordx2 v[0:1], off, off offset:8
	s_waitcnt vmcnt(0)
	flat_store_dwordx2 v[4:5], v[0:1]
	scratch_load_dwordx2 v[0:1], off, off offset:16
	;; [unrolled: 3-line block ×22, first 2 shown]
	s_waitcnt vmcnt(0)
	flat_store_dwordx2 v[48:49], v[0:1]
.LBB86_430:
	s_endpgm
	.section	.rodata,"a",@progbits
	.p2align	6, 0x0
	.amdhsa_kernel _ZN9rocsolver6v33100L18trti2_kernel_smallILi23EdPKPdEEv13rocblas_fill_17rocblas_diagonal_T1_iil
		.amdhsa_group_segment_fixed_size 376
		.amdhsa_private_segment_fixed_size 192
		.amdhsa_kernarg_size 32
		.amdhsa_user_sgpr_count 2
		.amdhsa_user_sgpr_dispatch_ptr 0
		.amdhsa_user_sgpr_queue_ptr 0
		.amdhsa_user_sgpr_kernarg_segment_ptr 1
		.amdhsa_user_sgpr_dispatch_id 0
		.amdhsa_user_sgpr_kernarg_preload_length 0
		.amdhsa_user_sgpr_kernarg_preload_offset 0
		.amdhsa_user_sgpr_private_segment_size 0
		.amdhsa_uses_dynamic_stack 0
		.amdhsa_enable_private_segment 1
		.amdhsa_system_sgpr_workgroup_id_x 1
		.amdhsa_system_sgpr_workgroup_id_y 0
		.amdhsa_system_sgpr_workgroup_id_z 0
		.amdhsa_system_sgpr_workgroup_info 0
		.amdhsa_system_vgpr_workitem_id 0
		.amdhsa_next_free_vgpr 60
		.amdhsa_next_free_sgpr 31
		.amdhsa_accum_offset 60
		.amdhsa_reserve_vcc 1
		.amdhsa_float_round_mode_32 0
		.amdhsa_float_round_mode_16_64 0
		.amdhsa_float_denorm_mode_32 3
		.amdhsa_float_denorm_mode_16_64 3
		.amdhsa_dx10_clamp 1
		.amdhsa_ieee_mode 1
		.amdhsa_fp16_overflow 0
		.amdhsa_tg_split 0
		.amdhsa_exception_fp_ieee_invalid_op 0
		.amdhsa_exception_fp_denorm_src 0
		.amdhsa_exception_fp_ieee_div_zero 0
		.amdhsa_exception_fp_ieee_overflow 0
		.amdhsa_exception_fp_ieee_underflow 0
		.amdhsa_exception_fp_ieee_inexact 0
		.amdhsa_exception_int_div_zero 0
	.end_amdhsa_kernel
	.section	.text._ZN9rocsolver6v33100L18trti2_kernel_smallILi23EdPKPdEEv13rocblas_fill_17rocblas_diagonal_T1_iil,"axG",@progbits,_ZN9rocsolver6v33100L18trti2_kernel_smallILi23EdPKPdEEv13rocblas_fill_17rocblas_diagonal_T1_iil,comdat
.Lfunc_end86:
	.size	_ZN9rocsolver6v33100L18trti2_kernel_smallILi23EdPKPdEEv13rocblas_fill_17rocblas_diagonal_T1_iil, .Lfunc_end86-_ZN9rocsolver6v33100L18trti2_kernel_smallILi23EdPKPdEEv13rocblas_fill_17rocblas_diagonal_T1_iil
                                        ; -- End function
	.set _ZN9rocsolver6v33100L18trti2_kernel_smallILi23EdPKPdEEv13rocblas_fill_17rocblas_diagonal_T1_iil.num_vgpr, 60
	.set _ZN9rocsolver6v33100L18trti2_kernel_smallILi23EdPKPdEEv13rocblas_fill_17rocblas_diagonal_T1_iil.num_agpr, 0
	.set _ZN9rocsolver6v33100L18trti2_kernel_smallILi23EdPKPdEEv13rocblas_fill_17rocblas_diagonal_T1_iil.numbered_sgpr, 31
	.set _ZN9rocsolver6v33100L18trti2_kernel_smallILi23EdPKPdEEv13rocblas_fill_17rocblas_diagonal_T1_iil.num_named_barrier, 0
	.set _ZN9rocsolver6v33100L18trti2_kernel_smallILi23EdPKPdEEv13rocblas_fill_17rocblas_diagonal_T1_iil.private_seg_size, 192
	.set _ZN9rocsolver6v33100L18trti2_kernel_smallILi23EdPKPdEEv13rocblas_fill_17rocblas_diagonal_T1_iil.uses_vcc, 1
	.set _ZN9rocsolver6v33100L18trti2_kernel_smallILi23EdPKPdEEv13rocblas_fill_17rocblas_diagonal_T1_iil.uses_flat_scratch, 0
	.set _ZN9rocsolver6v33100L18trti2_kernel_smallILi23EdPKPdEEv13rocblas_fill_17rocblas_diagonal_T1_iil.has_dyn_sized_stack, 0
	.set _ZN9rocsolver6v33100L18trti2_kernel_smallILi23EdPKPdEEv13rocblas_fill_17rocblas_diagonal_T1_iil.has_recursion, 0
	.set _ZN9rocsolver6v33100L18trti2_kernel_smallILi23EdPKPdEEv13rocblas_fill_17rocblas_diagonal_T1_iil.has_indirect_call, 0
	.section	.AMDGPU.csdata,"",@progbits
; Kernel info:
; codeLenInByte = 10920
; TotalNumSgprs: 37
; NumVgprs: 60
; NumAgprs: 0
; TotalNumVgprs: 60
; ScratchSize: 192
; MemoryBound: 0
; FloatMode: 240
; IeeeMode: 1
; LDSByteSize: 376 bytes/workgroup (compile time only)
; SGPRBlocks: 4
; VGPRBlocks: 7
; NumSGPRsForWavesPerEU: 37
; NumVGPRsForWavesPerEU: 60
; AccumOffset: 60
; Occupancy: 8
; WaveLimiterHint : 1
; COMPUTE_PGM_RSRC2:SCRATCH_EN: 1
; COMPUTE_PGM_RSRC2:USER_SGPR: 2
; COMPUTE_PGM_RSRC2:TRAP_HANDLER: 0
; COMPUTE_PGM_RSRC2:TGID_X_EN: 1
; COMPUTE_PGM_RSRC2:TGID_Y_EN: 0
; COMPUTE_PGM_RSRC2:TGID_Z_EN: 0
; COMPUTE_PGM_RSRC2:TIDIG_COMP_CNT: 0
; COMPUTE_PGM_RSRC3_GFX90A:ACCUM_OFFSET: 14
; COMPUTE_PGM_RSRC3_GFX90A:TG_SPLIT: 0
	.section	.text._ZN9rocsolver6v33100L18trti2_kernel_smallILi24EdPKPdEEv13rocblas_fill_17rocblas_diagonal_T1_iil,"axG",@progbits,_ZN9rocsolver6v33100L18trti2_kernel_smallILi24EdPKPdEEv13rocblas_fill_17rocblas_diagonal_T1_iil,comdat
	.globl	_ZN9rocsolver6v33100L18trti2_kernel_smallILi24EdPKPdEEv13rocblas_fill_17rocblas_diagonal_T1_iil ; -- Begin function _ZN9rocsolver6v33100L18trti2_kernel_smallILi24EdPKPdEEv13rocblas_fill_17rocblas_diagonal_T1_iil
	.p2align	8
	.type	_ZN9rocsolver6v33100L18trti2_kernel_smallILi24EdPKPdEEv13rocblas_fill_17rocblas_diagonal_T1_iil,@function
_ZN9rocsolver6v33100L18trti2_kernel_smallILi24EdPKPdEEv13rocblas_fill_17rocblas_diagonal_T1_iil: ; @_ZN9rocsolver6v33100L18trti2_kernel_smallILi24EdPKPdEEv13rocblas_fill_17rocblas_diagonal_T1_iil
; %bb.0:
	v_cmp_gt_u32_e32 vcc, 24, v0
	s_and_saveexec_b64 s[4:5], vcc
	s_cbranch_execz .LBB87_450
; %bb.1:
	s_load_dwordx2 s[8:9], s[0:1], 0x10
	s_load_dwordx4 s[4:7], s[0:1], 0x0
	s_ashr_i32 s3, s2, 31
	s_lshl_b64 s[0:1], s[2:3], 3
	v_lshlrev_b32_e32 v18, 3, v0
	s_waitcnt lgkmcnt(0)
	s_ashr_i32 s3, s8, 31
	s_add_u32 s0, s6, s0
	s_addc_u32 s1, s7, s1
	s_load_dwordx2 s[0:1], s[0:1], 0x0
	s_mov_b32 s2, s8
	s_lshl_b64 s[2:3], s[2:3], 3
	v_mov_b32_e32 v19, 0
	s_waitcnt lgkmcnt(0)
	s_add_u32 s0, s0, s2
	s_addc_u32 s1, s1, s3
	v_lshl_add_u64 v[2:3], s[0:1], 0, v[18:19]
	flat_load_dwordx2 v[6:7], v[2:3]
	s_mov_b32 s2, s9
	s_ashr_i32 s3, s9, 31
	v_lshl_add_u64 v[4:5], s[2:3], 3, v[2:3]
	s_add_i32 s2, s9, s9
	v_add_u32_e32 v10, s2, v0
	v_ashrrev_i32_e32 v11, 31, v10
	s_cmpk_lg_i32 s5, 0x84
	s_cselect_b64 s[6:7], -1, 0
	s_cmpk_eq_i32 s5, 0x84
	s_waitcnt vmcnt(0) lgkmcnt(0)
	scratch_store_dwordx2 off, v[6:7], off
	flat_load_dwordx2 v[8:9], v[4:5]
	v_lshl_add_u64 v[6:7], v[10:11], 3, s[0:1]
	v_add_u32_e32 v10, s9, v10
	v_ashrrev_i32_e32 v11, 31, v10
	v_add_u32_e32 v14, s9, v10
	v_ashrrev_i32_e32 v15, 31, v14
	s_waitcnt vmcnt(0) lgkmcnt(0)
	scratch_store_dwordx2 off, v[8:9], off offset:8
	flat_load_dwordx2 v[12:13], v[6:7]
	v_lshl_add_u64 v[8:9], v[10:11], 3, s[0:1]
	v_lshl_add_u64 v[10:11], v[14:15], 3, s[0:1]
	v_add_u32_e32 v14, s9, v14
	v_ashrrev_i32_e32 v15, 31, v14
	v_add_u32_e32 v20, s9, v14
	v_ashrrev_i32_e32 v21, 31, v20
	s_waitcnt vmcnt(0) lgkmcnt(0)
	scratch_store_dwordx2 off, v[12:13], off offset:16
	flat_load_dwordx2 v[12:13], v[8:9]
	s_waitcnt vmcnt(0) lgkmcnt(0)
	scratch_store_dwordx2 off, v[12:13], off offset:24
	flat_load_dwordx2 v[16:17], v[10:11]
	v_lshl_add_u64 v[12:13], v[14:15], 3, s[0:1]
	v_lshl_add_u64 v[14:15], v[20:21], 3, s[0:1]
	v_add_u32_e32 v20, s9, v20
	v_ashrrev_i32_e32 v21, 31, v20
	v_add_u32_e32 v24, s9, v20
	v_ashrrev_i32_e32 v25, 31, v24
	s_waitcnt vmcnt(0) lgkmcnt(0)
	scratch_store_dwordx2 off, v[16:17], off offset:32
	flat_load_dwordx2 v[16:17], v[12:13]
	;; [unrolled: 12-line block ×9, first 2 shown]
	s_waitcnt vmcnt(0) lgkmcnt(0)
	scratch_store_dwordx2 off, v[46:47], off offset:152
	flat_load_dwordx2 v[50:51], v[44:45]
	v_lshl_add_u64 v[46:47], v[48:49], 3, s[0:1]
	v_lshl_add_u64 v[48:49], v[52:53], 3, s[0:1]
	s_waitcnt vmcnt(0) lgkmcnt(0)
	scratch_store_dwordx2 off, v[50:51], off offset:160
	flat_load_dwordx2 v[50:51], v[46:47]
	s_waitcnt vmcnt(0) lgkmcnt(0)
	scratch_store_dwordx2 off, v[50:51], off offset:168
	flat_load_dwordx2 v[54:55], v[48:49]
	v_add_u32_e32 v50, s9, v52
	v_ashrrev_i32_e32 v51, 31, v50
	v_lshl_add_u64 v[50:51], v[50:51], 3, s[0:1]
	s_waitcnt vmcnt(0) lgkmcnt(0)
	scratch_store_dwordx2 off, v[54:55], off offset:176
	flat_load_dwordx2 v[52:53], v[50:51]
	s_waitcnt vmcnt(0) lgkmcnt(0)
	scratch_store_dwordx2 off, v[52:53], off offset:184
	v_mov_b64_e32 v[52:53], -1.0
	s_cbranch_scc1 .LBB87_3
; %bb.2:
	scratch_load_dwordx2 v[52:53], v18, off
	s_waitcnt vmcnt(0)
	v_div_scale_f64 v[54:55], s[0:1], v[52:53], v[52:53], 1.0
	v_rcp_f64_e32 v[56:57], v[54:55]
	v_div_scale_f64 v[58:59], vcc, 1.0, v[52:53], 1.0
	v_fma_f64 v[60:61], -v[54:55], v[56:57], 1.0
	v_fmac_f64_e32 v[56:57], v[56:57], v[60:61]
	v_fma_f64 v[60:61], -v[54:55], v[56:57], 1.0
	v_fmac_f64_e32 v[56:57], v[56:57], v[60:61]
	v_mul_f64 v[60:61], v[58:59], v[56:57]
	v_fma_f64 v[54:55], -v[54:55], v[60:61], v[58:59]
	v_div_fmas_f64 v[54:55], v[54:55], v[56:57], v[60:61]
	v_div_fixup_f64 v[52:53], v[54:55], v[52:53], 1.0
	scratch_store_dwordx2 v18, v[52:53], off
	v_xor_b32_e32 v53, 0x80000000, v53
.LBB87_3:
	s_cmpk_eq_i32 s4, 0x79
	v_add_u32_e32 v1, 0xc0, v18
	v_mov_b32_e32 v19, v18
	s_mov_b64 s[0:1], -1
	ds_write_b64 v18, v[52:53]
	s_cbranch_scc1 .LBB87_227
; %bb.4:
	scratch_load_dwordx2 v[52:53], off, off offset:176
	s_movk_i32 s8, 0x48
	s_movk_i32 s9, 0x50
	;; [unrolled: 1-line block ×13, first 2 shown]
	v_cmp_eq_u32_e64 s[0:1], 23, v0
	s_waitcnt vmcnt(0)
	ds_write_b64 v1, v[52:53]
	s_waitcnt lgkmcnt(0)
	; wave barrier
	s_and_saveexec_b64 s[2:3], s[0:1]
	s_cbranch_execz .LBB87_10
; %bb.5:
	s_and_b64 vcc, exec, s[6:7]
	s_cbranch_vccz .LBB87_7
; %bb.6:
	scratch_load_dwordx2 v[52:53], v19, off
	ds_read_b64 v[54:55], v1
	s_waitcnt vmcnt(0) lgkmcnt(0)
	v_mul_f64 v[52:53], v[52:53], v[54:55]
	s_cbranch_execz .LBB87_8
	s_branch .LBB87_9
.LBB87_7:
                                        ; implicit-def: $vgpr52_vgpr53
.LBB87_8:
	ds_read_b64 v[52:53], v1
.LBB87_9:
	v_mov_b32_e32 v54, 0
	ds_read_b64 v[54:55], v54 offset:176
	s_waitcnt lgkmcnt(0)
	v_mul_f64 v[52:53], v[52:53], v[54:55]
	scratch_store_dwordx2 off, v[52:53], off offset:176
.LBB87_10:
	s_or_b64 exec, exec, s[2:3]
	scratch_load_dwordx2 v[52:53], off, off offset:168
	s_or_b32 s10, 0, 8
	s_mov_b32 s11, 16
	s_mov_b32 s12, 24
	;; [unrolled: 1-line block ×9, first 2 shown]
	v_cmp_lt_u32_e64 s[2:3], 21, v0
	s_waitcnt vmcnt(0)
	ds_write_b64 v1, v[52:53]
	s_waitcnt lgkmcnt(0)
	; wave barrier
	s_and_saveexec_b64 s[4:5], s[2:3]
	s_cbranch_execz .LBB87_16
; %bb.11:
	s_andn2_b64 vcc, exec, s[6:7]
	s_cbranch_vccnz .LBB87_13
; %bb.12:
	scratch_load_dwordx2 v[52:53], v19, off
	ds_read_b64 v[54:55], v1
	s_waitcnt vmcnt(0) lgkmcnt(0)
	v_mul_f64 v[52:53], v[52:53], v[54:55]
	s_cbranch_execz .LBB87_14
	s_branch .LBB87_15
.LBB87_13:
                                        ; implicit-def: $vgpr52_vgpr53
.LBB87_14:
	ds_read_b64 v[52:53], v1
.LBB87_15:
	scratch_load_dwordx2 v[58:59], off, off offset:176
	v_mov_b32_e32 v54, 0
	ds_read2_b64 v[54:57], v54 offset0:21 offset1:46
	s_waitcnt vmcnt(0) lgkmcnt(0)
	v_fma_f64 v[56:57], v[58:59], v[56:57], v[52:53]
	v_cndmask_b32_e64 v53, v53, v57, s[0:1]
	v_cndmask_b32_e64 v52, v52, v56, s[0:1]
	v_mul_f64 v[52:53], v[52:53], v[54:55]
	scratch_store_dwordx2 off, v[52:53], off offset:168
.LBB87_16:
	s_or_b64 exec, exec, s[4:5]
	scratch_load_dwordx2 v[52:53], off, off offset:160
	v_cmp_lt_u32_e64 s[0:1], 20, v0
	s_waitcnt vmcnt(0)
	ds_write_b64 v1, v[52:53]
	s_waitcnt lgkmcnt(0)
	; wave barrier
	s_and_saveexec_b64 s[4:5], s[0:1]
	s_cbranch_execz .LBB87_26
; %bb.17:
	s_andn2_b64 vcc, exec, s[6:7]
	s_cbranch_vccnz .LBB87_19
; %bb.18:
	scratch_load_dwordx2 v[52:53], v19, off
	ds_read_b64 v[54:55], v1
	s_waitcnt vmcnt(0) lgkmcnt(0)
	v_mul_f64 v[52:53], v[52:53], v[54:55]
	s_cbranch_execz .LBB87_20
	s_branch .LBB87_21
.LBB87_19:
                                        ; implicit-def: $vgpr52_vgpr53
.LBB87_20:
	ds_read_b64 v[52:53], v1
.LBB87_21:
	s_and_saveexec_b64 s[8:9], s[2:3]
	s_cbranch_execz .LBB87_25
; %bb.22:
	v_subrev_u32_e32 v54, 21, v0
	s_movk_i32 s31, 0x168
	s_mov_b64 s[2:3], 0
.LBB87_23:                              ; =>This Inner Loop Header: Depth=1
	scratch_load_dwordx2 v[56:57], off, s30
	v_mov_b32_e32 v55, s31
	ds_read_b64 v[58:59], v55
	v_add_u32_e32 v54, -1, v54
	s_add_i32 s31, s31, 8
	s_add_i32 s30, s30, 8
	v_cmp_eq_u32_e32 vcc, 0, v54
	s_or_b64 s[2:3], vcc, s[2:3]
	s_waitcnt vmcnt(0) lgkmcnt(0)
	v_fmac_f64_e32 v[52:53], v[56:57], v[58:59]
	s_andn2_b64 exec, exec, s[2:3]
	s_cbranch_execnz .LBB87_23
; %bb.24:
	s_or_b64 exec, exec, s[2:3]
.LBB87_25:
	s_or_b64 exec, exec, s[8:9]
	v_mov_b32_e32 v54, 0
	ds_read_b64 v[54:55], v54 offset:160
	s_waitcnt lgkmcnt(0)
	v_mul_f64 v[52:53], v[52:53], v[54:55]
	scratch_store_dwordx2 off, v[52:53], off offset:160
.LBB87_26:
	s_or_b64 exec, exec, s[4:5]
	scratch_load_dwordx2 v[52:53], off, off offset:152
	v_cmp_lt_u32_e64 s[2:3], 19, v0
	s_waitcnt vmcnt(0)
	ds_write_b64 v1, v[52:53]
	s_waitcnt lgkmcnt(0)
	; wave barrier
	s_and_saveexec_b64 s[4:5], s[2:3]
	s_cbranch_execz .LBB87_36
; %bb.27:
	s_andn2_b64 vcc, exec, s[6:7]
	s_cbranch_vccnz .LBB87_29
; %bb.28:
	scratch_load_dwordx2 v[52:53], v19, off
	ds_read_b64 v[54:55], v1
	s_waitcnt vmcnt(0) lgkmcnt(0)
	v_mul_f64 v[52:53], v[52:53], v[54:55]
	s_cbranch_execz .LBB87_30
	s_branch .LBB87_31
.LBB87_29:
                                        ; implicit-def: $vgpr52_vgpr53
.LBB87_30:
	ds_read_b64 v[52:53], v1
.LBB87_31:
	s_and_saveexec_b64 s[8:9], s[0:1]
	s_cbranch_execz .LBB87_35
; %bb.32:
	v_subrev_u32_e32 v54, 20, v0
	s_movk_i32 s30, 0x160
	s_mov_b64 s[0:1], 0
.LBB87_33:                              ; =>This Inner Loop Header: Depth=1
	scratch_load_dwordx2 v[56:57], off, s29
	v_mov_b32_e32 v55, s30
	ds_read_b64 v[58:59], v55
	v_add_u32_e32 v54, -1, v54
	s_add_i32 s30, s30, 8
	s_add_i32 s29, s29, 8
	v_cmp_eq_u32_e32 vcc, 0, v54
	s_or_b64 s[0:1], vcc, s[0:1]
	s_waitcnt vmcnt(0) lgkmcnt(0)
	v_fmac_f64_e32 v[52:53], v[56:57], v[58:59]
	s_andn2_b64 exec, exec, s[0:1]
	s_cbranch_execnz .LBB87_33
; %bb.34:
	s_or_b64 exec, exec, s[0:1]
.LBB87_35:
	s_or_b64 exec, exec, s[8:9]
	v_mov_b32_e32 v54, 0
	ds_read_b64 v[54:55], v54 offset:152
	s_waitcnt lgkmcnt(0)
	v_mul_f64 v[52:53], v[52:53], v[54:55]
	scratch_store_dwordx2 off, v[52:53], off offset:152
.LBB87_36:
	;; [unrolled: 53-line block ×5, first 2 shown]
	s_or_b64 exec, exec, s[4:5]
	scratch_load_dwordx2 v[52:53], off, off offset:120
	v_cmp_lt_u32_e64 s[2:3], 15, v0
	s_waitcnt vmcnt(0)
	ds_write_b64 v1, v[52:53]
	s_waitcnt lgkmcnt(0)
	; wave barrier
	s_and_saveexec_b64 s[4:5], s[2:3]
	s_cbranch_execz .LBB87_76
; %bb.67:
	s_andn2_b64 vcc, exec, s[6:7]
	s_cbranch_vccnz .LBB87_69
; %bb.68:
	scratch_load_dwordx2 v[52:53], v19, off
	ds_read_b64 v[54:55], v1
	s_waitcnt vmcnt(0) lgkmcnt(0)
	v_mul_f64 v[52:53], v[52:53], v[54:55]
	s_cbranch_execz .LBB87_70
	s_branch .LBB87_71
.LBB87_69:
                                        ; implicit-def: $vgpr52_vgpr53
.LBB87_70:
	ds_read_b64 v[52:53], v1
.LBB87_71:
	s_and_saveexec_b64 s[8:9], s[0:1]
	s_cbranch_execz .LBB87_75
; %bb.72:
	v_add_u32_e32 v54, -16, v0
	s_movk_i32 s26, 0x140
	s_mov_b64 s[0:1], 0
.LBB87_73:                              ; =>This Inner Loop Header: Depth=1
	scratch_load_dwordx2 v[56:57], off, s25
	v_mov_b32_e32 v55, s26
	ds_read_b64 v[58:59], v55
	v_add_u32_e32 v54, -1, v54
	s_add_i32 s26, s26, 8
	s_add_i32 s25, s25, 8
	v_cmp_eq_u32_e32 vcc, 0, v54
	s_or_b64 s[0:1], vcc, s[0:1]
	s_waitcnt vmcnt(0) lgkmcnt(0)
	v_fmac_f64_e32 v[52:53], v[56:57], v[58:59]
	s_andn2_b64 exec, exec, s[0:1]
	s_cbranch_execnz .LBB87_73
; %bb.74:
	s_or_b64 exec, exec, s[0:1]
.LBB87_75:
	s_or_b64 exec, exec, s[8:9]
	v_mov_b32_e32 v54, 0
	ds_read_b64 v[54:55], v54 offset:120
	s_waitcnt lgkmcnt(0)
	v_mul_f64 v[52:53], v[52:53], v[54:55]
	scratch_store_dwordx2 off, v[52:53], off offset:120
.LBB87_76:
	s_or_b64 exec, exec, s[4:5]
	scratch_load_dwordx2 v[52:53], off, off offset:112
	v_cmp_lt_u32_e64 s[0:1], 14, v0
	s_waitcnt vmcnt(0)
	ds_write_b64 v1, v[52:53]
	s_waitcnt lgkmcnt(0)
	; wave barrier
	s_and_saveexec_b64 s[4:5], s[0:1]
	s_cbranch_execz .LBB87_86
; %bb.77:
	s_andn2_b64 vcc, exec, s[6:7]
	s_cbranch_vccnz .LBB87_79
; %bb.78:
	scratch_load_dwordx2 v[52:53], v19, off
	ds_read_b64 v[54:55], v1
	s_waitcnt vmcnt(0) lgkmcnt(0)
	v_mul_f64 v[52:53], v[52:53], v[54:55]
	s_cbranch_execz .LBB87_80
	s_branch .LBB87_81
.LBB87_79:
                                        ; implicit-def: $vgpr52_vgpr53
.LBB87_80:
	ds_read_b64 v[52:53], v1
.LBB87_81:
	s_and_saveexec_b64 s[8:9], s[2:3]
	s_cbranch_execz .LBB87_85
; %bb.82:
	v_add_u32_e32 v54, -15, v0
	s_movk_i32 s25, 0x138
	s_mov_b64 s[2:3], 0
.LBB87_83:                              ; =>This Inner Loop Header: Depth=1
	scratch_load_dwordx2 v[56:57], off, s24
	v_mov_b32_e32 v55, s25
	ds_read_b64 v[58:59], v55
	v_add_u32_e32 v54, -1, v54
	s_add_i32 s25, s25, 8
	s_add_i32 s24, s24, 8
	v_cmp_eq_u32_e32 vcc, 0, v54
	s_or_b64 s[2:3], vcc, s[2:3]
	s_waitcnt vmcnt(0) lgkmcnt(0)
	v_fmac_f64_e32 v[52:53], v[56:57], v[58:59]
	s_andn2_b64 exec, exec, s[2:3]
	s_cbranch_execnz .LBB87_83
; %bb.84:
	s_or_b64 exec, exec, s[2:3]
.LBB87_85:
	s_or_b64 exec, exec, s[8:9]
	v_mov_b32_e32 v54, 0
	ds_read_b64 v[54:55], v54 offset:112
	s_waitcnt lgkmcnt(0)
	v_mul_f64 v[52:53], v[52:53], v[54:55]
	scratch_store_dwordx2 off, v[52:53], off offset:112
.LBB87_86:
	;; [unrolled: 53-line block ×3, first 2 shown]
	s_or_b64 exec, exec, s[4:5]
	scratch_load_dwordx2 v[52:53], off, off offset:96
	v_cmp_lt_u32_e64 s[0:1], 12, v0
	s_waitcnt vmcnt(0)
	ds_write_b64 v1, v[52:53]
	s_waitcnt lgkmcnt(0)
	; wave barrier
	s_and_saveexec_b64 s[4:5], s[0:1]
	s_cbranch_execz .LBB87_106
; %bb.97:
	s_andn2_b64 vcc, exec, s[6:7]
	s_cbranch_vccnz .LBB87_99
; %bb.98:
	scratch_load_dwordx2 v[52:53], v19, off
	ds_read_b64 v[54:55], v1
	s_waitcnt vmcnt(0) lgkmcnt(0)
	v_mul_f64 v[52:53], v[52:53], v[54:55]
	s_cbranch_execz .LBB87_100
	s_branch .LBB87_101
.LBB87_99:
                                        ; implicit-def: $vgpr52_vgpr53
.LBB87_100:
	ds_read_b64 v[52:53], v1
.LBB87_101:
	s_and_saveexec_b64 s[8:9], s[2:3]
	s_cbranch_execz .LBB87_105
; %bb.102:
	v_add_u32_e32 v54, -13, v0
	s_movk_i32 s23, 0x128
	s_mov_b64 s[2:3], 0
.LBB87_103:                             ; =>This Inner Loop Header: Depth=1
	scratch_load_dwordx2 v[56:57], off, s22
	v_mov_b32_e32 v55, s23
	ds_read_b64 v[58:59], v55
	v_add_u32_e32 v54, -1, v54
	s_add_i32 s23, s23, 8
	s_add_i32 s22, s22, 8
	v_cmp_eq_u32_e32 vcc, 0, v54
	s_or_b64 s[2:3], vcc, s[2:3]
	s_waitcnt vmcnt(0) lgkmcnt(0)
	v_fmac_f64_e32 v[52:53], v[56:57], v[58:59]
	s_andn2_b64 exec, exec, s[2:3]
	s_cbranch_execnz .LBB87_103
; %bb.104:
	s_or_b64 exec, exec, s[2:3]
.LBB87_105:
	s_or_b64 exec, exec, s[8:9]
	v_mov_b32_e32 v54, 0
	ds_read_b64 v[54:55], v54 offset:96
	s_waitcnt lgkmcnt(0)
	v_mul_f64 v[52:53], v[52:53], v[54:55]
	scratch_store_dwordx2 off, v[52:53], off offset:96
.LBB87_106:
	s_or_b64 exec, exec, s[4:5]
	scratch_load_dwordx2 v[52:53], off, off offset:88
	v_cmp_lt_u32_e64 s[2:3], 11, v0
	s_waitcnt vmcnt(0)
	ds_write_b64 v1, v[52:53]
	s_waitcnt lgkmcnt(0)
	; wave barrier
	s_and_saveexec_b64 s[4:5], s[2:3]
	s_cbranch_execz .LBB87_116
; %bb.107:
	s_andn2_b64 vcc, exec, s[6:7]
	s_cbranch_vccnz .LBB87_109
; %bb.108:
	scratch_load_dwordx2 v[52:53], v19, off
	ds_read_b64 v[54:55], v1
	s_waitcnt vmcnt(0) lgkmcnt(0)
	v_mul_f64 v[52:53], v[52:53], v[54:55]
	s_cbranch_execz .LBB87_110
	s_branch .LBB87_111
.LBB87_109:
                                        ; implicit-def: $vgpr52_vgpr53
.LBB87_110:
	ds_read_b64 v[52:53], v1
.LBB87_111:
	s_and_saveexec_b64 s[8:9], s[0:1]
	s_cbranch_execz .LBB87_115
; %bb.112:
	v_add_u32_e32 v54, -12, v0
	s_movk_i32 s22, 0x120
	s_mov_b64 s[0:1], 0
.LBB87_113:                             ; =>This Inner Loop Header: Depth=1
	scratch_load_dwordx2 v[56:57], off, s21
	v_mov_b32_e32 v55, s22
	ds_read_b64 v[58:59], v55
	v_add_u32_e32 v54, -1, v54
	s_add_i32 s22, s22, 8
	s_add_i32 s21, s21, 8
	v_cmp_eq_u32_e32 vcc, 0, v54
	s_or_b64 s[0:1], vcc, s[0:1]
	s_waitcnt vmcnt(0) lgkmcnt(0)
	v_fmac_f64_e32 v[52:53], v[56:57], v[58:59]
	s_andn2_b64 exec, exec, s[0:1]
	s_cbranch_execnz .LBB87_113
; %bb.114:
	s_or_b64 exec, exec, s[0:1]
.LBB87_115:
	s_or_b64 exec, exec, s[8:9]
	v_mov_b32_e32 v54, 0
	ds_read_b64 v[54:55], v54 offset:88
	s_waitcnt lgkmcnt(0)
	v_mul_f64 v[52:53], v[52:53], v[54:55]
	scratch_store_dwordx2 off, v[52:53], off offset:88
.LBB87_116:
	;; [unrolled: 53-line block ×12, first 2 shown]
	s_or_b64 exec, exec, s[4:5]
	scratch_load_dwordx2 v[52:53], off, off
	v_cmp_ne_u32_e32 vcc, 0, v0
	s_waitcnt vmcnt(0)
	ds_write_b64 v1, v[52:53]
	s_waitcnt lgkmcnt(0)
	; wave barrier
	s_and_saveexec_b64 s[0:1], vcc
	s_cbranch_execz .LBB87_226
; %bb.217:
	s_andn2_b64 vcc, exec, s[6:7]
	s_cbranch_vccnz .LBB87_219
; %bb.218:
	scratch_load_dwordx2 v[52:53], v19, off
	ds_read_b64 v[54:55], v1
	s_waitcnt vmcnt(0) lgkmcnt(0)
	v_mul_f64 v[52:53], v[52:53], v[54:55]
	s_cbranch_execz .LBB87_220
	s_branch .LBB87_221
.LBB87_219:
                                        ; implicit-def: $vgpr52_vgpr53
.LBB87_220:
	ds_read_b64 v[52:53], v1
.LBB87_221:
	s_and_saveexec_b64 s[4:5], s[2:3]
	s_cbranch_execz .LBB87_225
; %bb.222:
	v_add_u32_e32 v54, -1, v0
	s_movk_i32 s8, 0xc8
	s_mov_b64 s[2:3], 0
.LBB87_223:                             ; =>This Inner Loop Header: Depth=1
	scratch_load_dwordx2 v[56:57], off, s10
	v_mov_b32_e32 v55, s8
	ds_read_b64 v[58:59], v55
	v_add_u32_e32 v54, -1, v54
	s_add_i32 s8, s8, 8
	s_add_i32 s10, s10, 8
	v_cmp_eq_u32_e32 vcc, 0, v54
	s_or_b64 s[2:3], vcc, s[2:3]
	s_waitcnt vmcnt(0) lgkmcnt(0)
	v_fmac_f64_e32 v[52:53], v[56:57], v[58:59]
	s_andn2_b64 exec, exec, s[2:3]
	s_cbranch_execnz .LBB87_223
; %bb.224:
	s_or_b64 exec, exec, s[2:3]
.LBB87_225:
	s_or_b64 exec, exec, s[4:5]
	v_mov_b32_e32 v54, 0
	ds_read_b64 v[54:55], v54
	s_waitcnt lgkmcnt(0)
	v_mul_f64 v[52:53], v[52:53], v[54:55]
	scratch_store_dwordx2 off, v[52:53], off
.LBB87_226:
	s_or_b64 exec, exec, s[0:1]
	s_mov_b64 s[0:1], 0
.LBB87_227:
	s_and_b64 vcc, exec, s[0:1]
	s_cbranch_vccz .LBB87_449
; %bb.228:
	scratch_load_dwordx2 v[52:53], off, off offset:8
	v_cmp_eq_u32_e64 s[2:3], 0, v0
	s_waitcnt vmcnt(0)
	ds_write_b64 v1, v[52:53]
	s_waitcnt lgkmcnt(0)
	; wave barrier
	s_and_saveexec_b64 s[0:1], s[2:3]
	s_cbranch_execz .LBB87_234
; %bb.229:
	s_and_b64 vcc, exec, s[6:7]
	s_cbranch_vccz .LBB87_231
; %bb.230:
	scratch_load_dwordx2 v[52:53], v19, off
	ds_read_b64 v[54:55], v1
	s_waitcnt vmcnt(0) lgkmcnt(0)
	v_mul_f64 v[52:53], v[52:53], v[54:55]
	s_cbranch_execz .LBB87_232
	s_branch .LBB87_233
.LBB87_231:
                                        ; implicit-def: $vgpr52_vgpr53
.LBB87_232:
	ds_read_b64 v[52:53], v1
.LBB87_233:
	v_mov_b32_e32 v54, 0
	ds_read_b64 v[54:55], v54 offset:8
	s_waitcnt lgkmcnt(0)
	v_mul_f64 v[52:53], v[52:53], v[54:55]
	scratch_store_dwordx2 off, v[52:53], off offset:8
.LBB87_234:
	s_or_b64 exec, exec, s[0:1]
	scratch_load_dwordx2 v[52:53], off, off offset:16
	v_cndmask_b32_e64 v54, 0, 1, s[6:7]
	v_cmp_gt_u32_e32 vcc, 2, v0
	v_cmp_ne_u32_e64 s[0:1], 1, v54
	s_waitcnt vmcnt(0)
	ds_write_b64 v1, v[52:53]
	s_waitcnt lgkmcnt(0)
	; wave barrier
	s_and_saveexec_b64 s[4:5], vcc
	s_cbranch_execz .LBB87_240
; %bb.235:
	s_and_b64 vcc, exec, s[0:1]
	s_cbranch_vccnz .LBB87_237
; %bb.236:
	scratch_load_dwordx2 v[52:53], v19, off
	ds_read_b64 v[54:55], v1
	s_waitcnt vmcnt(0) lgkmcnt(0)
	v_mul_f64 v[52:53], v[52:53], v[54:55]
	s_cbranch_execz .LBB87_238
	s_branch .LBB87_239
.LBB87_237:
                                        ; implicit-def: $vgpr52_vgpr53
.LBB87_238:
	ds_read_b64 v[52:53], v1
.LBB87_239:
	scratch_load_dwordx2 v[58:59], off, off offset:8
	v_mov_b32_e32 v54, 0
	ds_read2_b64 v[54:57], v54 offset0:2 offset1:25
	s_waitcnt vmcnt(0) lgkmcnt(0)
	v_fma_f64 v[56:57], v[58:59], v[56:57], v[52:53]
	v_cndmask_b32_e64 v53, v53, v57, s[2:3]
	v_cndmask_b32_e64 v52, v52, v56, s[2:3]
	v_mul_f64 v[52:53], v[52:53], v[54:55]
	scratch_store_dwordx2 off, v[52:53], off offset:16
.LBB87_240:
	s_or_b64 exec, exec, s[4:5]
	scratch_load_dwordx2 v[52:53], off, off offset:24
	v_cmp_gt_u32_e32 vcc, 3, v0
	s_waitcnt vmcnt(0)
	ds_write_b64 v1, v[52:53]
	s_waitcnt lgkmcnt(0)
	; wave barrier
	s_and_saveexec_b64 s[4:5], vcc
	s_cbranch_execz .LBB87_248
; %bb.241:
	s_and_b64 vcc, exec, s[0:1]
	s_cbranch_vccnz .LBB87_243
; %bb.242:
	scratch_load_dwordx2 v[52:53], v19, off
	ds_read_b64 v[54:55], v1
	s_waitcnt vmcnt(0) lgkmcnt(0)
	v_mul_f64 v[52:53], v[52:53], v[54:55]
	s_cbranch_execz .LBB87_244
	s_branch .LBB87_245
.LBB87_243:
                                        ; implicit-def: $vgpr52_vgpr53
.LBB87_244:
	ds_read_b64 v[52:53], v1
.LBB87_245:
	v_cmp_ne_u32_e32 vcc, 2, v0
	s_and_saveexec_b64 s[6:7], vcc
	s_cbranch_execz .LBB87_247
; %bb.246:
	scratch_load_dwordx2 v[54:55], v19, off offset:8
	scratch_load_dwordx2 v[56:57], off, off offset:16
	ds_read_b64 v[58:59], v1 offset:8
	v_mov_b32_e32 v60, 0
	ds_read_b64 v[60:61], v60 offset:208
	s_waitcnt vmcnt(1) lgkmcnt(1)
	v_fmac_f64_e32 v[52:53], v[54:55], v[58:59]
	s_waitcnt vmcnt(0) lgkmcnt(0)
	v_fma_f64 v[54:55], v[56:57], v[60:61], v[52:53]
	v_cndmask_b32_e64 v53, v53, v55, s[2:3]
	v_cndmask_b32_e64 v52, v52, v54, s[2:3]
.LBB87_247:
	s_or_b64 exec, exec, s[6:7]
	v_mov_b32_e32 v54, 0
	ds_read_b64 v[54:55], v54 offset:24
	s_waitcnt lgkmcnt(0)
	v_mul_f64 v[52:53], v[52:53], v[54:55]
	scratch_store_dwordx2 off, v[52:53], off offset:24
.LBB87_248:
	s_or_b64 exec, exec, s[4:5]
	scratch_load_dwordx2 v[52:53], off, off offset:32
	v_cmp_gt_u32_e32 vcc, 4, v0
	s_waitcnt vmcnt(0)
	ds_write_b64 v1, v[52:53]
	s_waitcnt lgkmcnt(0)
	; wave barrier
	s_and_saveexec_b64 s[2:3], vcc
	s_cbranch_execz .LBB87_258
; %bb.249:
	s_and_b64 vcc, exec, s[0:1]
	s_cbranch_vccnz .LBB87_251
; %bb.250:
	scratch_load_dwordx2 v[52:53], v19, off
	ds_read_b64 v[54:55], v1
	s_waitcnt vmcnt(0) lgkmcnt(0)
	v_mul_f64 v[52:53], v[52:53], v[54:55]
	s_cbranch_execz .LBB87_252
	s_branch .LBB87_253
.LBB87_251:
                                        ; implicit-def: $vgpr52_vgpr53
.LBB87_252:
	ds_read_b64 v[52:53], v1
.LBB87_253:
	v_cmp_ne_u32_e32 vcc, 3, v0
	s_and_saveexec_b64 s[4:5], vcc
	s_cbranch_execz .LBB87_257
; %bb.254:
	s_mov_b32 s6, 0
	v_add_u32_e32 v54, 0xc8, v18
	v_add3_u32 v55, v18, s6, 8
	s_mov_b64 s[6:7], 0
	v_mov_b32_e32 v56, v0
.LBB87_255:                             ; =>This Inner Loop Header: Depth=1
	scratch_load_dwordx2 v[58:59], v55, off
	ds_read_b64 v[60:61], v54
	v_add_u32_e32 v56, 1, v56
	v_cmp_lt_u32_e32 vcc, 2, v56
	v_add_u32_e32 v54, 8, v54
	v_add_u32_e32 v55, 8, v55
	s_or_b64 s[6:7], vcc, s[6:7]
	s_waitcnt vmcnt(0) lgkmcnt(0)
	v_fmac_f64_e32 v[52:53], v[58:59], v[60:61]
	s_andn2_b64 exec, exec, s[6:7]
	s_cbranch_execnz .LBB87_255
; %bb.256:
	s_or_b64 exec, exec, s[6:7]
.LBB87_257:
	s_or_b64 exec, exec, s[4:5]
	v_mov_b32_e32 v54, 0
	ds_read_b64 v[54:55], v54 offset:32
	s_waitcnt lgkmcnt(0)
	v_mul_f64 v[52:53], v[52:53], v[54:55]
	scratch_store_dwordx2 off, v[52:53], off offset:32
.LBB87_258:
	s_or_b64 exec, exec, s[2:3]
	scratch_load_dwordx2 v[52:53], off, off offset:40
	v_cmp_gt_u32_e32 vcc, 5, v0
	s_waitcnt vmcnt(0)
	ds_write_b64 v1, v[52:53]
	s_waitcnt lgkmcnt(0)
	; wave barrier
	s_and_saveexec_b64 s[2:3], vcc
	s_cbranch_execz .LBB87_268
; %bb.259:
	s_and_b64 vcc, exec, s[0:1]
	s_cbranch_vccnz .LBB87_261
; %bb.260:
	scratch_load_dwordx2 v[52:53], v19, off
	ds_read_b64 v[54:55], v1
	s_waitcnt vmcnt(0) lgkmcnt(0)
	v_mul_f64 v[52:53], v[52:53], v[54:55]
	s_cbranch_execz .LBB87_262
	s_branch .LBB87_263
.LBB87_261:
                                        ; implicit-def: $vgpr52_vgpr53
.LBB87_262:
	ds_read_b64 v[52:53], v1
.LBB87_263:
	v_cmp_ne_u32_e32 vcc, 4, v0
	s_and_saveexec_b64 s[4:5], vcc
	s_cbranch_execz .LBB87_267
; %bb.264:
	s_mov_b32 s6, 0
	v_add_u32_e32 v54, 0xc8, v18
	v_add3_u32 v55, v18, s6, 8
	s_mov_b64 s[6:7], 0
	v_mov_b32_e32 v56, v0
.LBB87_265:                             ; =>This Inner Loop Header: Depth=1
	scratch_load_dwordx2 v[58:59], v55, off
	ds_read_b64 v[60:61], v54
	v_add_u32_e32 v56, 1, v56
	v_cmp_lt_u32_e32 vcc, 3, v56
	v_add_u32_e32 v54, 8, v54
	v_add_u32_e32 v55, 8, v55
	s_or_b64 s[6:7], vcc, s[6:7]
	s_waitcnt vmcnt(0) lgkmcnt(0)
	v_fmac_f64_e32 v[52:53], v[58:59], v[60:61]
	s_andn2_b64 exec, exec, s[6:7]
	s_cbranch_execnz .LBB87_265
; %bb.266:
	s_or_b64 exec, exec, s[6:7]
.LBB87_267:
	s_or_b64 exec, exec, s[4:5]
	v_mov_b32_e32 v54, 0
	ds_read_b64 v[54:55], v54 offset:40
	s_waitcnt lgkmcnt(0)
	v_mul_f64 v[52:53], v[52:53], v[54:55]
	scratch_store_dwordx2 off, v[52:53], off offset:40
.LBB87_268:
	;; [unrolled: 55-line block ×18, first 2 shown]
	s_or_b64 exec, exec, s[2:3]
	scratch_load_dwordx2 v[52:53], off, off offset:176
	v_cmp_gt_u32_e64 s[2:3], 22, v0
	s_waitcnt vmcnt(0)
	ds_write_b64 v1, v[52:53]
	s_waitcnt lgkmcnt(0)
	; wave barrier
	s_and_saveexec_b64 s[4:5], s[2:3]
	s_cbranch_execz .LBB87_438
; %bb.429:
	s_and_b64 vcc, exec, s[0:1]
	s_cbranch_vccnz .LBB87_431
; %bb.430:
	scratch_load_dwordx2 v[52:53], v19, off
	ds_read_b64 v[54:55], v1
	s_waitcnt vmcnt(0) lgkmcnt(0)
	v_mul_f64 v[52:53], v[52:53], v[54:55]
	s_cbranch_execz .LBB87_432
	s_branch .LBB87_433
.LBB87_431:
                                        ; implicit-def: $vgpr52_vgpr53
.LBB87_432:
	ds_read_b64 v[52:53], v1
.LBB87_433:
	v_cmp_ne_u32_e32 vcc, 21, v0
	s_and_saveexec_b64 s[6:7], vcc
	s_cbranch_execz .LBB87_437
; %bb.434:
	s_mov_b32 s8, 0
	v_add_u32_e32 v54, 0xc8, v18
	v_add3_u32 v55, v18, s8, 8
	s_mov_b64 s[8:9], 0
	v_mov_b32_e32 v56, v0
.LBB87_435:                             ; =>This Inner Loop Header: Depth=1
	scratch_load_dwordx2 v[58:59], v55, off
	ds_read_b64 v[60:61], v54
	v_add_u32_e32 v56, 1, v56
	v_cmp_lt_u32_e32 vcc, 20, v56
	v_add_u32_e32 v54, 8, v54
	v_add_u32_e32 v55, 8, v55
	s_or_b64 s[8:9], vcc, s[8:9]
	s_waitcnt vmcnt(0) lgkmcnt(0)
	v_fmac_f64_e32 v[52:53], v[58:59], v[60:61]
	s_andn2_b64 exec, exec, s[8:9]
	s_cbranch_execnz .LBB87_435
; %bb.436:
	s_or_b64 exec, exec, s[8:9]
.LBB87_437:
	s_or_b64 exec, exec, s[6:7]
	v_mov_b32_e32 v54, 0
	ds_read_b64 v[54:55], v54 offset:176
	s_waitcnt lgkmcnt(0)
	v_mul_f64 v[52:53], v[52:53], v[54:55]
	scratch_store_dwordx2 off, v[52:53], off offset:176
.LBB87_438:
	s_or_b64 exec, exec, s[4:5]
	scratch_load_dwordx2 v[52:53], off, off offset:184
	v_cmp_ne_u32_e32 vcc, 23, v0
	s_waitcnt vmcnt(0)
	ds_write_b64 v1, v[52:53]
	s_waitcnt lgkmcnt(0)
	; wave barrier
	s_and_saveexec_b64 s[4:5], vcc
	s_cbranch_execz .LBB87_448
; %bb.439:
	s_and_b64 vcc, exec, s[0:1]
	s_cbranch_vccnz .LBB87_441
; %bb.440:
	scratch_load_dwordx2 v[52:53], v19, off
	ds_read_b64 v[54:55], v1
	s_waitcnt vmcnt(0) lgkmcnt(0)
	v_mul_f64 v[52:53], v[52:53], v[54:55]
	s_cbranch_execz .LBB87_442
	s_branch .LBB87_443
.LBB87_441:
                                        ; implicit-def: $vgpr52_vgpr53
.LBB87_442:
	ds_read_b64 v[52:53], v1
.LBB87_443:
	s_and_saveexec_b64 s[0:1], s[2:3]
	s_cbranch_execz .LBB87_447
; %bb.444:
	s_mov_b32 s2, 0
	v_add_u32_e32 v1, 0xc8, v18
	v_add3_u32 v18, v18, s2, 8
	s_mov_b64 s[2:3], 0
.LBB87_445:                             ; =>This Inner Loop Header: Depth=1
	scratch_load_dwordx2 v[54:55], v18, off
	ds_read_b64 v[56:57], v1
	v_add_u32_e32 v0, 1, v0
	v_cmp_lt_u32_e32 vcc, 21, v0
	v_add_u32_e32 v1, 8, v1
	v_add_u32_e32 v18, 8, v18
	s_or_b64 s[2:3], vcc, s[2:3]
	s_waitcnt vmcnt(0) lgkmcnt(0)
	v_fmac_f64_e32 v[52:53], v[54:55], v[56:57]
	s_andn2_b64 exec, exec, s[2:3]
	s_cbranch_execnz .LBB87_445
; %bb.446:
	s_or_b64 exec, exec, s[2:3]
.LBB87_447:
	s_or_b64 exec, exec, s[0:1]
	v_mov_b32_e32 v0, 0
	ds_read_b64 v[0:1], v0 offset:184
	s_waitcnt lgkmcnt(0)
	v_mul_f64 v[0:1], v[52:53], v[0:1]
	scratch_store_dwordx2 off, v[0:1], off offset:184
.LBB87_448:
	s_or_b64 exec, exec, s[4:5]
.LBB87_449:
	scratch_load_dwordx2 v[0:1], off, off
	s_waitcnt vmcnt(0)
	flat_store_dwordx2 v[2:3], v[0:1]
	scratch_load_dwordx2 v[0:1], off, off offset:8
	s_waitcnt vmcnt(0)
	flat_store_dwordx2 v[4:5], v[0:1]
	scratch_load_dwordx2 v[0:1], off, off offset:16
	;; [unrolled: 3-line block ×23, first 2 shown]
	s_waitcnt vmcnt(0)
	flat_store_dwordx2 v[50:51], v[0:1]
.LBB87_450:
	s_endpgm
	.section	.rodata,"a",@progbits
	.p2align	6, 0x0
	.amdhsa_kernel _ZN9rocsolver6v33100L18trti2_kernel_smallILi24EdPKPdEEv13rocblas_fill_17rocblas_diagonal_T1_iil
		.amdhsa_group_segment_fixed_size 384
		.amdhsa_private_segment_fixed_size 208
		.amdhsa_kernarg_size 32
		.amdhsa_user_sgpr_count 2
		.amdhsa_user_sgpr_dispatch_ptr 0
		.amdhsa_user_sgpr_queue_ptr 0
		.amdhsa_user_sgpr_kernarg_segment_ptr 1
		.amdhsa_user_sgpr_dispatch_id 0
		.amdhsa_user_sgpr_kernarg_preload_length 0
		.amdhsa_user_sgpr_kernarg_preload_offset 0
		.amdhsa_user_sgpr_private_segment_size 0
		.amdhsa_uses_dynamic_stack 0
		.amdhsa_enable_private_segment 1
		.amdhsa_system_sgpr_workgroup_id_x 1
		.amdhsa_system_sgpr_workgroup_id_y 0
		.amdhsa_system_sgpr_workgroup_id_z 0
		.amdhsa_system_sgpr_workgroup_info 0
		.amdhsa_system_vgpr_workitem_id 0
		.amdhsa_next_free_vgpr 62
		.amdhsa_next_free_sgpr 32
		.amdhsa_accum_offset 64
		.amdhsa_reserve_vcc 1
		.amdhsa_float_round_mode_32 0
		.amdhsa_float_round_mode_16_64 0
		.amdhsa_float_denorm_mode_32 3
		.amdhsa_float_denorm_mode_16_64 3
		.amdhsa_dx10_clamp 1
		.amdhsa_ieee_mode 1
		.amdhsa_fp16_overflow 0
		.amdhsa_tg_split 0
		.amdhsa_exception_fp_ieee_invalid_op 0
		.amdhsa_exception_fp_denorm_src 0
		.amdhsa_exception_fp_ieee_div_zero 0
		.amdhsa_exception_fp_ieee_overflow 0
		.amdhsa_exception_fp_ieee_underflow 0
		.amdhsa_exception_fp_ieee_inexact 0
		.amdhsa_exception_int_div_zero 0
	.end_amdhsa_kernel
	.section	.text._ZN9rocsolver6v33100L18trti2_kernel_smallILi24EdPKPdEEv13rocblas_fill_17rocblas_diagonal_T1_iil,"axG",@progbits,_ZN9rocsolver6v33100L18trti2_kernel_smallILi24EdPKPdEEv13rocblas_fill_17rocblas_diagonal_T1_iil,comdat
.Lfunc_end87:
	.size	_ZN9rocsolver6v33100L18trti2_kernel_smallILi24EdPKPdEEv13rocblas_fill_17rocblas_diagonal_T1_iil, .Lfunc_end87-_ZN9rocsolver6v33100L18trti2_kernel_smallILi24EdPKPdEEv13rocblas_fill_17rocblas_diagonal_T1_iil
                                        ; -- End function
	.set _ZN9rocsolver6v33100L18trti2_kernel_smallILi24EdPKPdEEv13rocblas_fill_17rocblas_diagonal_T1_iil.num_vgpr, 62
	.set _ZN9rocsolver6v33100L18trti2_kernel_smallILi24EdPKPdEEv13rocblas_fill_17rocblas_diagonal_T1_iil.num_agpr, 0
	.set _ZN9rocsolver6v33100L18trti2_kernel_smallILi24EdPKPdEEv13rocblas_fill_17rocblas_diagonal_T1_iil.numbered_sgpr, 32
	.set _ZN9rocsolver6v33100L18trti2_kernel_smallILi24EdPKPdEEv13rocblas_fill_17rocblas_diagonal_T1_iil.num_named_barrier, 0
	.set _ZN9rocsolver6v33100L18trti2_kernel_smallILi24EdPKPdEEv13rocblas_fill_17rocblas_diagonal_T1_iil.private_seg_size, 208
	.set _ZN9rocsolver6v33100L18trti2_kernel_smallILi24EdPKPdEEv13rocblas_fill_17rocblas_diagonal_T1_iil.uses_vcc, 1
	.set _ZN9rocsolver6v33100L18trti2_kernel_smallILi24EdPKPdEEv13rocblas_fill_17rocblas_diagonal_T1_iil.uses_flat_scratch, 0
	.set _ZN9rocsolver6v33100L18trti2_kernel_smallILi24EdPKPdEEv13rocblas_fill_17rocblas_diagonal_T1_iil.has_dyn_sized_stack, 0
	.set _ZN9rocsolver6v33100L18trti2_kernel_smallILi24EdPKPdEEv13rocblas_fill_17rocblas_diagonal_T1_iil.has_recursion, 0
	.set _ZN9rocsolver6v33100L18trti2_kernel_smallILi24EdPKPdEEv13rocblas_fill_17rocblas_diagonal_T1_iil.has_indirect_call, 0
	.section	.AMDGPU.csdata,"",@progbits
; Kernel info:
; codeLenInByte = 11416
; TotalNumSgprs: 38
; NumVgprs: 62
; NumAgprs: 0
; TotalNumVgprs: 62
; ScratchSize: 208
; MemoryBound: 0
; FloatMode: 240
; IeeeMode: 1
; LDSByteSize: 384 bytes/workgroup (compile time only)
; SGPRBlocks: 4
; VGPRBlocks: 7
; NumSGPRsForWavesPerEU: 38
; NumVGPRsForWavesPerEU: 62
; AccumOffset: 64
; Occupancy: 8
; WaveLimiterHint : 1
; COMPUTE_PGM_RSRC2:SCRATCH_EN: 1
; COMPUTE_PGM_RSRC2:USER_SGPR: 2
; COMPUTE_PGM_RSRC2:TRAP_HANDLER: 0
; COMPUTE_PGM_RSRC2:TGID_X_EN: 1
; COMPUTE_PGM_RSRC2:TGID_Y_EN: 0
; COMPUTE_PGM_RSRC2:TGID_Z_EN: 0
; COMPUTE_PGM_RSRC2:TIDIG_COMP_CNT: 0
; COMPUTE_PGM_RSRC3_GFX90A:ACCUM_OFFSET: 15
; COMPUTE_PGM_RSRC3_GFX90A:TG_SPLIT: 0
	.section	.text._ZN9rocsolver6v33100L18trti2_kernel_smallILi25EdPKPdEEv13rocblas_fill_17rocblas_diagonal_T1_iil,"axG",@progbits,_ZN9rocsolver6v33100L18trti2_kernel_smallILi25EdPKPdEEv13rocblas_fill_17rocblas_diagonal_T1_iil,comdat
	.globl	_ZN9rocsolver6v33100L18trti2_kernel_smallILi25EdPKPdEEv13rocblas_fill_17rocblas_diagonal_T1_iil ; -- Begin function _ZN9rocsolver6v33100L18trti2_kernel_smallILi25EdPKPdEEv13rocblas_fill_17rocblas_diagonal_T1_iil
	.p2align	8
	.type	_ZN9rocsolver6v33100L18trti2_kernel_smallILi25EdPKPdEEv13rocblas_fill_17rocblas_diagonal_T1_iil,@function
_ZN9rocsolver6v33100L18trti2_kernel_smallILi25EdPKPdEEv13rocblas_fill_17rocblas_diagonal_T1_iil: ; @_ZN9rocsolver6v33100L18trti2_kernel_smallILi25EdPKPdEEv13rocblas_fill_17rocblas_diagonal_T1_iil
; %bb.0:
	v_cmp_gt_u32_e32 vcc, 25, v0
	s_and_saveexec_b64 s[4:5], vcc
	s_cbranch_execz .LBB88_470
; %bb.1:
	s_load_dwordx2 s[8:9], s[0:1], 0x10
	s_load_dwordx4 s[4:7], s[0:1], 0x0
	s_ashr_i32 s3, s2, 31
	s_lshl_b64 s[0:1], s[2:3], 3
	v_lshlrev_b32_e32 v18, 3, v0
	s_waitcnt lgkmcnt(0)
	s_ashr_i32 s3, s8, 31
	s_add_u32 s0, s6, s0
	s_addc_u32 s1, s7, s1
	s_load_dwordx2 s[0:1], s[0:1], 0x0
	s_mov_b32 s2, s8
	s_lshl_b64 s[2:3], s[2:3], 3
	v_mov_b32_e32 v19, 0
	s_waitcnt lgkmcnt(0)
	s_add_u32 s0, s0, s2
	s_addc_u32 s1, s1, s3
	v_lshl_add_u64 v[2:3], s[0:1], 0, v[18:19]
	flat_load_dwordx2 v[6:7], v[2:3]
	s_mov_b32 s2, s9
	s_ashr_i32 s3, s9, 31
	v_lshl_add_u64 v[4:5], s[2:3], 3, v[2:3]
	s_add_i32 s2, s9, s9
	v_add_u32_e32 v10, s2, v0
	v_ashrrev_i32_e32 v11, 31, v10
	s_cmpk_lg_i32 s5, 0x84
	s_cselect_b64 s[6:7], -1, 0
	s_cmpk_eq_i32 s5, 0x84
	s_waitcnt vmcnt(0) lgkmcnt(0)
	scratch_store_dwordx2 off, v[6:7], off
	flat_load_dwordx2 v[8:9], v[4:5]
	v_lshl_add_u64 v[6:7], v[10:11], 3, s[0:1]
	v_add_u32_e32 v10, s9, v10
	v_ashrrev_i32_e32 v11, 31, v10
	v_add_u32_e32 v14, s9, v10
	v_ashrrev_i32_e32 v15, 31, v14
	s_waitcnt vmcnt(0) lgkmcnt(0)
	scratch_store_dwordx2 off, v[8:9], off offset:8
	flat_load_dwordx2 v[12:13], v[6:7]
	v_lshl_add_u64 v[8:9], v[10:11], 3, s[0:1]
	v_lshl_add_u64 v[10:11], v[14:15], 3, s[0:1]
	v_add_u32_e32 v14, s9, v14
	v_ashrrev_i32_e32 v15, 31, v14
	v_add_u32_e32 v20, s9, v14
	v_ashrrev_i32_e32 v21, 31, v20
	s_waitcnt vmcnt(0) lgkmcnt(0)
	scratch_store_dwordx2 off, v[12:13], off offset:16
	flat_load_dwordx2 v[12:13], v[8:9]
	s_waitcnt vmcnt(0) lgkmcnt(0)
	scratch_store_dwordx2 off, v[12:13], off offset:24
	flat_load_dwordx2 v[16:17], v[10:11]
	v_lshl_add_u64 v[12:13], v[14:15], 3, s[0:1]
	v_lshl_add_u64 v[14:15], v[20:21], 3, s[0:1]
	v_add_u32_e32 v20, s9, v20
	v_ashrrev_i32_e32 v21, 31, v20
	v_add_u32_e32 v24, s9, v20
	v_ashrrev_i32_e32 v25, 31, v24
	s_waitcnt vmcnt(0) lgkmcnt(0)
	scratch_store_dwordx2 off, v[16:17], off offset:32
	flat_load_dwordx2 v[16:17], v[12:13]
	;; [unrolled: 12-line block ×9, first 2 shown]
	s_waitcnt vmcnt(0) lgkmcnt(0)
	scratch_store_dwordx2 off, v[46:47], off offset:152
	flat_load_dwordx2 v[50:51], v[44:45]
	v_lshl_add_u64 v[46:47], v[48:49], 3, s[0:1]
	v_lshl_add_u64 v[48:49], v[52:53], 3, s[0:1]
	v_add_u32_e32 v52, s9, v52
	v_ashrrev_i32_e32 v53, 31, v52
	s_waitcnt vmcnt(0) lgkmcnt(0)
	scratch_store_dwordx2 off, v[50:51], off offset:160
	flat_load_dwordx2 v[50:51], v[46:47]
	s_waitcnt vmcnt(0) lgkmcnt(0)
	scratch_store_dwordx2 off, v[50:51], off offset:168
	flat_load_dwordx2 v[54:55], v[48:49]
	v_lshl_add_u64 v[50:51], v[52:53], 3, s[0:1]
	v_add_u32_e32 v52, s9, v52
	v_ashrrev_i32_e32 v53, 31, v52
	v_lshl_add_u64 v[52:53], v[52:53], 3, s[0:1]
	s_waitcnt vmcnt(0) lgkmcnt(0)
	scratch_store_dwordx2 off, v[54:55], off offset:176
	flat_load_dwordx2 v[54:55], v[50:51]
	s_waitcnt vmcnt(0) lgkmcnt(0)
	scratch_store_dwordx2 off, v[54:55], off offset:184
	flat_load_dwordx2 v[54:55], v[52:53]
	s_waitcnt vmcnt(0) lgkmcnt(0)
	scratch_store_dwordx2 off, v[54:55], off offset:192
	v_mov_b64_e32 v[54:55], -1.0
	s_cbranch_scc1 .LBB88_3
; %bb.2:
	scratch_load_dwordx2 v[54:55], v18, off
	s_waitcnt vmcnt(0)
	v_div_scale_f64 v[56:57], s[0:1], v[54:55], v[54:55], 1.0
	v_rcp_f64_e32 v[58:59], v[56:57]
	v_div_scale_f64 v[60:61], vcc, 1.0, v[54:55], 1.0
	v_fma_f64 v[62:63], -v[56:57], v[58:59], 1.0
	v_fmac_f64_e32 v[58:59], v[58:59], v[62:63]
	v_fma_f64 v[62:63], -v[56:57], v[58:59], 1.0
	v_fmac_f64_e32 v[58:59], v[58:59], v[62:63]
	v_mul_f64 v[62:63], v[60:61], v[58:59]
	v_fma_f64 v[56:57], -v[56:57], v[62:63], v[60:61]
	v_div_fmas_f64 v[56:57], v[56:57], v[58:59], v[62:63]
	v_div_fixup_f64 v[54:55], v[56:57], v[54:55], 1.0
	scratch_store_dwordx2 v18, v[54:55], off
	v_xor_b32_e32 v55, 0x80000000, v55
.LBB88_3:
	s_cmpk_eq_i32 s4, 0x79
	v_add_u32_e32 v1, 0xd0, v18
	v_mov_b32_e32 v19, v18
	s_mov_b64 s[0:1], -1
	ds_write_b64 v18, v[54:55]
	s_cbranch_scc1 .LBB88_237
; %bb.4:
	scratch_load_dwordx2 v[54:55], off, off offset:184
	s_movk_i32 s8, 0x48
	s_movk_i32 s9, 0x50
	;; [unrolled: 1-line block ×14, first 2 shown]
	v_cmp_eq_u32_e64 s[0:1], 24, v0
	s_waitcnt vmcnt(0)
	ds_write_b64 v1, v[54:55]
	s_waitcnt lgkmcnt(0)
	; wave barrier
	s_and_saveexec_b64 s[2:3], s[0:1]
	s_cbranch_execz .LBB88_10
; %bb.5:
	s_and_b64 vcc, exec, s[6:7]
	s_cbranch_vccz .LBB88_7
; %bb.6:
	scratch_load_dwordx2 v[54:55], v19, off
	ds_read_b64 v[56:57], v1
	s_waitcnt vmcnt(0) lgkmcnt(0)
	v_mul_f64 v[54:55], v[54:55], v[56:57]
	s_cbranch_execz .LBB88_8
	s_branch .LBB88_9
.LBB88_7:
                                        ; implicit-def: $vgpr54_vgpr55
.LBB88_8:
	ds_read_b64 v[54:55], v1
.LBB88_9:
	v_mov_b32_e32 v56, 0
	ds_read_b64 v[56:57], v56 offset:184
	s_waitcnt lgkmcnt(0)
	v_mul_f64 v[54:55], v[54:55], v[56:57]
	scratch_store_dwordx2 off, v[54:55], off offset:184
.LBB88_10:
	s_or_b64 exec, exec, s[2:3]
	scratch_load_dwordx2 v[54:55], off, off offset:176
	s_or_b32 s10, 0, 8
	s_mov_b32 s11, 16
	s_mov_b32 s12, 24
	;; [unrolled: 1-line block ×9, first 2 shown]
	v_cmp_lt_u32_e64 s[2:3], 22, v0
	s_waitcnt vmcnt(0)
	ds_write_b64 v1, v[54:55]
	s_waitcnt lgkmcnt(0)
	; wave barrier
	s_and_saveexec_b64 s[4:5], s[2:3]
	s_cbranch_execz .LBB88_16
; %bb.11:
	s_andn2_b64 vcc, exec, s[6:7]
	s_cbranch_vccnz .LBB88_13
; %bb.12:
	scratch_load_dwordx2 v[54:55], v19, off
	ds_read_b64 v[56:57], v1
	s_waitcnt vmcnt(0) lgkmcnt(0)
	v_mul_f64 v[54:55], v[54:55], v[56:57]
	s_cbranch_execz .LBB88_14
	s_branch .LBB88_15
.LBB88_13:
                                        ; implicit-def: $vgpr54_vgpr55
.LBB88_14:
	ds_read_b64 v[54:55], v1
.LBB88_15:
	scratch_load_dwordx2 v[60:61], off, off offset:184
	v_mov_b32_e32 v56, 0
	ds_read2_b64 v[56:59], v56 offset0:22 offset1:49
	s_waitcnt vmcnt(0) lgkmcnt(0)
	v_fma_f64 v[58:59], v[60:61], v[58:59], v[54:55]
	v_cndmask_b32_e64 v55, v55, v59, s[0:1]
	v_cndmask_b32_e64 v54, v54, v58, s[0:1]
	v_mul_f64 v[54:55], v[54:55], v[56:57]
	scratch_store_dwordx2 off, v[54:55], off offset:176
.LBB88_16:
	s_or_b64 exec, exec, s[4:5]
	scratch_load_dwordx2 v[54:55], off, off offset:168
	v_cmp_lt_u32_e64 s[0:1], 21, v0
	s_waitcnt vmcnt(0)
	ds_write_b64 v1, v[54:55]
	s_waitcnt lgkmcnt(0)
	; wave barrier
	s_and_saveexec_b64 s[4:5], s[0:1]
	s_cbranch_execz .LBB88_26
; %bb.17:
	s_andn2_b64 vcc, exec, s[6:7]
	s_cbranch_vccnz .LBB88_19
; %bb.18:
	scratch_load_dwordx2 v[54:55], v19, off
	ds_read_b64 v[56:57], v1
	s_waitcnt vmcnt(0) lgkmcnt(0)
	v_mul_f64 v[54:55], v[54:55], v[56:57]
	s_cbranch_execz .LBB88_20
	s_branch .LBB88_21
.LBB88_19:
                                        ; implicit-def: $vgpr54_vgpr55
.LBB88_20:
	ds_read_b64 v[54:55], v1
.LBB88_21:
	s_and_saveexec_b64 s[8:9], s[2:3]
	s_cbranch_execz .LBB88_25
; %bb.22:
	v_subrev_u32_e32 v56, 22, v0
	s_movk_i32 s33, 0x180
	s_mov_b64 s[2:3], 0
.LBB88_23:                              ; =>This Inner Loop Header: Depth=1
	scratch_load_dwordx2 v[58:59], off, s31
	v_mov_b32_e32 v57, s33
	ds_read_b64 v[60:61], v57
	v_add_u32_e32 v56, -1, v56
	s_add_i32 s33, s33, 8
	s_add_i32 s31, s31, 8
	v_cmp_eq_u32_e32 vcc, 0, v56
	s_or_b64 s[2:3], vcc, s[2:3]
	s_waitcnt vmcnt(0) lgkmcnt(0)
	v_fmac_f64_e32 v[54:55], v[58:59], v[60:61]
	s_andn2_b64 exec, exec, s[2:3]
	s_cbranch_execnz .LBB88_23
; %bb.24:
	s_or_b64 exec, exec, s[2:3]
.LBB88_25:
	s_or_b64 exec, exec, s[8:9]
	v_mov_b32_e32 v56, 0
	ds_read_b64 v[56:57], v56 offset:168
	s_waitcnt lgkmcnt(0)
	v_mul_f64 v[54:55], v[54:55], v[56:57]
	scratch_store_dwordx2 off, v[54:55], off offset:168
.LBB88_26:
	s_or_b64 exec, exec, s[4:5]
	scratch_load_dwordx2 v[54:55], off, off offset:160
	v_cmp_lt_u32_e64 s[2:3], 20, v0
	s_waitcnt vmcnt(0)
	ds_write_b64 v1, v[54:55]
	s_waitcnt lgkmcnt(0)
	; wave barrier
	s_and_saveexec_b64 s[4:5], s[2:3]
	s_cbranch_execz .LBB88_36
; %bb.27:
	s_andn2_b64 vcc, exec, s[6:7]
	s_cbranch_vccnz .LBB88_29
; %bb.28:
	scratch_load_dwordx2 v[54:55], v19, off
	ds_read_b64 v[56:57], v1
	s_waitcnt vmcnt(0) lgkmcnt(0)
	v_mul_f64 v[54:55], v[54:55], v[56:57]
	s_cbranch_execz .LBB88_30
	s_branch .LBB88_31
.LBB88_29:
                                        ; implicit-def: $vgpr54_vgpr55
.LBB88_30:
	ds_read_b64 v[54:55], v1
.LBB88_31:
	s_and_saveexec_b64 s[8:9], s[0:1]
	s_cbranch_execz .LBB88_35
; %bb.32:
	v_subrev_u32_e32 v56, 21, v0
	s_movk_i32 s31, 0x178
	s_mov_b64 s[0:1], 0
.LBB88_33:                              ; =>This Inner Loop Header: Depth=1
	scratch_load_dwordx2 v[58:59], off, s30
	v_mov_b32_e32 v57, s31
	ds_read_b64 v[60:61], v57
	v_add_u32_e32 v56, -1, v56
	s_add_i32 s31, s31, 8
	s_add_i32 s30, s30, 8
	v_cmp_eq_u32_e32 vcc, 0, v56
	s_or_b64 s[0:1], vcc, s[0:1]
	s_waitcnt vmcnt(0) lgkmcnt(0)
	v_fmac_f64_e32 v[54:55], v[58:59], v[60:61]
	s_andn2_b64 exec, exec, s[0:1]
	s_cbranch_execnz .LBB88_33
; %bb.34:
	s_or_b64 exec, exec, s[0:1]
.LBB88_35:
	s_or_b64 exec, exec, s[8:9]
	v_mov_b32_e32 v56, 0
	ds_read_b64 v[56:57], v56 offset:160
	s_waitcnt lgkmcnt(0)
	v_mul_f64 v[54:55], v[54:55], v[56:57]
	scratch_store_dwordx2 off, v[54:55], off offset:160
.LBB88_36:
	;; [unrolled: 53-line block ×6, first 2 shown]
	s_or_b64 exec, exec, s[4:5]
	scratch_load_dwordx2 v[54:55], off, off offset:120
	v_cmp_lt_u32_e64 s[0:1], 15, v0
	s_waitcnt vmcnt(0)
	ds_write_b64 v1, v[54:55]
	s_waitcnt lgkmcnt(0)
	; wave barrier
	s_and_saveexec_b64 s[4:5], s[0:1]
	s_cbranch_execz .LBB88_86
; %bb.77:
	s_andn2_b64 vcc, exec, s[6:7]
	s_cbranch_vccnz .LBB88_79
; %bb.78:
	scratch_load_dwordx2 v[54:55], v19, off
	ds_read_b64 v[56:57], v1
	s_waitcnt vmcnt(0) lgkmcnt(0)
	v_mul_f64 v[54:55], v[54:55], v[56:57]
	s_cbranch_execz .LBB88_80
	s_branch .LBB88_81
.LBB88_79:
                                        ; implicit-def: $vgpr54_vgpr55
.LBB88_80:
	ds_read_b64 v[54:55], v1
.LBB88_81:
	s_and_saveexec_b64 s[8:9], s[2:3]
	s_cbranch_execz .LBB88_85
; %bb.82:
	v_add_u32_e32 v56, -16, v0
	s_movk_i32 s26, 0x150
	s_mov_b64 s[2:3], 0
.LBB88_83:                              ; =>This Inner Loop Header: Depth=1
	scratch_load_dwordx2 v[58:59], off, s25
	v_mov_b32_e32 v57, s26
	ds_read_b64 v[60:61], v57
	v_add_u32_e32 v56, -1, v56
	s_add_i32 s26, s26, 8
	s_add_i32 s25, s25, 8
	v_cmp_eq_u32_e32 vcc, 0, v56
	s_or_b64 s[2:3], vcc, s[2:3]
	s_waitcnt vmcnt(0) lgkmcnt(0)
	v_fmac_f64_e32 v[54:55], v[58:59], v[60:61]
	s_andn2_b64 exec, exec, s[2:3]
	s_cbranch_execnz .LBB88_83
; %bb.84:
	s_or_b64 exec, exec, s[2:3]
.LBB88_85:
	s_or_b64 exec, exec, s[8:9]
	v_mov_b32_e32 v56, 0
	ds_read_b64 v[56:57], v56 offset:120
	s_waitcnt lgkmcnt(0)
	v_mul_f64 v[54:55], v[54:55], v[56:57]
	scratch_store_dwordx2 off, v[54:55], off offset:120
.LBB88_86:
	s_or_b64 exec, exec, s[4:5]
	scratch_load_dwordx2 v[54:55], off, off offset:112
	v_cmp_lt_u32_e64 s[2:3], 14, v0
	s_waitcnt vmcnt(0)
	ds_write_b64 v1, v[54:55]
	s_waitcnt lgkmcnt(0)
	; wave barrier
	s_and_saveexec_b64 s[4:5], s[2:3]
	s_cbranch_execz .LBB88_96
; %bb.87:
	s_andn2_b64 vcc, exec, s[6:7]
	s_cbranch_vccnz .LBB88_89
; %bb.88:
	scratch_load_dwordx2 v[54:55], v19, off
	ds_read_b64 v[56:57], v1
	s_waitcnt vmcnt(0) lgkmcnt(0)
	v_mul_f64 v[54:55], v[54:55], v[56:57]
	s_cbranch_execz .LBB88_90
	s_branch .LBB88_91
.LBB88_89:
                                        ; implicit-def: $vgpr54_vgpr55
.LBB88_90:
	ds_read_b64 v[54:55], v1
.LBB88_91:
	s_and_saveexec_b64 s[8:9], s[0:1]
	s_cbranch_execz .LBB88_95
; %bb.92:
	v_add_u32_e32 v56, -15, v0
	s_movk_i32 s25, 0x148
	s_mov_b64 s[0:1], 0
.LBB88_93:                              ; =>This Inner Loop Header: Depth=1
	scratch_load_dwordx2 v[58:59], off, s24
	v_mov_b32_e32 v57, s25
	ds_read_b64 v[60:61], v57
	v_add_u32_e32 v56, -1, v56
	s_add_i32 s25, s25, 8
	s_add_i32 s24, s24, 8
	v_cmp_eq_u32_e32 vcc, 0, v56
	s_or_b64 s[0:1], vcc, s[0:1]
	s_waitcnt vmcnt(0) lgkmcnt(0)
	v_fmac_f64_e32 v[54:55], v[58:59], v[60:61]
	s_andn2_b64 exec, exec, s[0:1]
	s_cbranch_execnz .LBB88_93
; %bb.94:
	s_or_b64 exec, exec, s[0:1]
.LBB88_95:
	s_or_b64 exec, exec, s[8:9]
	v_mov_b32_e32 v56, 0
	ds_read_b64 v[56:57], v56 offset:112
	s_waitcnt lgkmcnt(0)
	v_mul_f64 v[54:55], v[54:55], v[56:57]
	scratch_store_dwordx2 off, v[54:55], off offset:112
.LBB88_96:
	s_or_b64 exec, exec, s[4:5]
	scratch_load_dwordx2 v[54:55], off, off offset:104
	v_cmp_lt_u32_e64 s[0:1], 13, v0
	s_waitcnt vmcnt(0)
	ds_write_b64 v1, v[54:55]
	s_waitcnt lgkmcnt(0)
	; wave barrier
	s_and_saveexec_b64 s[4:5], s[0:1]
	s_cbranch_execz .LBB88_106
; %bb.97:
	s_andn2_b64 vcc, exec, s[6:7]
	s_cbranch_vccnz .LBB88_99
; %bb.98:
	scratch_load_dwordx2 v[54:55], v19, off
	ds_read_b64 v[56:57], v1
	s_waitcnt vmcnt(0) lgkmcnt(0)
	v_mul_f64 v[54:55], v[54:55], v[56:57]
	s_cbranch_execz .LBB88_100
	s_branch .LBB88_101
.LBB88_99:
                                        ; implicit-def: $vgpr54_vgpr55
.LBB88_100:
	ds_read_b64 v[54:55], v1
.LBB88_101:
	s_and_saveexec_b64 s[8:9], s[2:3]
	s_cbranch_execz .LBB88_105
; %bb.102:
	v_add_u32_e32 v56, -14, v0
	s_movk_i32 s24, 0x140
	s_mov_b64 s[2:3], 0
.LBB88_103:                             ; =>This Inner Loop Header: Depth=1
	scratch_load_dwordx2 v[58:59], off, s23
	v_mov_b32_e32 v57, s24
	ds_read_b64 v[60:61], v57
	v_add_u32_e32 v56, -1, v56
	s_add_i32 s24, s24, 8
	s_add_i32 s23, s23, 8
	v_cmp_eq_u32_e32 vcc, 0, v56
	s_or_b64 s[2:3], vcc, s[2:3]
	s_waitcnt vmcnt(0) lgkmcnt(0)
	v_fmac_f64_e32 v[54:55], v[58:59], v[60:61]
	s_andn2_b64 exec, exec, s[2:3]
	s_cbranch_execnz .LBB88_103
; %bb.104:
	s_or_b64 exec, exec, s[2:3]
.LBB88_105:
	s_or_b64 exec, exec, s[8:9]
	v_mov_b32_e32 v56, 0
	ds_read_b64 v[56:57], v56 offset:104
	s_waitcnt lgkmcnt(0)
	v_mul_f64 v[54:55], v[54:55], v[56:57]
	scratch_store_dwordx2 off, v[54:55], off offset:104
.LBB88_106:
	s_or_b64 exec, exec, s[4:5]
	scratch_load_dwordx2 v[54:55], off, off offset:96
	v_cmp_lt_u32_e64 s[2:3], 12, v0
	s_waitcnt vmcnt(0)
	ds_write_b64 v1, v[54:55]
	s_waitcnt lgkmcnt(0)
	; wave barrier
	s_and_saveexec_b64 s[4:5], s[2:3]
	s_cbranch_execz .LBB88_116
; %bb.107:
	s_andn2_b64 vcc, exec, s[6:7]
	s_cbranch_vccnz .LBB88_109
; %bb.108:
	scratch_load_dwordx2 v[54:55], v19, off
	ds_read_b64 v[56:57], v1
	s_waitcnt vmcnt(0) lgkmcnt(0)
	v_mul_f64 v[54:55], v[54:55], v[56:57]
	s_cbranch_execz .LBB88_110
	s_branch .LBB88_111
.LBB88_109:
                                        ; implicit-def: $vgpr54_vgpr55
.LBB88_110:
	ds_read_b64 v[54:55], v1
.LBB88_111:
	s_and_saveexec_b64 s[8:9], s[0:1]
	s_cbranch_execz .LBB88_115
; %bb.112:
	v_add_u32_e32 v56, -13, v0
	s_movk_i32 s23, 0x138
	s_mov_b64 s[0:1], 0
.LBB88_113:                             ; =>This Inner Loop Header: Depth=1
	scratch_load_dwordx2 v[58:59], off, s22
	v_mov_b32_e32 v57, s23
	ds_read_b64 v[60:61], v57
	v_add_u32_e32 v56, -1, v56
	s_add_i32 s23, s23, 8
	s_add_i32 s22, s22, 8
	v_cmp_eq_u32_e32 vcc, 0, v56
	s_or_b64 s[0:1], vcc, s[0:1]
	s_waitcnt vmcnt(0) lgkmcnt(0)
	v_fmac_f64_e32 v[54:55], v[58:59], v[60:61]
	s_andn2_b64 exec, exec, s[0:1]
	s_cbranch_execnz .LBB88_113
; %bb.114:
	s_or_b64 exec, exec, s[0:1]
.LBB88_115:
	s_or_b64 exec, exec, s[8:9]
	v_mov_b32_e32 v56, 0
	ds_read_b64 v[56:57], v56 offset:96
	s_waitcnt lgkmcnt(0)
	v_mul_f64 v[54:55], v[54:55], v[56:57]
	scratch_store_dwordx2 off, v[54:55], off offset:96
.LBB88_116:
	;; [unrolled: 53-line block ×13, first 2 shown]
	s_or_b64 exec, exec, s[4:5]
	scratch_load_dwordx2 v[54:55], off, off
	v_cmp_ne_u32_e32 vcc, 0, v0
	s_waitcnt vmcnt(0)
	ds_write_b64 v1, v[54:55]
	s_waitcnt lgkmcnt(0)
	; wave barrier
	s_and_saveexec_b64 s[2:3], vcc
	s_cbranch_execz .LBB88_236
; %bb.227:
	s_andn2_b64 vcc, exec, s[6:7]
	s_cbranch_vccnz .LBB88_229
; %bb.228:
	scratch_load_dwordx2 v[54:55], v19, off
	ds_read_b64 v[56:57], v1
	s_waitcnt vmcnt(0) lgkmcnt(0)
	v_mul_f64 v[54:55], v[54:55], v[56:57]
	s_cbranch_execz .LBB88_230
	s_branch .LBB88_231
.LBB88_229:
                                        ; implicit-def: $vgpr54_vgpr55
.LBB88_230:
	ds_read_b64 v[54:55], v1
.LBB88_231:
	s_and_saveexec_b64 s[4:5], s[0:1]
	s_cbranch_execz .LBB88_235
; %bb.232:
	v_add_u32_e32 v56, -1, v0
	s_movk_i32 s8, 0xd8
	s_mov_b64 s[0:1], 0
.LBB88_233:                             ; =>This Inner Loop Header: Depth=1
	scratch_load_dwordx2 v[58:59], off, s10
	v_mov_b32_e32 v57, s8
	ds_read_b64 v[60:61], v57
	v_add_u32_e32 v56, -1, v56
	s_add_i32 s8, s8, 8
	s_add_i32 s10, s10, 8
	v_cmp_eq_u32_e32 vcc, 0, v56
	s_or_b64 s[0:1], vcc, s[0:1]
	s_waitcnt vmcnt(0) lgkmcnt(0)
	v_fmac_f64_e32 v[54:55], v[58:59], v[60:61]
	s_andn2_b64 exec, exec, s[0:1]
	s_cbranch_execnz .LBB88_233
; %bb.234:
	s_or_b64 exec, exec, s[0:1]
.LBB88_235:
	s_or_b64 exec, exec, s[4:5]
	v_mov_b32_e32 v56, 0
	ds_read_b64 v[56:57], v56
	s_waitcnt lgkmcnt(0)
	v_mul_f64 v[54:55], v[54:55], v[56:57]
	scratch_store_dwordx2 off, v[54:55], off
.LBB88_236:
	s_or_b64 exec, exec, s[2:3]
	s_mov_b64 s[0:1], 0
.LBB88_237:
	s_and_b64 vcc, exec, s[0:1]
	s_cbranch_vccz .LBB88_469
; %bb.238:
	scratch_load_dwordx2 v[54:55], off, off offset:8
	v_cmp_eq_u32_e64 s[2:3], 0, v0
	s_waitcnt vmcnt(0)
	ds_write_b64 v1, v[54:55]
	s_waitcnt lgkmcnt(0)
	; wave barrier
	s_and_saveexec_b64 s[0:1], s[2:3]
	s_cbranch_execz .LBB88_244
; %bb.239:
	s_and_b64 vcc, exec, s[6:7]
	s_cbranch_vccz .LBB88_241
; %bb.240:
	scratch_load_dwordx2 v[54:55], v19, off
	ds_read_b64 v[56:57], v1
	s_waitcnt vmcnt(0) lgkmcnt(0)
	v_mul_f64 v[54:55], v[54:55], v[56:57]
	s_cbranch_execz .LBB88_242
	s_branch .LBB88_243
.LBB88_241:
                                        ; implicit-def: $vgpr54_vgpr55
.LBB88_242:
	ds_read_b64 v[54:55], v1
.LBB88_243:
	v_mov_b32_e32 v56, 0
	ds_read_b64 v[56:57], v56 offset:8
	s_waitcnt lgkmcnt(0)
	v_mul_f64 v[54:55], v[54:55], v[56:57]
	scratch_store_dwordx2 off, v[54:55], off offset:8
.LBB88_244:
	s_or_b64 exec, exec, s[0:1]
	scratch_load_dwordx2 v[54:55], off, off offset:16
	v_cndmask_b32_e64 v56, 0, 1, s[6:7]
	v_cmp_gt_u32_e32 vcc, 2, v0
	v_cmp_ne_u32_e64 s[0:1], 1, v56
	s_waitcnt vmcnt(0)
	ds_write_b64 v1, v[54:55]
	s_waitcnt lgkmcnt(0)
	; wave barrier
	s_and_saveexec_b64 s[4:5], vcc
	s_cbranch_execz .LBB88_250
; %bb.245:
	s_and_b64 vcc, exec, s[0:1]
	s_cbranch_vccnz .LBB88_247
; %bb.246:
	scratch_load_dwordx2 v[54:55], v19, off
	ds_read_b64 v[56:57], v1
	s_waitcnt vmcnt(0) lgkmcnt(0)
	v_mul_f64 v[54:55], v[54:55], v[56:57]
	s_cbranch_execz .LBB88_248
	s_branch .LBB88_249
.LBB88_247:
                                        ; implicit-def: $vgpr54_vgpr55
.LBB88_248:
	ds_read_b64 v[54:55], v1
.LBB88_249:
	scratch_load_dwordx2 v[60:61], off, off offset:8
	v_mov_b32_e32 v56, 0
	ds_read2_b64 v[56:59], v56 offset0:2 offset1:27
	s_waitcnt vmcnt(0) lgkmcnt(0)
	v_fma_f64 v[58:59], v[60:61], v[58:59], v[54:55]
	v_cndmask_b32_e64 v55, v55, v59, s[2:3]
	v_cndmask_b32_e64 v54, v54, v58, s[2:3]
	v_mul_f64 v[54:55], v[54:55], v[56:57]
	scratch_store_dwordx2 off, v[54:55], off offset:16
.LBB88_250:
	s_or_b64 exec, exec, s[4:5]
	scratch_load_dwordx2 v[54:55], off, off offset:24
	v_cmp_gt_u32_e32 vcc, 3, v0
	s_waitcnt vmcnt(0)
	ds_write_b64 v1, v[54:55]
	s_waitcnt lgkmcnt(0)
	; wave barrier
	s_and_saveexec_b64 s[4:5], vcc
	s_cbranch_execz .LBB88_258
; %bb.251:
	s_and_b64 vcc, exec, s[0:1]
	s_cbranch_vccnz .LBB88_253
; %bb.252:
	scratch_load_dwordx2 v[54:55], v19, off
	ds_read_b64 v[56:57], v1
	s_waitcnt vmcnt(0) lgkmcnt(0)
	v_mul_f64 v[54:55], v[54:55], v[56:57]
	s_cbranch_execz .LBB88_254
	s_branch .LBB88_255
.LBB88_253:
                                        ; implicit-def: $vgpr54_vgpr55
.LBB88_254:
	ds_read_b64 v[54:55], v1
.LBB88_255:
	v_cmp_ne_u32_e32 vcc, 2, v0
	s_and_saveexec_b64 s[6:7], vcc
	s_cbranch_execz .LBB88_257
; %bb.256:
	scratch_load_dwordx2 v[56:57], v19, off offset:8
	scratch_load_dwordx2 v[58:59], off, off offset:16
	ds_read_b64 v[60:61], v1 offset:8
	v_mov_b32_e32 v62, 0
	ds_read_b64 v[62:63], v62 offset:224
	s_waitcnt vmcnt(1) lgkmcnt(1)
	v_fmac_f64_e32 v[54:55], v[56:57], v[60:61]
	s_waitcnt vmcnt(0) lgkmcnt(0)
	v_fma_f64 v[56:57], v[58:59], v[62:63], v[54:55]
	v_cndmask_b32_e64 v55, v55, v57, s[2:3]
	v_cndmask_b32_e64 v54, v54, v56, s[2:3]
.LBB88_257:
	s_or_b64 exec, exec, s[6:7]
	v_mov_b32_e32 v56, 0
	ds_read_b64 v[56:57], v56 offset:24
	s_waitcnt lgkmcnt(0)
	v_mul_f64 v[54:55], v[54:55], v[56:57]
	scratch_store_dwordx2 off, v[54:55], off offset:24
.LBB88_258:
	s_or_b64 exec, exec, s[4:5]
	scratch_load_dwordx2 v[54:55], off, off offset:32
	v_cmp_gt_u32_e32 vcc, 4, v0
	s_waitcnt vmcnt(0)
	ds_write_b64 v1, v[54:55]
	s_waitcnt lgkmcnt(0)
	; wave barrier
	s_and_saveexec_b64 s[2:3], vcc
	s_cbranch_execz .LBB88_268
; %bb.259:
	s_and_b64 vcc, exec, s[0:1]
	s_cbranch_vccnz .LBB88_261
; %bb.260:
	scratch_load_dwordx2 v[54:55], v19, off
	ds_read_b64 v[56:57], v1
	s_waitcnt vmcnt(0) lgkmcnt(0)
	v_mul_f64 v[54:55], v[54:55], v[56:57]
	s_cbranch_execz .LBB88_262
	s_branch .LBB88_263
.LBB88_261:
                                        ; implicit-def: $vgpr54_vgpr55
.LBB88_262:
	ds_read_b64 v[54:55], v1
.LBB88_263:
	v_cmp_ne_u32_e32 vcc, 3, v0
	s_and_saveexec_b64 s[4:5], vcc
	s_cbranch_execz .LBB88_267
; %bb.264:
	s_mov_b32 s6, 0
	v_add_u32_e32 v56, 0xd8, v18
	v_add3_u32 v57, v18, s6, 8
	s_mov_b64 s[6:7], 0
	v_mov_b32_e32 v58, v0
.LBB88_265:                             ; =>This Inner Loop Header: Depth=1
	scratch_load_dwordx2 v[60:61], v57, off
	ds_read_b64 v[62:63], v56
	v_add_u32_e32 v58, 1, v58
	v_cmp_lt_u32_e32 vcc, 2, v58
	v_add_u32_e32 v56, 8, v56
	v_add_u32_e32 v57, 8, v57
	s_or_b64 s[6:7], vcc, s[6:7]
	s_waitcnt vmcnt(0) lgkmcnt(0)
	v_fmac_f64_e32 v[54:55], v[60:61], v[62:63]
	s_andn2_b64 exec, exec, s[6:7]
	s_cbranch_execnz .LBB88_265
; %bb.266:
	s_or_b64 exec, exec, s[6:7]
.LBB88_267:
	s_or_b64 exec, exec, s[4:5]
	v_mov_b32_e32 v56, 0
	ds_read_b64 v[56:57], v56 offset:32
	s_waitcnt lgkmcnt(0)
	v_mul_f64 v[54:55], v[54:55], v[56:57]
	scratch_store_dwordx2 off, v[54:55], off offset:32
.LBB88_268:
	s_or_b64 exec, exec, s[2:3]
	scratch_load_dwordx2 v[54:55], off, off offset:40
	v_cmp_gt_u32_e32 vcc, 5, v0
	s_waitcnt vmcnt(0)
	ds_write_b64 v1, v[54:55]
	s_waitcnt lgkmcnt(0)
	; wave barrier
	s_and_saveexec_b64 s[2:3], vcc
	s_cbranch_execz .LBB88_278
; %bb.269:
	s_and_b64 vcc, exec, s[0:1]
	s_cbranch_vccnz .LBB88_271
; %bb.270:
	scratch_load_dwordx2 v[54:55], v19, off
	ds_read_b64 v[56:57], v1
	s_waitcnt vmcnt(0) lgkmcnt(0)
	v_mul_f64 v[54:55], v[54:55], v[56:57]
	s_cbranch_execz .LBB88_272
	s_branch .LBB88_273
.LBB88_271:
                                        ; implicit-def: $vgpr54_vgpr55
.LBB88_272:
	ds_read_b64 v[54:55], v1
.LBB88_273:
	v_cmp_ne_u32_e32 vcc, 4, v0
	s_and_saveexec_b64 s[4:5], vcc
	s_cbranch_execz .LBB88_277
; %bb.274:
	s_mov_b32 s6, 0
	v_add_u32_e32 v56, 0xd8, v18
	v_add3_u32 v57, v18, s6, 8
	s_mov_b64 s[6:7], 0
	v_mov_b32_e32 v58, v0
.LBB88_275:                             ; =>This Inner Loop Header: Depth=1
	scratch_load_dwordx2 v[60:61], v57, off
	ds_read_b64 v[62:63], v56
	v_add_u32_e32 v58, 1, v58
	v_cmp_lt_u32_e32 vcc, 3, v58
	v_add_u32_e32 v56, 8, v56
	v_add_u32_e32 v57, 8, v57
	s_or_b64 s[6:7], vcc, s[6:7]
	s_waitcnt vmcnt(0) lgkmcnt(0)
	v_fmac_f64_e32 v[54:55], v[60:61], v[62:63]
	s_andn2_b64 exec, exec, s[6:7]
	s_cbranch_execnz .LBB88_275
; %bb.276:
	s_or_b64 exec, exec, s[6:7]
.LBB88_277:
	s_or_b64 exec, exec, s[4:5]
	v_mov_b32_e32 v56, 0
	ds_read_b64 v[56:57], v56 offset:40
	s_waitcnt lgkmcnt(0)
	v_mul_f64 v[54:55], v[54:55], v[56:57]
	scratch_store_dwordx2 off, v[54:55], off offset:40
.LBB88_278:
	;; [unrolled: 55-line block ×19, first 2 shown]
	s_or_b64 exec, exec, s[2:3]
	scratch_load_dwordx2 v[54:55], off, off offset:184
	v_cmp_gt_u32_e64 s[2:3], 23, v0
	s_waitcnt vmcnt(0)
	ds_write_b64 v1, v[54:55]
	s_waitcnt lgkmcnt(0)
	; wave barrier
	s_and_saveexec_b64 s[4:5], s[2:3]
	s_cbranch_execz .LBB88_458
; %bb.449:
	s_and_b64 vcc, exec, s[0:1]
	s_cbranch_vccnz .LBB88_451
; %bb.450:
	scratch_load_dwordx2 v[54:55], v19, off
	ds_read_b64 v[56:57], v1
	s_waitcnt vmcnt(0) lgkmcnt(0)
	v_mul_f64 v[54:55], v[54:55], v[56:57]
	s_cbranch_execz .LBB88_452
	s_branch .LBB88_453
.LBB88_451:
                                        ; implicit-def: $vgpr54_vgpr55
.LBB88_452:
	ds_read_b64 v[54:55], v1
.LBB88_453:
	v_cmp_ne_u32_e32 vcc, 22, v0
	s_and_saveexec_b64 s[6:7], vcc
	s_cbranch_execz .LBB88_457
; %bb.454:
	s_mov_b32 s8, 0
	v_add_u32_e32 v56, 0xd8, v18
	v_add3_u32 v57, v18, s8, 8
	s_mov_b64 s[8:9], 0
	v_mov_b32_e32 v58, v0
.LBB88_455:                             ; =>This Inner Loop Header: Depth=1
	scratch_load_dwordx2 v[60:61], v57, off
	ds_read_b64 v[62:63], v56
	v_add_u32_e32 v58, 1, v58
	v_cmp_lt_u32_e32 vcc, 21, v58
	v_add_u32_e32 v56, 8, v56
	v_add_u32_e32 v57, 8, v57
	s_or_b64 s[8:9], vcc, s[8:9]
	s_waitcnt vmcnt(0) lgkmcnt(0)
	v_fmac_f64_e32 v[54:55], v[60:61], v[62:63]
	s_andn2_b64 exec, exec, s[8:9]
	s_cbranch_execnz .LBB88_455
; %bb.456:
	s_or_b64 exec, exec, s[8:9]
.LBB88_457:
	s_or_b64 exec, exec, s[6:7]
	v_mov_b32_e32 v56, 0
	ds_read_b64 v[56:57], v56 offset:184
	s_waitcnt lgkmcnt(0)
	v_mul_f64 v[54:55], v[54:55], v[56:57]
	scratch_store_dwordx2 off, v[54:55], off offset:184
.LBB88_458:
	s_or_b64 exec, exec, s[4:5]
	scratch_load_dwordx2 v[54:55], off, off offset:192
	v_cmp_ne_u32_e32 vcc, 24, v0
	s_waitcnt vmcnt(0)
	ds_write_b64 v1, v[54:55]
	s_waitcnt lgkmcnt(0)
	; wave barrier
	s_and_saveexec_b64 s[4:5], vcc
	s_cbranch_execz .LBB88_468
; %bb.459:
	s_and_b64 vcc, exec, s[0:1]
	s_cbranch_vccnz .LBB88_461
; %bb.460:
	scratch_load_dwordx2 v[54:55], v19, off
	ds_read_b64 v[56:57], v1
	s_waitcnt vmcnt(0) lgkmcnt(0)
	v_mul_f64 v[54:55], v[54:55], v[56:57]
	s_cbranch_execz .LBB88_462
	s_branch .LBB88_463
.LBB88_461:
                                        ; implicit-def: $vgpr54_vgpr55
.LBB88_462:
	ds_read_b64 v[54:55], v1
.LBB88_463:
	s_and_saveexec_b64 s[0:1], s[2:3]
	s_cbranch_execz .LBB88_467
; %bb.464:
	s_mov_b32 s2, 0
	v_add_u32_e32 v1, 0xd8, v18
	v_add3_u32 v18, v18, s2, 8
	s_mov_b64 s[2:3], 0
.LBB88_465:                             ; =>This Inner Loop Header: Depth=1
	scratch_load_dwordx2 v[56:57], v18, off
	ds_read_b64 v[58:59], v1
	v_add_u32_e32 v0, 1, v0
	v_cmp_lt_u32_e32 vcc, 22, v0
	v_add_u32_e32 v1, 8, v1
	v_add_u32_e32 v18, 8, v18
	s_or_b64 s[2:3], vcc, s[2:3]
	s_waitcnt vmcnt(0) lgkmcnt(0)
	v_fmac_f64_e32 v[54:55], v[56:57], v[58:59]
	s_andn2_b64 exec, exec, s[2:3]
	s_cbranch_execnz .LBB88_465
; %bb.466:
	s_or_b64 exec, exec, s[2:3]
.LBB88_467:
	s_or_b64 exec, exec, s[0:1]
	v_mov_b32_e32 v0, 0
	ds_read_b64 v[0:1], v0 offset:192
	s_waitcnt lgkmcnt(0)
	v_mul_f64 v[0:1], v[54:55], v[0:1]
	scratch_store_dwordx2 off, v[0:1], off offset:192
.LBB88_468:
	s_or_b64 exec, exec, s[4:5]
.LBB88_469:
	scratch_load_dwordx2 v[0:1], off, off
	s_waitcnt vmcnt(0)
	flat_store_dwordx2 v[2:3], v[0:1]
	scratch_load_dwordx2 v[0:1], off, off offset:8
	s_waitcnt vmcnt(0)
	flat_store_dwordx2 v[4:5], v[0:1]
	scratch_load_dwordx2 v[0:1], off, off offset:16
	;; [unrolled: 3-line block ×24, first 2 shown]
	s_waitcnt vmcnt(0)
	flat_store_dwordx2 v[52:53], v[0:1]
.LBB88_470:
	s_endpgm
	.section	.rodata,"a",@progbits
	.p2align	6, 0x0
	.amdhsa_kernel _ZN9rocsolver6v33100L18trti2_kernel_smallILi25EdPKPdEEv13rocblas_fill_17rocblas_diagonal_T1_iil
		.amdhsa_group_segment_fixed_size 408
		.amdhsa_private_segment_fixed_size 208
		.amdhsa_kernarg_size 32
		.amdhsa_user_sgpr_count 2
		.amdhsa_user_sgpr_dispatch_ptr 0
		.amdhsa_user_sgpr_queue_ptr 0
		.amdhsa_user_sgpr_kernarg_segment_ptr 1
		.amdhsa_user_sgpr_dispatch_id 0
		.amdhsa_user_sgpr_kernarg_preload_length 0
		.amdhsa_user_sgpr_kernarg_preload_offset 0
		.amdhsa_user_sgpr_private_segment_size 0
		.amdhsa_uses_dynamic_stack 0
		.amdhsa_enable_private_segment 1
		.amdhsa_system_sgpr_workgroup_id_x 1
		.amdhsa_system_sgpr_workgroup_id_y 0
		.amdhsa_system_sgpr_workgroup_id_z 0
		.amdhsa_system_sgpr_workgroup_info 0
		.amdhsa_system_vgpr_workitem_id 0
		.amdhsa_next_free_vgpr 64
		.amdhsa_next_free_sgpr 34
		.amdhsa_accum_offset 64
		.amdhsa_reserve_vcc 1
		.amdhsa_float_round_mode_32 0
		.amdhsa_float_round_mode_16_64 0
		.amdhsa_float_denorm_mode_32 3
		.amdhsa_float_denorm_mode_16_64 3
		.amdhsa_dx10_clamp 1
		.amdhsa_ieee_mode 1
		.amdhsa_fp16_overflow 0
		.amdhsa_tg_split 0
		.amdhsa_exception_fp_ieee_invalid_op 0
		.amdhsa_exception_fp_denorm_src 0
		.amdhsa_exception_fp_ieee_div_zero 0
		.amdhsa_exception_fp_ieee_overflow 0
		.amdhsa_exception_fp_ieee_underflow 0
		.amdhsa_exception_fp_ieee_inexact 0
		.amdhsa_exception_int_div_zero 0
	.end_amdhsa_kernel
	.section	.text._ZN9rocsolver6v33100L18trti2_kernel_smallILi25EdPKPdEEv13rocblas_fill_17rocblas_diagonal_T1_iil,"axG",@progbits,_ZN9rocsolver6v33100L18trti2_kernel_smallILi25EdPKPdEEv13rocblas_fill_17rocblas_diagonal_T1_iil,comdat
.Lfunc_end88:
	.size	_ZN9rocsolver6v33100L18trti2_kernel_smallILi25EdPKPdEEv13rocblas_fill_17rocblas_diagonal_T1_iil, .Lfunc_end88-_ZN9rocsolver6v33100L18trti2_kernel_smallILi25EdPKPdEEv13rocblas_fill_17rocblas_diagonal_T1_iil
                                        ; -- End function
	.set _ZN9rocsolver6v33100L18trti2_kernel_smallILi25EdPKPdEEv13rocblas_fill_17rocblas_diagonal_T1_iil.num_vgpr, 64
	.set _ZN9rocsolver6v33100L18trti2_kernel_smallILi25EdPKPdEEv13rocblas_fill_17rocblas_diagonal_T1_iil.num_agpr, 0
	.set _ZN9rocsolver6v33100L18trti2_kernel_smallILi25EdPKPdEEv13rocblas_fill_17rocblas_diagonal_T1_iil.numbered_sgpr, 34
	.set _ZN9rocsolver6v33100L18trti2_kernel_smallILi25EdPKPdEEv13rocblas_fill_17rocblas_diagonal_T1_iil.num_named_barrier, 0
	.set _ZN9rocsolver6v33100L18trti2_kernel_smallILi25EdPKPdEEv13rocblas_fill_17rocblas_diagonal_T1_iil.private_seg_size, 208
	.set _ZN9rocsolver6v33100L18trti2_kernel_smallILi25EdPKPdEEv13rocblas_fill_17rocblas_diagonal_T1_iil.uses_vcc, 1
	.set _ZN9rocsolver6v33100L18trti2_kernel_smallILi25EdPKPdEEv13rocblas_fill_17rocblas_diagonal_T1_iil.uses_flat_scratch, 0
	.set _ZN9rocsolver6v33100L18trti2_kernel_smallILi25EdPKPdEEv13rocblas_fill_17rocblas_diagonal_T1_iil.has_dyn_sized_stack, 0
	.set _ZN9rocsolver6v33100L18trti2_kernel_smallILi25EdPKPdEEv13rocblas_fill_17rocblas_diagonal_T1_iil.has_recursion, 0
	.set _ZN9rocsolver6v33100L18trti2_kernel_smallILi25EdPKPdEEv13rocblas_fill_17rocblas_diagonal_T1_iil.has_indirect_call, 0
	.section	.AMDGPU.csdata,"",@progbits
; Kernel info:
; codeLenInByte = 11912
; TotalNumSgprs: 40
; NumVgprs: 64
; NumAgprs: 0
; TotalNumVgprs: 64
; ScratchSize: 208
; MemoryBound: 0
; FloatMode: 240
; IeeeMode: 1
; LDSByteSize: 408 bytes/workgroup (compile time only)
; SGPRBlocks: 4
; VGPRBlocks: 7
; NumSGPRsForWavesPerEU: 40
; NumVGPRsForWavesPerEU: 64
; AccumOffset: 64
; Occupancy: 8
; WaveLimiterHint : 1
; COMPUTE_PGM_RSRC2:SCRATCH_EN: 1
; COMPUTE_PGM_RSRC2:USER_SGPR: 2
; COMPUTE_PGM_RSRC2:TRAP_HANDLER: 0
; COMPUTE_PGM_RSRC2:TGID_X_EN: 1
; COMPUTE_PGM_RSRC2:TGID_Y_EN: 0
; COMPUTE_PGM_RSRC2:TGID_Z_EN: 0
; COMPUTE_PGM_RSRC2:TIDIG_COMP_CNT: 0
; COMPUTE_PGM_RSRC3_GFX90A:ACCUM_OFFSET: 15
; COMPUTE_PGM_RSRC3_GFX90A:TG_SPLIT: 0
	.section	.text._ZN9rocsolver6v33100L18trti2_kernel_smallILi26EdPKPdEEv13rocblas_fill_17rocblas_diagonal_T1_iil,"axG",@progbits,_ZN9rocsolver6v33100L18trti2_kernel_smallILi26EdPKPdEEv13rocblas_fill_17rocblas_diagonal_T1_iil,comdat
	.globl	_ZN9rocsolver6v33100L18trti2_kernel_smallILi26EdPKPdEEv13rocblas_fill_17rocblas_diagonal_T1_iil ; -- Begin function _ZN9rocsolver6v33100L18trti2_kernel_smallILi26EdPKPdEEv13rocblas_fill_17rocblas_diagonal_T1_iil
	.p2align	8
	.type	_ZN9rocsolver6v33100L18trti2_kernel_smallILi26EdPKPdEEv13rocblas_fill_17rocblas_diagonal_T1_iil,@function
_ZN9rocsolver6v33100L18trti2_kernel_smallILi26EdPKPdEEv13rocblas_fill_17rocblas_diagonal_T1_iil: ; @_ZN9rocsolver6v33100L18trti2_kernel_smallILi26EdPKPdEEv13rocblas_fill_17rocblas_diagonal_T1_iil
; %bb.0:
	v_cmp_gt_u32_e32 vcc, 26, v0
	s_and_saveexec_b64 s[4:5], vcc
	s_cbranch_execz .LBB89_490
; %bb.1:
	s_load_dwordx2 s[8:9], s[0:1], 0x10
	s_load_dwordx4 s[4:7], s[0:1], 0x0
	s_ashr_i32 s3, s2, 31
	s_lshl_b64 s[0:1], s[2:3], 3
	v_lshlrev_b32_e32 v18, 3, v0
	s_waitcnt lgkmcnt(0)
	s_ashr_i32 s3, s8, 31
	s_add_u32 s0, s6, s0
	s_addc_u32 s1, s7, s1
	s_load_dwordx2 s[0:1], s[0:1], 0x0
	s_mov_b32 s2, s8
	s_lshl_b64 s[2:3], s[2:3], 3
	v_mov_b32_e32 v19, 0
	s_waitcnt lgkmcnt(0)
	s_add_u32 s0, s0, s2
	s_addc_u32 s1, s1, s3
	v_lshl_add_u64 v[2:3], s[0:1], 0, v[18:19]
	flat_load_dwordx2 v[6:7], v[2:3]
	s_mov_b32 s2, s9
	s_ashr_i32 s3, s9, 31
	v_lshl_add_u64 v[4:5], s[2:3], 3, v[2:3]
	s_add_i32 s2, s9, s9
	v_add_u32_e32 v10, s2, v0
	v_ashrrev_i32_e32 v11, 31, v10
	s_cmpk_lg_i32 s5, 0x84
	s_cselect_b64 s[6:7], -1, 0
	s_cmpk_eq_i32 s5, 0x84
	s_waitcnt vmcnt(0) lgkmcnt(0)
	scratch_store_dwordx2 off, v[6:7], off
	flat_load_dwordx2 v[8:9], v[4:5]
	v_lshl_add_u64 v[6:7], v[10:11], 3, s[0:1]
	v_add_u32_e32 v10, s9, v10
	v_ashrrev_i32_e32 v11, 31, v10
	v_add_u32_e32 v14, s9, v10
	v_ashrrev_i32_e32 v15, 31, v14
	s_waitcnt vmcnt(0) lgkmcnt(0)
	scratch_store_dwordx2 off, v[8:9], off offset:8
	flat_load_dwordx2 v[12:13], v[6:7]
	v_lshl_add_u64 v[8:9], v[10:11], 3, s[0:1]
	v_lshl_add_u64 v[10:11], v[14:15], 3, s[0:1]
	v_add_u32_e32 v14, s9, v14
	v_ashrrev_i32_e32 v15, 31, v14
	v_add_u32_e32 v20, s9, v14
	v_ashrrev_i32_e32 v21, 31, v20
	s_waitcnt vmcnt(0) lgkmcnt(0)
	scratch_store_dwordx2 off, v[12:13], off offset:16
	flat_load_dwordx2 v[12:13], v[8:9]
	s_waitcnt vmcnt(0) lgkmcnt(0)
	scratch_store_dwordx2 off, v[12:13], off offset:24
	flat_load_dwordx2 v[16:17], v[10:11]
	v_lshl_add_u64 v[12:13], v[14:15], 3, s[0:1]
	v_lshl_add_u64 v[14:15], v[20:21], 3, s[0:1]
	v_add_u32_e32 v20, s9, v20
	v_ashrrev_i32_e32 v21, 31, v20
	v_add_u32_e32 v24, s9, v20
	v_ashrrev_i32_e32 v25, 31, v24
	s_waitcnt vmcnt(0) lgkmcnt(0)
	scratch_store_dwordx2 off, v[16:17], off offset:32
	flat_load_dwordx2 v[16:17], v[12:13]
	;; [unrolled: 12-line block ×10, first 2 shown]
	s_waitcnt vmcnt(0) lgkmcnt(0)
	scratch_store_dwordx2 off, v[50:51], off offset:168
	flat_load_dwordx2 v[54:55], v[48:49]
	v_lshl_add_u64 v[50:51], v[52:53], 3, s[0:1]
	v_lshl_add_u64 v[52:53], v[56:57], 3, s[0:1]
	s_waitcnt vmcnt(0) lgkmcnt(0)
	scratch_store_dwordx2 off, v[54:55], off offset:176
	flat_load_dwordx2 v[54:55], v[50:51]
	s_waitcnt vmcnt(0) lgkmcnt(0)
	scratch_store_dwordx2 off, v[54:55], off offset:184
	flat_load_dwordx2 v[58:59], v[52:53]
	v_add_u32_e32 v54, s9, v56
	v_ashrrev_i32_e32 v55, 31, v54
	v_lshl_add_u64 v[54:55], v[54:55], 3, s[0:1]
	s_waitcnt vmcnt(0) lgkmcnt(0)
	scratch_store_dwordx2 off, v[58:59], off offset:192
	flat_load_dwordx2 v[56:57], v[54:55]
	s_waitcnt vmcnt(0) lgkmcnt(0)
	scratch_store_dwordx2 off, v[56:57], off offset:200
	v_mov_b64_e32 v[56:57], -1.0
	s_cbranch_scc1 .LBB89_3
; %bb.2:
	scratch_load_dwordx2 v[56:57], v18, off
	s_waitcnt vmcnt(0)
	v_div_scale_f64 v[58:59], s[0:1], v[56:57], v[56:57], 1.0
	v_rcp_f64_e32 v[60:61], v[58:59]
	v_div_scale_f64 v[62:63], vcc, 1.0, v[56:57], 1.0
	v_fma_f64 v[64:65], -v[58:59], v[60:61], 1.0
	v_fmac_f64_e32 v[60:61], v[60:61], v[64:65]
	v_fma_f64 v[64:65], -v[58:59], v[60:61], 1.0
	v_fmac_f64_e32 v[60:61], v[60:61], v[64:65]
	v_mul_f64 v[64:65], v[62:63], v[60:61]
	v_fma_f64 v[58:59], -v[58:59], v[64:65], v[62:63]
	v_div_fmas_f64 v[58:59], v[58:59], v[60:61], v[64:65]
	v_div_fixup_f64 v[56:57], v[58:59], v[56:57], 1.0
	scratch_store_dwordx2 v18, v[56:57], off
	v_xor_b32_e32 v57, 0x80000000, v57
.LBB89_3:
	s_cmpk_eq_i32 s4, 0x79
	v_add_u32_e32 v1, 0xd0, v18
	v_mov_b32_e32 v19, v18
	s_mov_b64 s[0:1], -1
	ds_write_b64 v18, v[56:57]
	s_cbranch_scc1 .LBB89_247
; %bb.4:
	scratch_load_dwordx2 v[56:57], off, off offset:192
	s_movk_i32 s8, 0x48
	s_movk_i32 s9, 0x50
	;; [unrolled: 1-line block ×15, first 2 shown]
	v_cmp_eq_u32_e64 s[0:1], 25, v0
	s_waitcnt vmcnt(0)
	ds_write_b64 v1, v[56:57]
	s_waitcnt lgkmcnt(0)
	; wave barrier
	s_and_saveexec_b64 s[2:3], s[0:1]
	s_cbranch_execz .LBB89_10
; %bb.5:
	s_and_b64 vcc, exec, s[6:7]
	s_cbranch_vccz .LBB89_7
; %bb.6:
	scratch_load_dwordx2 v[56:57], v19, off
	ds_read_b64 v[58:59], v1
	s_waitcnt vmcnt(0) lgkmcnt(0)
	v_mul_f64 v[56:57], v[56:57], v[58:59]
	s_cbranch_execz .LBB89_8
	s_branch .LBB89_9
.LBB89_7:
                                        ; implicit-def: $vgpr56_vgpr57
.LBB89_8:
	ds_read_b64 v[56:57], v1
.LBB89_9:
	v_mov_b32_e32 v58, 0
	ds_read_b64 v[58:59], v58 offset:192
	s_waitcnt lgkmcnt(0)
	v_mul_f64 v[56:57], v[56:57], v[58:59]
	scratch_store_dwordx2 off, v[56:57], off offset:192
.LBB89_10:
	s_or_b64 exec, exec, s[2:3]
	scratch_load_dwordx2 v[56:57], off, off offset:184
	s_or_b32 s10, 0, 8
	s_mov_b32 s11, 16
	s_mov_b32 s12, 24
	s_mov_b32 s13, 32
	s_mov_b32 s14, 40
	s_mov_b32 s15, 48
	s_mov_b32 s16, 56
	s_mov_b32 s17, 64
	s_mov_b32 s18, s8
	s_mov_b32 s19, s9
	v_cmp_lt_u32_e64 s[2:3], 23, v0
	s_waitcnt vmcnt(0)
	ds_write_b64 v1, v[56:57]
	s_waitcnt lgkmcnt(0)
	; wave barrier
	s_and_saveexec_b64 s[4:5], s[2:3]
	s_cbranch_execz .LBB89_16
; %bb.11:
	s_andn2_b64 vcc, exec, s[6:7]
	s_cbranch_vccnz .LBB89_13
; %bb.12:
	scratch_load_dwordx2 v[56:57], v19, off
	ds_read_b64 v[58:59], v1
	s_waitcnt vmcnt(0) lgkmcnt(0)
	v_mul_f64 v[56:57], v[56:57], v[58:59]
	s_cbranch_execz .LBB89_14
	s_branch .LBB89_15
.LBB89_13:
                                        ; implicit-def: $vgpr56_vgpr57
.LBB89_14:
	ds_read_b64 v[56:57], v1
.LBB89_15:
	scratch_load_dwordx2 v[62:63], off, off offset:192
	v_mov_b32_e32 v58, 0
	ds_read2_b64 v[58:61], v58 offset0:23 offset1:50
	s_waitcnt vmcnt(0) lgkmcnt(0)
	v_fma_f64 v[60:61], v[62:63], v[60:61], v[56:57]
	v_cndmask_b32_e64 v57, v57, v61, s[0:1]
	v_cndmask_b32_e64 v56, v56, v60, s[0:1]
	v_mul_f64 v[56:57], v[56:57], v[58:59]
	scratch_store_dwordx2 off, v[56:57], off offset:184
.LBB89_16:
	s_or_b64 exec, exec, s[4:5]
	scratch_load_dwordx2 v[56:57], off, off offset:176
	v_cmp_lt_u32_e64 s[0:1], 22, v0
	s_waitcnt vmcnt(0)
	ds_write_b64 v1, v[56:57]
	s_waitcnt lgkmcnt(0)
	; wave barrier
	s_and_saveexec_b64 s[4:5], s[0:1]
	s_cbranch_execz .LBB89_26
; %bb.17:
	s_andn2_b64 vcc, exec, s[6:7]
	s_cbranch_vccnz .LBB89_19
; %bb.18:
	scratch_load_dwordx2 v[56:57], v19, off
	ds_read_b64 v[58:59], v1
	s_waitcnt vmcnt(0) lgkmcnt(0)
	v_mul_f64 v[56:57], v[56:57], v[58:59]
	s_cbranch_execz .LBB89_20
	s_branch .LBB89_21
.LBB89_19:
                                        ; implicit-def: $vgpr56_vgpr57
.LBB89_20:
	ds_read_b64 v[56:57], v1
.LBB89_21:
	s_and_saveexec_b64 s[8:9], s[2:3]
	s_cbranch_execz .LBB89_25
; %bb.22:
	v_subrev_u32_e32 v58, 23, v0
	s_movk_i32 s34, 0x188
	s_mov_b64 s[2:3], 0
.LBB89_23:                              ; =>This Inner Loop Header: Depth=1
	scratch_load_dwordx2 v[60:61], off, s33
	v_mov_b32_e32 v59, s34
	ds_read_b64 v[62:63], v59
	v_add_u32_e32 v58, -1, v58
	s_add_i32 s34, s34, 8
	s_add_i32 s33, s33, 8
	v_cmp_eq_u32_e32 vcc, 0, v58
	s_or_b64 s[2:3], vcc, s[2:3]
	s_waitcnt vmcnt(0) lgkmcnt(0)
	v_fmac_f64_e32 v[56:57], v[60:61], v[62:63]
	s_andn2_b64 exec, exec, s[2:3]
	s_cbranch_execnz .LBB89_23
; %bb.24:
	s_or_b64 exec, exec, s[2:3]
.LBB89_25:
	s_or_b64 exec, exec, s[8:9]
	v_mov_b32_e32 v58, 0
	ds_read_b64 v[58:59], v58 offset:176
	s_waitcnt lgkmcnt(0)
	v_mul_f64 v[56:57], v[56:57], v[58:59]
	scratch_store_dwordx2 off, v[56:57], off offset:176
.LBB89_26:
	s_or_b64 exec, exec, s[4:5]
	scratch_load_dwordx2 v[56:57], off, off offset:168
	v_cmp_lt_u32_e64 s[2:3], 21, v0
	s_waitcnt vmcnt(0)
	ds_write_b64 v1, v[56:57]
	s_waitcnt lgkmcnt(0)
	; wave barrier
	s_and_saveexec_b64 s[4:5], s[2:3]
	s_cbranch_execz .LBB89_36
; %bb.27:
	s_andn2_b64 vcc, exec, s[6:7]
	s_cbranch_vccnz .LBB89_29
; %bb.28:
	scratch_load_dwordx2 v[56:57], v19, off
	ds_read_b64 v[58:59], v1
	s_waitcnt vmcnt(0) lgkmcnt(0)
	v_mul_f64 v[56:57], v[56:57], v[58:59]
	s_cbranch_execz .LBB89_30
	s_branch .LBB89_31
.LBB89_29:
                                        ; implicit-def: $vgpr56_vgpr57
.LBB89_30:
	ds_read_b64 v[56:57], v1
.LBB89_31:
	s_and_saveexec_b64 s[8:9], s[0:1]
	s_cbranch_execz .LBB89_35
; %bb.32:
	v_subrev_u32_e32 v58, 22, v0
	s_movk_i32 s33, 0x180
	s_mov_b64 s[0:1], 0
.LBB89_33:                              ; =>This Inner Loop Header: Depth=1
	scratch_load_dwordx2 v[60:61], off, s31
	v_mov_b32_e32 v59, s33
	ds_read_b64 v[62:63], v59
	v_add_u32_e32 v58, -1, v58
	s_add_i32 s33, s33, 8
	s_add_i32 s31, s31, 8
	v_cmp_eq_u32_e32 vcc, 0, v58
	s_or_b64 s[0:1], vcc, s[0:1]
	s_waitcnt vmcnt(0) lgkmcnt(0)
	v_fmac_f64_e32 v[56:57], v[60:61], v[62:63]
	s_andn2_b64 exec, exec, s[0:1]
	s_cbranch_execnz .LBB89_33
; %bb.34:
	s_or_b64 exec, exec, s[0:1]
.LBB89_35:
	s_or_b64 exec, exec, s[8:9]
	v_mov_b32_e32 v58, 0
	ds_read_b64 v[58:59], v58 offset:168
	s_waitcnt lgkmcnt(0)
	v_mul_f64 v[56:57], v[56:57], v[58:59]
	scratch_store_dwordx2 off, v[56:57], off offset:168
.LBB89_36:
	s_or_b64 exec, exec, s[4:5]
	scratch_load_dwordx2 v[56:57], off, off offset:160
	v_cmp_lt_u32_e64 s[0:1], 20, v0
	s_waitcnt vmcnt(0)
	ds_write_b64 v1, v[56:57]
	s_waitcnt lgkmcnt(0)
	; wave barrier
	s_and_saveexec_b64 s[4:5], s[0:1]
	s_cbranch_execz .LBB89_46
; %bb.37:
	s_andn2_b64 vcc, exec, s[6:7]
	s_cbranch_vccnz .LBB89_39
; %bb.38:
	scratch_load_dwordx2 v[56:57], v19, off
	ds_read_b64 v[58:59], v1
	s_waitcnt vmcnt(0) lgkmcnt(0)
	v_mul_f64 v[56:57], v[56:57], v[58:59]
	s_cbranch_execz .LBB89_40
	s_branch .LBB89_41
.LBB89_39:
                                        ; implicit-def: $vgpr56_vgpr57
.LBB89_40:
	ds_read_b64 v[56:57], v1
.LBB89_41:
	s_and_saveexec_b64 s[8:9], s[2:3]
	s_cbranch_execz .LBB89_45
; %bb.42:
	v_subrev_u32_e32 v58, 21, v0
	s_movk_i32 s31, 0x178
	s_mov_b64 s[2:3], 0
.LBB89_43:                              ; =>This Inner Loop Header: Depth=1
	scratch_load_dwordx2 v[60:61], off, s30
	v_mov_b32_e32 v59, s31
	ds_read_b64 v[62:63], v59
	v_add_u32_e32 v58, -1, v58
	s_add_i32 s31, s31, 8
	s_add_i32 s30, s30, 8
	v_cmp_eq_u32_e32 vcc, 0, v58
	s_or_b64 s[2:3], vcc, s[2:3]
	s_waitcnt vmcnt(0) lgkmcnt(0)
	v_fmac_f64_e32 v[56:57], v[60:61], v[62:63]
	s_andn2_b64 exec, exec, s[2:3]
	s_cbranch_execnz .LBB89_43
; %bb.44:
	s_or_b64 exec, exec, s[2:3]
.LBB89_45:
	s_or_b64 exec, exec, s[8:9]
	v_mov_b32_e32 v58, 0
	ds_read_b64 v[58:59], v58 offset:160
	s_waitcnt lgkmcnt(0)
	v_mul_f64 v[56:57], v[56:57], v[58:59]
	scratch_store_dwordx2 off, v[56:57], off offset:160
.LBB89_46:
	s_or_b64 exec, exec, s[4:5]
	scratch_load_dwordx2 v[56:57], off, off offset:152
	v_cmp_lt_u32_e64 s[2:3], 19, v0
	s_waitcnt vmcnt(0)
	ds_write_b64 v1, v[56:57]
	s_waitcnt lgkmcnt(0)
	; wave barrier
	s_and_saveexec_b64 s[4:5], s[2:3]
	s_cbranch_execz .LBB89_56
; %bb.47:
	s_andn2_b64 vcc, exec, s[6:7]
	s_cbranch_vccnz .LBB89_49
; %bb.48:
	scratch_load_dwordx2 v[56:57], v19, off
	ds_read_b64 v[58:59], v1
	s_waitcnt vmcnt(0) lgkmcnt(0)
	v_mul_f64 v[56:57], v[56:57], v[58:59]
	s_cbranch_execz .LBB89_50
	s_branch .LBB89_51
.LBB89_49:
                                        ; implicit-def: $vgpr56_vgpr57
.LBB89_50:
	ds_read_b64 v[56:57], v1
.LBB89_51:
	s_and_saveexec_b64 s[8:9], s[0:1]
	s_cbranch_execz .LBB89_55
; %bb.52:
	v_subrev_u32_e32 v58, 20, v0
	s_movk_i32 s30, 0x170
	s_mov_b64 s[0:1], 0
.LBB89_53:                              ; =>This Inner Loop Header: Depth=1
	scratch_load_dwordx2 v[60:61], off, s29
	v_mov_b32_e32 v59, s30
	ds_read_b64 v[62:63], v59
	v_add_u32_e32 v58, -1, v58
	s_add_i32 s30, s30, 8
	s_add_i32 s29, s29, 8
	v_cmp_eq_u32_e32 vcc, 0, v58
	s_or_b64 s[0:1], vcc, s[0:1]
	s_waitcnt vmcnt(0) lgkmcnt(0)
	v_fmac_f64_e32 v[56:57], v[60:61], v[62:63]
	s_andn2_b64 exec, exec, s[0:1]
	s_cbranch_execnz .LBB89_53
; %bb.54:
	s_or_b64 exec, exec, s[0:1]
.LBB89_55:
	s_or_b64 exec, exec, s[8:9]
	v_mov_b32_e32 v58, 0
	ds_read_b64 v[58:59], v58 offset:152
	s_waitcnt lgkmcnt(0)
	v_mul_f64 v[56:57], v[56:57], v[58:59]
	scratch_store_dwordx2 off, v[56:57], off offset:152
.LBB89_56:
	s_or_b64 exec, exec, s[4:5]
	scratch_load_dwordx2 v[56:57], off, off offset:144
	v_cmp_lt_u32_e64 s[0:1], 18, v0
	s_waitcnt vmcnt(0)
	ds_write_b64 v1, v[56:57]
	s_waitcnt lgkmcnt(0)
	; wave barrier
	s_and_saveexec_b64 s[4:5], s[0:1]
	s_cbranch_execz .LBB89_66
; %bb.57:
	s_andn2_b64 vcc, exec, s[6:7]
	s_cbranch_vccnz .LBB89_59
; %bb.58:
	scratch_load_dwordx2 v[56:57], v19, off
	ds_read_b64 v[58:59], v1
	s_waitcnt vmcnt(0) lgkmcnt(0)
	v_mul_f64 v[56:57], v[56:57], v[58:59]
	s_cbranch_execz .LBB89_60
	s_branch .LBB89_61
.LBB89_59:
                                        ; implicit-def: $vgpr56_vgpr57
.LBB89_60:
	ds_read_b64 v[56:57], v1
.LBB89_61:
	s_and_saveexec_b64 s[8:9], s[2:3]
	s_cbranch_execz .LBB89_65
; %bb.62:
	v_subrev_u32_e32 v58, 19, v0
	s_movk_i32 s29, 0x168
	s_mov_b64 s[2:3], 0
.LBB89_63:                              ; =>This Inner Loop Header: Depth=1
	scratch_load_dwordx2 v[60:61], off, s28
	v_mov_b32_e32 v59, s29
	ds_read_b64 v[62:63], v59
	v_add_u32_e32 v58, -1, v58
	s_add_i32 s29, s29, 8
	s_add_i32 s28, s28, 8
	v_cmp_eq_u32_e32 vcc, 0, v58
	s_or_b64 s[2:3], vcc, s[2:3]
	s_waitcnt vmcnt(0) lgkmcnt(0)
	v_fmac_f64_e32 v[56:57], v[60:61], v[62:63]
	s_andn2_b64 exec, exec, s[2:3]
	s_cbranch_execnz .LBB89_63
; %bb.64:
	s_or_b64 exec, exec, s[2:3]
.LBB89_65:
	s_or_b64 exec, exec, s[8:9]
	v_mov_b32_e32 v58, 0
	ds_read_b64 v[58:59], v58 offset:144
	s_waitcnt lgkmcnt(0)
	v_mul_f64 v[56:57], v[56:57], v[58:59]
	scratch_store_dwordx2 off, v[56:57], off offset:144
.LBB89_66:
	s_or_b64 exec, exec, s[4:5]
	scratch_load_dwordx2 v[56:57], off, off offset:136
	v_cmp_lt_u32_e64 s[2:3], 17, v0
	s_waitcnt vmcnt(0)
	ds_write_b64 v1, v[56:57]
	s_waitcnt lgkmcnt(0)
	; wave barrier
	s_and_saveexec_b64 s[4:5], s[2:3]
	s_cbranch_execz .LBB89_76
; %bb.67:
	s_andn2_b64 vcc, exec, s[6:7]
	s_cbranch_vccnz .LBB89_69
; %bb.68:
	scratch_load_dwordx2 v[56:57], v19, off
	ds_read_b64 v[58:59], v1
	s_waitcnt vmcnt(0) lgkmcnt(0)
	v_mul_f64 v[56:57], v[56:57], v[58:59]
	s_cbranch_execz .LBB89_70
	s_branch .LBB89_71
.LBB89_69:
                                        ; implicit-def: $vgpr56_vgpr57
.LBB89_70:
	ds_read_b64 v[56:57], v1
.LBB89_71:
	s_and_saveexec_b64 s[8:9], s[0:1]
	s_cbranch_execz .LBB89_75
; %bb.72:
	v_subrev_u32_e32 v58, 18, v0
	s_movk_i32 s28, 0x160
	s_mov_b64 s[0:1], 0
.LBB89_73:                              ; =>This Inner Loop Header: Depth=1
	scratch_load_dwordx2 v[60:61], off, s27
	v_mov_b32_e32 v59, s28
	ds_read_b64 v[62:63], v59
	v_add_u32_e32 v58, -1, v58
	s_add_i32 s28, s28, 8
	s_add_i32 s27, s27, 8
	v_cmp_eq_u32_e32 vcc, 0, v58
	s_or_b64 s[0:1], vcc, s[0:1]
	s_waitcnt vmcnt(0) lgkmcnt(0)
	v_fmac_f64_e32 v[56:57], v[60:61], v[62:63]
	s_andn2_b64 exec, exec, s[0:1]
	s_cbranch_execnz .LBB89_73
; %bb.74:
	s_or_b64 exec, exec, s[0:1]
.LBB89_75:
	s_or_b64 exec, exec, s[8:9]
	v_mov_b32_e32 v58, 0
	ds_read_b64 v[58:59], v58 offset:136
	s_waitcnt lgkmcnt(0)
	v_mul_f64 v[56:57], v[56:57], v[58:59]
	scratch_store_dwordx2 off, v[56:57], off offset:136
.LBB89_76:
	s_or_b64 exec, exec, s[4:5]
	scratch_load_dwordx2 v[56:57], off, off offset:128
	v_cmp_lt_u32_e64 s[0:1], 16, v0
	s_waitcnt vmcnt(0)
	ds_write_b64 v1, v[56:57]
	s_waitcnt lgkmcnt(0)
	; wave barrier
	s_and_saveexec_b64 s[4:5], s[0:1]
	s_cbranch_execz .LBB89_86
; %bb.77:
	s_andn2_b64 vcc, exec, s[6:7]
	s_cbranch_vccnz .LBB89_79
; %bb.78:
	scratch_load_dwordx2 v[56:57], v19, off
	ds_read_b64 v[58:59], v1
	s_waitcnt vmcnt(0) lgkmcnt(0)
	v_mul_f64 v[56:57], v[56:57], v[58:59]
	s_cbranch_execz .LBB89_80
	s_branch .LBB89_81
.LBB89_79:
                                        ; implicit-def: $vgpr56_vgpr57
.LBB89_80:
	ds_read_b64 v[56:57], v1
.LBB89_81:
	s_and_saveexec_b64 s[8:9], s[2:3]
	s_cbranch_execz .LBB89_85
; %bb.82:
	v_subrev_u32_e32 v58, 17, v0
	s_movk_i32 s27, 0x158
	s_mov_b64 s[2:3], 0
.LBB89_83:                              ; =>This Inner Loop Header: Depth=1
	scratch_load_dwordx2 v[60:61], off, s26
	v_mov_b32_e32 v59, s27
	ds_read_b64 v[62:63], v59
	v_add_u32_e32 v58, -1, v58
	s_add_i32 s27, s27, 8
	s_add_i32 s26, s26, 8
	v_cmp_eq_u32_e32 vcc, 0, v58
	s_or_b64 s[2:3], vcc, s[2:3]
	s_waitcnt vmcnt(0) lgkmcnt(0)
	v_fmac_f64_e32 v[56:57], v[60:61], v[62:63]
	s_andn2_b64 exec, exec, s[2:3]
	s_cbranch_execnz .LBB89_83
; %bb.84:
	s_or_b64 exec, exec, s[2:3]
.LBB89_85:
	s_or_b64 exec, exec, s[8:9]
	v_mov_b32_e32 v58, 0
	ds_read_b64 v[58:59], v58 offset:128
	s_waitcnt lgkmcnt(0)
	v_mul_f64 v[56:57], v[56:57], v[58:59]
	scratch_store_dwordx2 off, v[56:57], off offset:128
.LBB89_86:
	s_or_b64 exec, exec, s[4:5]
	scratch_load_dwordx2 v[56:57], off, off offset:120
	v_cmp_lt_u32_e64 s[2:3], 15, v0
	s_waitcnt vmcnt(0)
	ds_write_b64 v1, v[56:57]
	s_waitcnt lgkmcnt(0)
	; wave barrier
	s_and_saveexec_b64 s[4:5], s[2:3]
	s_cbranch_execz .LBB89_96
; %bb.87:
	s_andn2_b64 vcc, exec, s[6:7]
	s_cbranch_vccnz .LBB89_89
; %bb.88:
	scratch_load_dwordx2 v[56:57], v19, off
	ds_read_b64 v[58:59], v1
	s_waitcnt vmcnt(0) lgkmcnt(0)
	v_mul_f64 v[56:57], v[56:57], v[58:59]
	s_cbranch_execz .LBB89_90
	s_branch .LBB89_91
.LBB89_89:
                                        ; implicit-def: $vgpr56_vgpr57
.LBB89_90:
	ds_read_b64 v[56:57], v1
.LBB89_91:
	s_and_saveexec_b64 s[8:9], s[0:1]
	s_cbranch_execz .LBB89_95
; %bb.92:
	v_add_u32_e32 v58, -16, v0
	s_movk_i32 s26, 0x150
	s_mov_b64 s[0:1], 0
.LBB89_93:                              ; =>This Inner Loop Header: Depth=1
	scratch_load_dwordx2 v[60:61], off, s25
	v_mov_b32_e32 v59, s26
	ds_read_b64 v[62:63], v59
	v_add_u32_e32 v58, -1, v58
	s_add_i32 s26, s26, 8
	s_add_i32 s25, s25, 8
	v_cmp_eq_u32_e32 vcc, 0, v58
	s_or_b64 s[0:1], vcc, s[0:1]
	s_waitcnt vmcnt(0) lgkmcnt(0)
	v_fmac_f64_e32 v[56:57], v[60:61], v[62:63]
	s_andn2_b64 exec, exec, s[0:1]
	s_cbranch_execnz .LBB89_93
; %bb.94:
	s_or_b64 exec, exec, s[0:1]
.LBB89_95:
	s_or_b64 exec, exec, s[8:9]
	v_mov_b32_e32 v58, 0
	ds_read_b64 v[58:59], v58 offset:120
	s_waitcnt lgkmcnt(0)
	v_mul_f64 v[56:57], v[56:57], v[58:59]
	scratch_store_dwordx2 off, v[56:57], off offset:120
.LBB89_96:
	s_or_b64 exec, exec, s[4:5]
	scratch_load_dwordx2 v[56:57], off, off offset:112
	v_cmp_lt_u32_e64 s[0:1], 14, v0
	s_waitcnt vmcnt(0)
	ds_write_b64 v1, v[56:57]
	s_waitcnt lgkmcnt(0)
	; wave barrier
	s_and_saveexec_b64 s[4:5], s[0:1]
	s_cbranch_execz .LBB89_106
; %bb.97:
	s_andn2_b64 vcc, exec, s[6:7]
	s_cbranch_vccnz .LBB89_99
; %bb.98:
	scratch_load_dwordx2 v[56:57], v19, off
	ds_read_b64 v[58:59], v1
	s_waitcnt vmcnt(0) lgkmcnt(0)
	v_mul_f64 v[56:57], v[56:57], v[58:59]
	s_cbranch_execz .LBB89_100
	s_branch .LBB89_101
.LBB89_99:
                                        ; implicit-def: $vgpr56_vgpr57
.LBB89_100:
	ds_read_b64 v[56:57], v1
.LBB89_101:
	s_and_saveexec_b64 s[8:9], s[2:3]
	s_cbranch_execz .LBB89_105
; %bb.102:
	v_add_u32_e32 v58, -15, v0
	s_movk_i32 s25, 0x148
	s_mov_b64 s[2:3], 0
.LBB89_103:                             ; =>This Inner Loop Header: Depth=1
	scratch_load_dwordx2 v[60:61], off, s24
	v_mov_b32_e32 v59, s25
	ds_read_b64 v[62:63], v59
	v_add_u32_e32 v58, -1, v58
	s_add_i32 s25, s25, 8
	s_add_i32 s24, s24, 8
	v_cmp_eq_u32_e32 vcc, 0, v58
	s_or_b64 s[2:3], vcc, s[2:3]
	s_waitcnt vmcnt(0) lgkmcnt(0)
	v_fmac_f64_e32 v[56:57], v[60:61], v[62:63]
	s_andn2_b64 exec, exec, s[2:3]
	s_cbranch_execnz .LBB89_103
; %bb.104:
	s_or_b64 exec, exec, s[2:3]
.LBB89_105:
	s_or_b64 exec, exec, s[8:9]
	v_mov_b32_e32 v58, 0
	ds_read_b64 v[58:59], v58 offset:112
	s_waitcnt lgkmcnt(0)
	v_mul_f64 v[56:57], v[56:57], v[58:59]
	scratch_store_dwordx2 off, v[56:57], off offset:112
.LBB89_106:
	s_or_b64 exec, exec, s[4:5]
	scratch_load_dwordx2 v[56:57], off, off offset:104
	v_cmp_lt_u32_e64 s[2:3], 13, v0
	s_waitcnt vmcnt(0)
	ds_write_b64 v1, v[56:57]
	s_waitcnt lgkmcnt(0)
	; wave barrier
	s_and_saveexec_b64 s[4:5], s[2:3]
	s_cbranch_execz .LBB89_116
; %bb.107:
	s_andn2_b64 vcc, exec, s[6:7]
	s_cbranch_vccnz .LBB89_109
; %bb.108:
	scratch_load_dwordx2 v[56:57], v19, off
	ds_read_b64 v[58:59], v1
	s_waitcnt vmcnt(0) lgkmcnt(0)
	v_mul_f64 v[56:57], v[56:57], v[58:59]
	s_cbranch_execz .LBB89_110
	s_branch .LBB89_111
.LBB89_109:
                                        ; implicit-def: $vgpr56_vgpr57
.LBB89_110:
	ds_read_b64 v[56:57], v1
.LBB89_111:
	s_and_saveexec_b64 s[8:9], s[0:1]
	s_cbranch_execz .LBB89_115
; %bb.112:
	v_add_u32_e32 v58, -14, v0
	s_movk_i32 s24, 0x140
	s_mov_b64 s[0:1], 0
.LBB89_113:                             ; =>This Inner Loop Header: Depth=1
	scratch_load_dwordx2 v[60:61], off, s23
	v_mov_b32_e32 v59, s24
	ds_read_b64 v[62:63], v59
	v_add_u32_e32 v58, -1, v58
	s_add_i32 s24, s24, 8
	s_add_i32 s23, s23, 8
	v_cmp_eq_u32_e32 vcc, 0, v58
	s_or_b64 s[0:1], vcc, s[0:1]
	s_waitcnt vmcnt(0) lgkmcnt(0)
	v_fmac_f64_e32 v[56:57], v[60:61], v[62:63]
	s_andn2_b64 exec, exec, s[0:1]
	s_cbranch_execnz .LBB89_113
; %bb.114:
	s_or_b64 exec, exec, s[0:1]
.LBB89_115:
	s_or_b64 exec, exec, s[8:9]
	v_mov_b32_e32 v58, 0
	ds_read_b64 v[58:59], v58 offset:104
	s_waitcnt lgkmcnt(0)
	v_mul_f64 v[56:57], v[56:57], v[58:59]
	scratch_store_dwordx2 off, v[56:57], off offset:104
.LBB89_116:
	;; [unrolled: 53-line block ×14, first 2 shown]
	s_or_b64 exec, exec, s[4:5]
	scratch_load_dwordx2 v[56:57], off, off
	v_cmp_ne_u32_e32 vcc, 0, v0
	s_waitcnt vmcnt(0)
	ds_write_b64 v1, v[56:57]
	s_waitcnt lgkmcnt(0)
	; wave barrier
	s_and_saveexec_b64 s[0:1], vcc
	s_cbranch_execz .LBB89_246
; %bb.237:
	s_andn2_b64 vcc, exec, s[6:7]
	s_cbranch_vccnz .LBB89_239
; %bb.238:
	scratch_load_dwordx2 v[56:57], v19, off
	ds_read_b64 v[58:59], v1
	s_waitcnt vmcnt(0) lgkmcnt(0)
	v_mul_f64 v[56:57], v[56:57], v[58:59]
	s_cbranch_execz .LBB89_240
	s_branch .LBB89_241
.LBB89_239:
                                        ; implicit-def: $vgpr56_vgpr57
.LBB89_240:
	ds_read_b64 v[56:57], v1
.LBB89_241:
	s_and_saveexec_b64 s[4:5], s[2:3]
	s_cbranch_execz .LBB89_245
; %bb.242:
	v_add_u32_e32 v58, -1, v0
	s_movk_i32 s8, 0xd8
	s_mov_b64 s[2:3], 0
.LBB89_243:                             ; =>This Inner Loop Header: Depth=1
	scratch_load_dwordx2 v[60:61], off, s10
	v_mov_b32_e32 v59, s8
	ds_read_b64 v[62:63], v59
	v_add_u32_e32 v58, -1, v58
	s_add_i32 s8, s8, 8
	s_add_i32 s10, s10, 8
	v_cmp_eq_u32_e32 vcc, 0, v58
	s_or_b64 s[2:3], vcc, s[2:3]
	s_waitcnt vmcnt(0) lgkmcnt(0)
	v_fmac_f64_e32 v[56:57], v[60:61], v[62:63]
	s_andn2_b64 exec, exec, s[2:3]
	s_cbranch_execnz .LBB89_243
; %bb.244:
	s_or_b64 exec, exec, s[2:3]
.LBB89_245:
	s_or_b64 exec, exec, s[4:5]
	v_mov_b32_e32 v58, 0
	ds_read_b64 v[58:59], v58
	s_waitcnt lgkmcnt(0)
	v_mul_f64 v[56:57], v[56:57], v[58:59]
	scratch_store_dwordx2 off, v[56:57], off
.LBB89_246:
	s_or_b64 exec, exec, s[0:1]
	s_mov_b64 s[0:1], 0
.LBB89_247:
	s_and_b64 vcc, exec, s[0:1]
	s_cbranch_vccz .LBB89_489
; %bb.248:
	scratch_load_dwordx2 v[56:57], off, off offset:8
	v_cmp_eq_u32_e64 s[2:3], 0, v0
	s_waitcnt vmcnt(0)
	ds_write_b64 v1, v[56:57]
	s_waitcnt lgkmcnt(0)
	; wave barrier
	s_and_saveexec_b64 s[0:1], s[2:3]
	s_cbranch_execz .LBB89_254
; %bb.249:
	s_and_b64 vcc, exec, s[6:7]
	s_cbranch_vccz .LBB89_251
; %bb.250:
	scratch_load_dwordx2 v[56:57], v19, off
	ds_read_b64 v[58:59], v1
	s_waitcnt vmcnt(0) lgkmcnt(0)
	v_mul_f64 v[56:57], v[56:57], v[58:59]
	s_cbranch_execz .LBB89_252
	s_branch .LBB89_253
.LBB89_251:
                                        ; implicit-def: $vgpr56_vgpr57
.LBB89_252:
	ds_read_b64 v[56:57], v1
.LBB89_253:
	v_mov_b32_e32 v58, 0
	ds_read_b64 v[58:59], v58 offset:8
	s_waitcnt lgkmcnt(0)
	v_mul_f64 v[56:57], v[56:57], v[58:59]
	scratch_store_dwordx2 off, v[56:57], off offset:8
.LBB89_254:
	s_or_b64 exec, exec, s[0:1]
	scratch_load_dwordx2 v[56:57], off, off offset:16
	v_cndmask_b32_e64 v58, 0, 1, s[6:7]
	v_cmp_gt_u32_e32 vcc, 2, v0
	v_cmp_ne_u32_e64 s[0:1], 1, v58
	s_waitcnt vmcnt(0)
	ds_write_b64 v1, v[56:57]
	s_waitcnt lgkmcnt(0)
	; wave barrier
	s_and_saveexec_b64 s[4:5], vcc
	s_cbranch_execz .LBB89_260
; %bb.255:
	s_and_b64 vcc, exec, s[0:1]
	s_cbranch_vccnz .LBB89_257
; %bb.256:
	scratch_load_dwordx2 v[56:57], v19, off
	ds_read_b64 v[58:59], v1
	s_waitcnt vmcnt(0) lgkmcnt(0)
	v_mul_f64 v[56:57], v[56:57], v[58:59]
	s_cbranch_execz .LBB89_258
	s_branch .LBB89_259
.LBB89_257:
                                        ; implicit-def: $vgpr56_vgpr57
.LBB89_258:
	ds_read_b64 v[56:57], v1
.LBB89_259:
	scratch_load_dwordx2 v[62:63], off, off offset:8
	v_mov_b32_e32 v58, 0
	ds_read2_b64 v[58:61], v58 offset0:2 offset1:27
	s_waitcnt vmcnt(0) lgkmcnt(0)
	v_fma_f64 v[60:61], v[62:63], v[60:61], v[56:57]
	v_cndmask_b32_e64 v57, v57, v61, s[2:3]
	v_cndmask_b32_e64 v56, v56, v60, s[2:3]
	v_mul_f64 v[56:57], v[56:57], v[58:59]
	scratch_store_dwordx2 off, v[56:57], off offset:16
.LBB89_260:
	s_or_b64 exec, exec, s[4:5]
	scratch_load_dwordx2 v[56:57], off, off offset:24
	v_cmp_gt_u32_e32 vcc, 3, v0
	s_waitcnt vmcnt(0)
	ds_write_b64 v1, v[56:57]
	s_waitcnt lgkmcnt(0)
	; wave barrier
	s_and_saveexec_b64 s[4:5], vcc
	s_cbranch_execz .LBB89_268
; %bb.261:
	s_and_b64 vcc, exec, s[0:1]
	s_cbranch_vccnz .LBB89_263
; %bb.262:
	scratch_load_dwordx2 v[56:57], v19, off
	ds_read_b64 v[58:59], v1
	s_waitcnt vmcnt(0) lgkmcnt(0)
	v_mul_f64 v[56:57], v[56:57], v[58:59]
	s_cbranch_execz .LBB89_264
	s_branch .LBB89_265
.LBB89_263:
                                        ; implicit-def: $vgpr56_vgpr57
.LBB89_264:
	ds_read_b64 v[56:57], v1
.LBB89_265:
	v_cmp_ne_u32_e32 vcc, 2, v0
	s_and_saveexec_b64 s[6:7], vcc
	s_cbranch_execz .LBB89_267
; %bb.266:
	scratch_load_dwordx2 v[58:59], v19, off offset:8
	scratch_load_dwordx2 v[60:61], off, off offset:16
	ds_read_b64 v[62:63], v1 offset:8
	v_mov_b32_e32 v64, 0
	ds_read_b64 v[64:65], v64 offset:224
	s_waitcnt vmcnt(1) lgkmcnt(1)
	v_fmac_f64_e32 v[56:57], v[58:59], v[62:63]
	s_waitcnt vmcnt(0) lgkmcnt(0)
	v_fma_f64 v[58:59], v[60:61], v[64:65], v[56:57]
	v_cndmask_b32_e64 v57, v57, v59, s[2:3]
	v_cndmask_b32_e64 v56, v56, v58, s[2:3]
.LBB89_267:
	s_or_b64 exec, exec, s[6:7]
	v_mov_b32_e32 v58, 0
	ds_read_b64 v[58:59], v58 offset:24
	s_waitcnt lgkmcnt(0)
	v_mul_f64 v[56:57], v[56:57], v[58:59]
	scratch_store_dwordx2 off, v[56:57], off offset:24
.LBB89_268:
	s_or_b64 exec, exec, s[4:5]
	scratch_load_dwordx2 v[56:57], off, off offset:32
	v_cmp_gt_u32_e32 vcc, 4, v0
	s_waitcnt vmcnt(0)
	ds_write_b64 v1, v[56:57]
	s_waitcnt lgkmcnt(0)
	; wave barrier
	s_and_saveexec_b64 s[2:3], vcc
	s_cbranch_execz .LBB89_278
; %bb.269:
	s_and_b64 vcc, exec, s[0:1]
	s_cbranch_vccnz .LBB89_271
; %bb.270:
	scratch_load_dwordx2 v[56:57], v19, off
	ds_read_b64 v[58:59], v1
	s_waitcnt vmcnt(0) lgkmcnt(0)
	v_mul_f64 v[56:57], v[56:57], v[58:59]
	s_cbranch_execz .LBB89_272
	s_branch .LBB89_273
.LBB89_271:
                                        ; implicit-def: $vgpr56_vgpr57
.LBB89_272:
	ds_read_b64 v[56:57], v1
.LBB89_273:
	v_cmp_ne_u32_e32 vcc, 3, v0
	s_and_saveexec_b64 s[4:5], vcc
	s_cbranch_execz .LBB89_277
; %bb.274:
	s_mov_b32 s6, 0
	v_add_u32_e32 v58, 0xd8, v18
	v_add3_u32 v59, v18, s6, 8
	s_mov_b64 s[6:7], 0
	v_mov_b32_e32 v60, v0
.LBB89_275:                             ; =>This Inner Loop Header: Depth=1
	scratch_load_dwordx2 v[62:63], v59, off
	ds_read_b64 v[64:65], v58
	v_add_u32_e32 v60, 1, v60
	v_cmp_lt_u32_e32 vcc, 2, v60
	v_add_u32_e32 v58, 8, v58
	v_add_u32_e32 v59, 8, v59
	s_or_b64 s[6:7], vcc, s[6:7]
	s_waitcnt vmcnt(0) lgkmcnt(0)
	v_fmac_f64_e32 v[56:57], v[62:63], v[64:65]
	s_andn2_b64 exec, exec, s[6:7]
	s_cbranch_execnz .LBB89_275
; %bb.276:
	s_or_b64 exec, exec, s[6:7]
.LBB89_277:
	s_or_b64 exec, exec, s[4:5]
	v_mov_b32_e32 v58, 0
	ds_read_b64 v[58:59], v58 offset:32
	s_waitcnt lgkmcnt(0)
	v_mul_f64 v[56:57], v[56:57], v[58:59]
	scratch_store_dwordx2 off, v[56:57], off offset:32
.LBB89_278:
	s_or_b64 exec, exec, s[2:3]
	scratch_load_dwordx2 v[56:57], off, off offset:40
	v_cmp_gt_u32_e32 vcc, 5, v0
	s_waitcnt vmcnt(0)
	ds_write_b64 v1, v[56:57]
	s_waitcnt lgkmcnt(0)
	; wave barrier
	s_and_saveexec_b64 s[2:3], vcc
	s_cbranch_execz .LBB89_288
; %bb.279:
	s_and_b64 vcc, exec, s[0:1]
	s_cbranch_vccnz .LBB89_281
; %bb.280:
	scratch_load_dwordx2 v[56:57], v19, off
	ds_read_b64 v[58:59], v1
	s_waitcnt vmcnt(0) lgkmcnt(0)
	v_mul_f64 v[56:57], v[56:57], v[58:59]
	s_cbranch_execz .LBB89_282
	s_branch .LBB89_283
.LBB89_281:
                                        ; implicit-def: $vgpr56_vgpr57
.LBB89_282:
	ds_read_b64 v[56:57], v1
.LBB89_283:
	v_cmp_ne_u32_e32 vcc, 4, v0
	s_and_saveexec_b64 s[4:5], vcc
	s_cbranch_execz .LBB89_287
; %bb.284:
	s_mov_b32 s6, 0
	v_add_u32_e32 v58, 0xd8, v18
	v_add3_u32 v59, v18, s6, 8
	s_mov_b64 s[6:7], 0
	v_mov_b32_e32 v60, v0
.LBB89_285:                             ; =>This Inner Loop Header: Depth=1
	scratch_load_dwordx2 v[62:63], v59, off
	ds_read_b64 v[64:65], v58
	v_add_u32_e32 v60, 1, v60
	v_cmp_lt_u32_e32 vcc, 3, v60
	v_add_u32_e32 v58, 8, v58
	v_add_u32_e32 v59, 8, v59
	s_or_b64 s[6:7], vcc, s[6:7]
	s_waitcnt vmcnt(0) lgkmcnt(0)
	v_fmac_f64_e32 v[56:57], v[62:63], v[64:65]
	s_andn2_b64 exec, exec, s[6:7]
	s_cbranch_execnz .LBB89_285
; %bb.286:
	s_or_b64 exec, exec, s[6:7]
.LBB89_287:
	s_or_b64 exec, exec, s[4:5]
	v_mov_b32_e32 v58, 0
	ds_read_b64 v[58:59], v58 offset:40
	s_waitcnt lgkmcnt(0)
	v_mul_f64 v[56:57], v[56:57], v[58:59]
	scratch_store_dwordx2 off, v[56:57], off offset:40
.LBB89_288:
	;; [unrolled: 55-line block ×20, first 2 shown]
	s_or_b64 exec, exec, s[2:3]
	scratch_load_dwordx2 v[56:57], off, off offset:192
	v_cmp_gt_u32_e64 s[2:3], 24, v0
	s_waitcnt vmcnt(0)
	ds_write_b64 v1, v[56:57]
	s_waitcnt lgkmcnt(0)
	; wave barrier
	s_and_saveexec_b64 s[4:5], s[2:3]
	s_cbranch_execz .LBB89_478
; %bb.469:
	s_and_b64 vcc, exec, s[0:1]
	s_cbranch_vccnz .LBB89_471
; %bb.470:
	scratch_load_dwordx2 v[56:57], v19, off
	ds_read_b64 v[58:59], v1
	s_waitcnt vmcnt(0) lgkmcnt(0)
	v_mul_f64 v[56:57], v[56:57], v[58:59]
	s_cbranch_execz .LBB89_472
	s_branch .LBB89_473
.LBB89_471:
                                        ; implicit-def: $vgpr56_vgpr57
.LBB89_472:
	ds_read_b64 v[56:57], v1
.LBB89_473:
	v_cmp_ne_u32_e32 vcc, 23, v0
	s_and_saveexec_b64 s[6:7], vcc
	s_cbranch_execz .LBB89_477
; %bb.474:
	s_mov_b32 s8, 0
	v_add_u32_e32 v58, 0xd8, v18
	v_add3_u32 v59, v18, s8, 8
	s_mov_b64 s[8:9], 0
	v_mov_b32_e32 v60, v0
.LBB89_475:                             ; =>This Inner Loop Header: Depth=1
	scratch_load_dwordx2 v[62:63], v59, off
	ds_read_b64 v[64:65], v58
	v_add_u32_e32 v60, 1, v60
	v_cmp_lt_u32_e32 vcc, 22, v60
	v_add_u32_e32 v58, 8, v58
	v_add_u32_e32 v59, 8, v59
	s_or_b64 s[8:9], vcc, s[8:9]
	s_waitcnt vmcnt(0) lgkmcnt(0)
	v_fmac_f64_e32 v[56:57], v[62:63], v[64:65]
	s_andn2_b64 exec, exec, s[8:9]
	s_cbranch_execnz .LBB89_475
; %bb.476:
	s_or_b64 exec, exec, s[8:9]
.LBB89_477:
	s_or_b64 exec, exec, s[6:7]
	v_mov_b32_e32 v58, 0
	ds_read_b64 v[58:59], v58 offset:192
	s_waitcnt lgkmcnt(0)
	v_mul_f64 v[56:57], v[56:57], v[58:59]
	scratch_store_dwordx2 off, v[56:57], off offset:192
.LBB89_478:
	s_or_b64 exec, exec, s[4:5]
	scratch_load_dwordx2 v[56:57], off, off offset:200
	v_cmp_ne_u32_e32 vcc, 25, v0
	s_waitcnt vmcnt(0)
	ds_write_b64 v1, v[56:57]
	s_waitcnt lgkmcnt(0)
	; wave barrier
	s_and_saveexec_b64 s[4:5], vcc
	s_cbranch_execz .LBB89_488
; %bb.479:
	s_and_b64 vcc, exec, s[0:1]
	s_cbranch_vccnz .LBB89_481
; %bb.480:
	scratch_load_dwordx2 v[56:57], v19, off
	ds_read_b64 v[58:59], v1
	s_waitcnt vmcnt(0) lgkmcnt(0)
	v_mul_f64 v[56:57], v[56:57], v[58:59]
	s_cbranch_execz .LBB89_482
	s_branch .LBB89_483
.LBB89_481:
                                        ; implicit-def: $vgpr56_vgpr57
.LBB89_482:
	ds_read_b64 v[56:57], v1
.LBB89_483:
	s_and_saveexec_b64 s[0:1], s[2:3]
	s_cbranch_execz .LBB89_487
; %bb.484:
	s_mov_b32 s2, 0
	v_add_u32_e32 v1, 0xd8, v18
	v_add3_u32 v18, v18, s2, 8
	s_mov_b64 s[2:3], 0
.LBB89_485:                             ; =>This Inner Loop Header: Depth=1
	scratch_load_dwordx2 v[58:59], v18, off
	ds_read_b64 v[60:61], v1
	v_add_u32_e32 v0, 1, v0
	v_cmp_lt_u32_e32 vcc, 23, v0
	v_add_u32_e32 v1, 8, v1
	v_add_u32_e32 v18, 8, v18
	s_or_b64 s[2:3], vcc, s[2:3]
	s_waitcnt vmcnt(0) lgkmcnt(0)
	v_fmac_f64_e32 v[56:57], v[58:59], v[60:61]
	s_andn2_b64 exec, exec, s[2:3]
	s_cbranch_execnz .LBB89_485
; %bb.486:
	s_or_b64 exec, exec, s[2:3]
.LBB89_487:
	s_or_b64 exec, exec, s[0:1]
	v_mov_b32_e32 v0, 0
	ds_read_b64 v[0:1], v0 offset:200
	s_waitcnt lgkmcnt(0)
	v_mul_f64 v[0:1], v[56:57], v[0:1]
	scratch_store_dwordx2 off, v[0:1], off offset:200
.LBB89_488:
	s_or_b64 exec, exec, s[4:5]
.LBB89_489:
	scratch_load_dwordx2 v[0:1], off, off
	s_waitcnt vmcnt(0)
	flat_store_dwordx2 v[2:3], v[0:1]
	scratch_load_dwordx2 v[0:1], off, off offset:8
	s_waitcnt vmcnt(0)
	flat_store_dwordx2 v[4:5], v[0:1]
	scratch_load_dwordx2 v[0:1], off, off offset:16
	;; [unrolled: 3-line block ×25, first 2 shown]
	s_waitcnt vmcnt(0)
	flat_store_dwordx2 v[54:55], v[0:1]
.LBB89_490:
	s_endpgm
	.section	.rodata,"a",@progbits
	.p2align	6, 0x0
	.amdhsa_kernel _ZN9rocsolver6v33100L18trti2_kernel_smallILi26EdPKPdEEv13rocblas_fill_17rocblas_diagonal_T1_iil
		.amdhsa_group_segment_fixed_size 416
		.amdhsa_private_segment_fixed_size 224
		.amdhsa_kernarg_size 32
		.amdhsa_user_sgpr_count 2
		.amdhsa_user_sgpr_dispatch_ptr 0
		.amdhsa_user_sgpr_queue_ptr 0
		.amdhsa_user_sgpr_kernarg_segment_ptr 1
		.amdhsa_user_sgpr_dispatch_id 0
		.amdhsa_user_sgpr_kernarg_preload_length 0
		.amdhsa_user_sgpr_kernarg_preload_offset 0
		.amdhsa_user_sgpr_private_segment_size 0
		.amdhsa_uses_dynamic_stack 0
		.amdhsa_enable_private_segment 1
		.amdhsa_system_sgpr_workgroup_id_x 1
		.amdhsa_system_sgpr_workgroup_id_y 0
		.amdhsa_system_sgpr_workgroup_id_z 0
		.amdhsa_system_sgpr_workgroup_info 0
		.amdhsa_system_vgpr_workitem_id 0
		.amdhsa_next_free_vgpr 66
		.amdhsa_next_free_sgpr 35
		.amdhsa_accum_offset 68
		.amdhsa_reserve_vcc 1
		.amdhsa_float_round_mode_32 0
		.amdhsa_float_round_mode_16_64 0
		.amdhsa_float_denorm_mode_32 3
		.amdhsa_float_denorm_mode_16_64 3
		.amdhsa_dx10_clamp 1
		.amdhsa_ieee_mode 1
		.amdhsa_fp16_overflow 0
		.amdhsa_tg_split 0
		.amdhsa_exception_fp_ieee_invalid_op 0
		.amdhsa_exception_fp_denorm_src 0
		.amdhsa_exception_fp_ieee_div_zero 0
		.amdhsa_exception_fp_ieee_overflow 0
		.amdhsa_exception_fp_ieee_underflow 0
		.amdhsa_exception_fp_ieee_inexact 0
		.amdhsa_exception_int_div_zero 0
	.end_amdhsa_kernel
	.section	.text._ZN9rocsolver6v33100L18trti2_kernel_smallILi26EdPKPdEEv13rocblas_fill_17rocblas_diagonal_T1_iil,"axG",@progbits,_ZN9rocsolver6v33100L18trti2_kernel_smallILi26EdPKPdEEv13rocblas_fill_17rocblas_diagonal_T1_iil,comdat
.Lfunc_end89:
	.size	_ZN9rocsolver6v33100L18trti2_kernel_smallILi26EdPKPdEEv13rocblas_fill_17rocblas_diagonal_T1_iil, .Lfunc_end89-_ZN9rocsolver6v33100L18trti2_kernel_smallILi26EdPKPdEEv13rocblas_fill_17rocblas_diagonal_T1_iil
                                        ; -- End function
	.set _ZN9rocsolver6v33100L18trti2_kernel_smallILi26EdPKPdEEv13rocblas_fill_17rocblas_diagonal_T1_iil.num_vgpr, 66
	.set _ZN9rocsolver6v33100L18trti2_kernel_smallILi26EdPKPdEEv13rocblas_fill_17rocblas_diagonal_T1_iil.num_agpr, 0
	.set _ZN9rocsolver6v33100L18trti2_kernel_smallILi26EdPKPdEEv13rocblas_fill_17rocblas_diagonal_T1_iil.numbered_sgpr, 35
	.set _ZN9rocsolver6v33100L18trti2_kernel_smallILi26EdPKPdEEv13rocblas_fill_17rocblas_diagonal_T1_iil.num_named_barrier, 0
	.set _ZN9rocsolver6v33100L18trti2_kernel_smallILi26EdPKPdEEv13rocblas_fill_17rocblas_diagonal_T1_iil.private_seg_size, 224
	.set _ZN9rocsolver6v33100L18trti2_kernel_smallILi26EdPKPdEEv13rocblas_fill_17rocblas_diagonal_T1_iil.uses_vcc, 1
	.set _ZN9rocsolver6v33100L18trti2_kernel_smallILi26EdPKPdEEv13rocblas_fill_17rocblas_diagonal_T1_iil.uses_flat_scratch, 0
	.set _ZN9rocsolver6v33100L18trti2_kernel_smallILi26EdPKPdEEv13rocblas_fill_17rocblas_diagonal_T1_iil.has_dyn_sized_stack, 0
	.set _ZN9rocsolver6v33100L18trti2_kernel_smallILi26EdPKPdEEv13rocblas_fill_17rocblas_diagonal_T1_iil.has_recursion, 0
	.set _ZN9rocsolver6v33100L18trti2_kernel_smallILi26EdPKPdEEv13rocblas_fill_17rocblas_diagonal_T1_iil.has_indirect_call, 0
	.section	.AMDGPU.csdata,"",@progbits
; Kernel info:
; codeLenInByte = 12408
; TotalNumSgprs: 41
; NumVgprs: 66
; NumAgprs: 0
; TotalNumVgprs: 66
; ScratchSize: 224
; MemoryBound: 0
; FloatMode: 240
; IeeeMode: 1
; LDSByteSize: 416 bytes/workgroup (compile time only)
; SGPRBlocks: 5
; VGPRBlocks: 8
; NumSGPRsForWavesPerEU: 41
; NumVGPRsForWavesPerEU: 66
; AccumOffset: 68
; Occupancy: 7
; WaveLimiterHint : 1
; COMPUTE_PGM_RSRC2:SCRATCH_EN: 1
; COMPUTE_PGM_RSRC2:USER_SGPR: 2
; COMPUTE_PGM_RSRC2:TRAP_HANDLER: 0
; COMPUTE_PGM_RSRC2:TGID_X_EN: 1
; COMPUTE_PGM_RSRC2:TGID_Y_EN: 0
; COMPUTE_PGM_RSRC2:TGID_Z_EN: 0
; COMPUTE_PGM_RSRC2:TIDIG_COMP_CNT: 0
; COMPUTE_PGM_RSRC3_GFX90A:ACCUM_OFFSET: 16
; COMPUTE_PGM_RSRC3_GFX90A:TG_SPLIT: 0
	.section	.text._ZN9rocsolver6v33100L18trti2_kernel_smallILi27EdPKPdEEv13rocblas_fill_17rocblas_diagonal_T1_iil,"axG",@progbits,_ZN9rocsolver6v33100L18trti2_kernel_smallILi27EdPKPdEEv13rocblas_fill_17rocblas_diagonal_T1_iil,comdat
	.globl	_ZN9rocsolver6v33100L18trti2_kernel_smallILi27EdPKPdEEv13rocblas_fill_17rocblas_diagonal_T1_iil ; -- Begin function _ZN9rocsolver6v33100L18trti2_kernel_smallILi27EdPKPdEEv13rocblas_fill_17rocblas_diagonal_T1_iil
	.p2align	8
	.type	_ZN9rocsolver6v33100L18trti2_kernel_smallILi27EdPKPdEEv13rocblas_fill_17rocblas_diagonal_T1_iil,@function
_ZN9rocsolver6v33100L18trti2_kernel_smallILi27EdPKPdEEv13rocblas_fill_17rocblas_diagonal_T1_iil: ; @_ZN9rocsolver6v33100L18trti2_kernel_smallILi27EdPKPdEEv13rocblas_fill_17rocblas_diagonal_T1_iil
; %bb.0:
	v_cmp_gt_u32_e32 vcc, 27, v0
	s_and_saveexec_b64 s[4:5], vcc
	s_cbranch_execz .LBB90_510
; %bb.1:
	s_load_dwordx2 s[8:9], s[0:1], 0x10
	s_load_dwordx4 s[4:7], s[0:1], 0x0
	s_ashr_i32 s3, s2, 31
	s_lshl_b64 s[0:1], s[2:3], 3
	v_lshlrev_b32_e32 v18, 3, v0
	s_waitcnt lgkmcnt(0)
	s_ashr_i32 s3, s8, 31
	s_add_u32 s0, s6, s0
	s_addc_u32 s1, s7, s1
	s_load_dwordx2 s[0:1], s[0:1], 0x0
	s_mov_b32 s2, s8
	s_lshl_b64 s[2:3], s[2:3], 3
	v_mov_b32_e32 v19, 0
	s_waitcnt lgkmcnt(0)
	s_add_u32 s0, s0, s2
	s_addc_u32 s1, s1, s3
	v_lshl_add_u64 v[2:3], s[0:1], 0, v[18:19]
	flat_load_dwordx2 v[6:7], v[2:3]
	s_mov_b32 s2, s9
	s_ashr_i32 s3, s9, 31
	v_lshl_add_u64 v[4:5], s[2:3], 3, v[2:3]
	s_add_i32 s2, s9, s9
	v_add_u32_e32 v10, s2, v0
	v_ashrrev_i32_e32 v11, 31, v10
	s_cmpk_lg_i32 s5, 0x84
	s_cselect_b64 s[6:7], -1, 0
	s_cmpk_eq_i32 s5, 0x84
	s_waitcnt vmcnt(0) lgkmcnt(0)
	scratch_store_dwordx2 off, v[6:7], off
	flat_load_dwordx2 v[8:9], v[4:5]
	v_lshl_add_u64 v[6:7], v[10:11], 3, s[0:1]
	v_add_u32_e32 v10, s9, v10
	v_ashrrev_i32_e32 v11, 31, v10
	v_add_u32_e32 v14, s9, v10
	v_ashrrev_i32_e32 v15, 31, v14
	s_waitcnt vmcnt(0) lgkmcnt(0)
	scratch_store_dwordx2 off, v[8:9], off offset:8
	flat_load_dwordx2 v[12:13], v[6:7]
	v_lshl_add_u64 v[8:9], v[10:11], 3, s[0:1]
	v_lshl_add_u64 v[10:11], v[14:15], 3, s[0:1]
	v_add_u32_e32 v14, s9, v14
	v_ashrrev_i32_e32 v15, 31, v14
	v_add_u32_e32 v20, s9, v14
	v_ashrrev_i32_e32 v21, 31, v20
	s_waitcnt vmcnt(0) lgkmcnt(0)
	scratch_store_dwordx2 off, v[12:13], off offset:16
	flat_load_dwordx2 v[12:13], v[8:9]
	s_waitcnt vmcnt(0) lgkmcnt(0)
	scratch_store_dwordx2 off, v[12:13], off offset:24
	flat_load_dwordx2 v[16:17], v[10:11]
	v_lshl_add_u64 v[12:13], v[14:15], 3, s[0:1]
	v_lshl_add_u64 v[14:15], v[20:21], 3, s[0:1]
	v_add_u32_e32 v20, s9, v20
	v_ashrrev_i32_e32 v21, 31, v20
	v_add_u32_e32 v24, s9, v20
	v_ashrrev_i32_e32 v25, 31, v24
	s_waitcnt vmcnt(0) lgkmcnt(0)
	scratch_store_dwordx2 off, v[16:17], off offset:32
	flat_load_dwordx2 v[16:17], v[12:13]
	;; [unrolled: 12-line block ×10, first 2 shown]
	s_waitcnt vmcnt(0) lgkmcnt(0)
	scratch_store_dwordx2 off, v[50:51], off offset:168
	flat_load_dwordx2 v[54:55], v[48:49]
	v_lshl_add_u64 v[50:51], v[52:53], 3, s[0:1]
	v_lshl_add_u64 v[52:53], v[56:57], 3, s[0:1]
	v_add_u32_e32 v56, s9, v56
	v_ashrrev_i32_e32 v57, 31, v56
	s_waitcnt vmcnt(0) lgkmcnt(0)
	scratch_store_dwordx2 off, v[54:55], off offset:176
	flat_load_dwordx2 v[54:55], v[50:51]
	s_waitcnt vmcnt(0) lgkmcnt(0)
	scratch_store_dwordx2 off, v[54:55], off offset:184
	flat_load_dwordx2 v[58:59], v[52:53]
	v_lshl_add_u64 v[54:55], v[56:57], 3, s[0:1]
	v_add_u32_e32 v56, s9, v56
	v_ashrrev_i32_e32 v57, 31, v56
	v_lshl_add_u64 v[56:57], v[56:57], 3, s[0:1]
	s_waitcnt vmcnt(0) lgkmcnt(0)
	scratch_store_dwordx2 off, v[58:59], off offset:192
	flat_load_dwordx2 v[58:59], v[54:55]
	s_waitcnt vmcnt(0) lgkmcnt(0)
	scratch_store_dwordx2 off, v[58:59], off offset:200
	flat_load_dwordx2 v[58:59], v[56:57]
	s_waitcnt vmcnt(0) lgkmcnt(0)
	scratch_store_dwordx2 off, v[58:59], off offset:208
	v_mov_b64_e32 v[58:59], -1.0
	s_cbranch_scc1 .LBB90_3
; %bb.2:
	scratch_load_dwordx2 v[58:59], v18, off
	s_waitcnt vmcnt(0)
	v_div_scale_f64 v[60:61], s[0:1], v[58:59], v[58:59], 1.0
	v_rcp_f64_e32 v[62:63], v[60:61]
	v_div_scale_f64 v[64:65], vcc, 1.0, v[58:59], 1.0
	v_fma_f64 v[66:67], -v[60:61], v[62:63], 1.0
	v_fmac_f64_e32 v[62:63], v[62:63], v[66:67]
	v_fma_f64 v[66:67], -v[60:61], v[62:63], 1.0
	v_fmac_f64_e32 v[62:63], v[62:63], v[66:67]
	v_mul_f64 v[66:67], v[64:65], v[62:63]
	v_fma_f64 v[60:61], -v[60:61], v[66:67], v[64:65]
	v_div_fmas_f64 v[60:61], v[60:61], v[62:63], v[66:67]
	v_div_fixup_f64 v[58:59], v[60:61], v[58:59], 1.0
	scratch_store_dwordx2 v18, v[58:59], off
	v_xor_b32_e32 v59, 0x80000000, v59
.LBB90_3:
	s_cmpk_eq_i32 s4, 0x79
	v_add_u32_e32 v1, 0xe0, v18
	v_mov_b32_e32 v19, v18
	s_mov_b64 s[0:1], -1
	ds_write_b64 v18, v[58:59]
	s_cbranch_scc1 .LBB90_257
; %bb.4:
	scratch_load_dwordx2 v[58:59], off, off offset:200
	s_movk_i32 s8, 0x48
	s_movk_i32 s9, 0x50
	;; [unrolled: 1-line block ×16, first 2 shown]
	v_cmp_eq_u32_e64 s[0:1], 26, v0
	s_waitcnt vmcnt(0)
	ds_write_b64 v1, v[58:59]
	s_waitcnt lgkmcnt(0)
	; wave barrier
	s_and_saveexec_b64 s[2:3], s[0:1]
	s_cbranch_execz .LBB90_10
; %bb.5:
	s_and_b64 vcc, exec, s[6:7]
	s_cbranch_vccz .LBB90_7
; %bb.6:
	scratch_load_dwordx2 v[58:59], v19, off
	ds_read_b64 v[60:61], v1
	s_waitcnt vmcnt(0) lgkmcnt(0)
	v_mul_f64 v[58:59], v[58:59], v[60:61]
	s_cbranch_execz .LBB90_8
	s_branch .LBB90_9
.LBB90_7:
                                        ; implicit-def: $vgpr58_vgpr59
.LBB90_8:
	ds_read_b64 v[58:59], v1
.LBB90_9:
	v_mov_b32_e32 v60, 0
	ds_read_b64 v[60:61], v60 offset:200
	s_waitcnt lgkmcnt(0)
	v_mul_f64 v[58:59], v[58:59], v[60:61]
	scratch_store_dwordx2 off, v[58:59], off offset:200
.LBB90_10:
	s_or_b64 exec, exec, s[2:3]
	scratch_load_dwordx2 v[58:59], off, off offset:192
	s_or_b32 s10, 0, 8
	s_mov_b32 s11, 16
	s_mov_b32 s12, 24
	;; [unrolled: 1-line block ×9, first 2 shown]
	v_cmp_lt_u32_e64 s[2:3], 24, v0
	s_waitcnt vmcnt(0)
	ds_write_b64 v1, v[58:59]
	s_waitcnt lgkmcnt(0)
	; wave barrier
	s_and_saveexec_b64 s[4:5], s[2:3]
	s_cbranch_execz .LBB90_16
; %bb.11:
	s_andn2_b64 vcc, exec, s[6:7]
	s_cbranch_vccnz .LBB90_13
; %bb.12:
	scratch_load_dwordx2 v[58:59], v19, off
	ds_read_b64 v[60:61], v1
	s_waitcnt vmcnt(0) lgkmcnt(0)
	v_mul_f64 v[58:59], v[58:59], v[60:61]
	s_cbranch_execz .LBB90_14
	s_branch .LBB90_15
.LBB90_13:
                                        ; implicit-def: $vgpr58_vgpr59
.LBB90_14:
	ds_read_b64 v[58:59], v1
.LBB90_15:
	scratch_load_dwordx2 v[64:65], off, off offset:200
	v_mov_b32_e32 v60, 0
	ds_read2_b64 v[60:63], v60 offset0:24 offset1:53
	s_waitcnt vmcnt(0) lgkmcnt(0)
	v_fma_f64 v[62:63], v[64:65], v[62:63], v[58:59]
	v_cndmask_b32_e64 v59, v59, v63, s[0:1]
	v_cndmask_b32_e64 v58, v58, v62, s[0:1]
	v_mul_f64 v[58:59], v[58:59], v[60:61]
	scratch_store_dwordx2 off, v[58:59], off offset:192
.LBB90_16:
	s_or_b64 exec, exec, s[4:5]
	scratch_load_dwordx2 v[58:59], off, off offset:184
	v_cmp_lt_u32_e64 s[0:1], 23, v0
	s_waitcnt vmcnt(0)
	ds_write_b64 v1, v[58:59]
	s_waitcnt lgkmcnt(0)
	; wave barrier
	s_and_saveexec_b64 s[4:5], s[0:1]
	s_cbranch_execz .LBB90_26
; %bb.17:
	s_andn2_b64 vcc, exec, s[6:7]
	s_cbranch_vccnz .LBB90_19
; %bb.18:
	scratch_load_dwordx2 v[58:59], v19, off
	ds_read_b64 v[60:61], v1
	s_waitcnt vmcnt(0) lgkmcnt(0)
	v_mul_f64 v[58:59], v[58:59], v[60:61]
	s_cbranch_execz .LBB90_20
	s_branch .LBB90_21
.LBB90_19:
                                        ; implicit-def: $vgpr58_vgpr59
.LBB90_20:
	ds_read_b64 v[58:59], v1
.LBB90_21:
	s_and_saveexec_b64 s[8:9], s[2:3]
	s_cbranch_execz .LBB90_25
; %bb.22:
	v_subrev_u32_e32 v60, 24, v0
	s_movk_i32 s35, 0x1a0
	s_mov_b64 s[2:3], 0
.LBB90_23:                              ; =>This Inner Loop Header: Depth=1
	scratch_load_dwordx2 v[62:63], off, s34
	v_mov_b32_e32 v61, s35
	ds_read_b64 v[64:65], v61
	v_add_u32_e32 v60, -1, v60
	s_add_i32 s35, s35, 8
	s_add_i32 s34, s34, 8
	v_cmp_eq_u32_e32 vcc, 0, v60
	s_or_b64 s[2:3], vcc, s[2:3]
	s_waitcnt vmcnt(0) lgkmcnt(0)
	v_fmac_f64_e32 v[58:59], v[62:63], v[64:65]
	s_andn2_b64 exec, exec, s[2:3]
	s_cbranch_execnz .LBB90_23
; %bb.24:
	s_or_b64 exec, exec, s[2:3]
.LBB90_25:
	s_or_b64 exec, exec, s[8:9]
	v_mov_b32_e32 v60, 0
	ds_read_b64 v[60:61], v60 offset:184
	s_waitcnt lgkmcnt(0)
	v_mul_f64 v[58:59], v[58:59], v[60:61]
	scratch_store_dwordx2 off, v[58:59], off offset:184
.LBB90_26:
	s_or_b64 exec, exec, s[4:5]
	scratch_load_dwordx2 v[58:59], off, off offset:176
	v_cmp_lt_u32_e64 s[2:3], 22, v0
	s_waitcnt vmcnt(0)
	ds_write_b64 v1, v[58:59]
	s_waitcnt lgkmcnt(0)
	; wave barrier
	s_and_saveexec_b64 s[4:5], s[2:3]
	s_cbranch_execz .LBB90_36
; %bb.27:
	s_andn2_b64 vcc, exec, s[6:7]
	s_cbranch_vccnz .LBB90_29
; %bb.28:
	scratch_load_dwordx2 v[58:59], v19, off
	ds_read_b64 v[60:61], v1
	s_waitcnt vmcnt(0) lgkmcnt(0)
	v_mul_f64 v[58:59], v[58:59], v[60:61]
	s_cbranch_execz .LBB90_30
	s_branch .LBB90_31
.LBB90_29:
                                        ; implicit-def: $vgpr58_vgpr59
.LBB90_30:
	ds_read_b64 v[58:59], v1
.LBB90_31:
	s_and_saveexec_b64 s[8:9], s[0:1]
	s_cbranch_execz .LBB90_35
; %bb.32:
	v_subrev_u32_e32 v60, 23, v0
	s_movk_i32 s34, 0x198
	s_mov_b64 s[0:1], 0
.LBB90_33:                              ; =>This Inner Loop Header: Depth=1
	scratch_load_dwordx2 v[62:63], off, s33
	v_mov_b32_e32 v61, s34
	ds_read_b64 v[64:65], v61
	v_add_u32_e32 v60, -1, v60
	s_add_i32 s34, s34, 8
	s_add_i32 s33, s33, 8
	v_cmp_eq_u32_e32 vcc, 0, v60
	s_or_b64 s[0:1], vcc, s[0:1]
	s_waitcnt vmcnt(0) lgkmcnt(0)
	v_fmac_f64_e32 v[58:59], v[62:63], v[64:65]
	s_andn2_b64 exec, exec, s[0:1]
	s_cbranch_execnz .LBB90_33
; %bb.34:
	s_or_b64 exec, exec, s[0:1]
.LBB90_35:
	s_or_b64 exec, exec, s[8:9]
	v_mov_b32_e32 v60, 0
	ds_read_b64 v[60:61], v60 offset:176
	s_waitcnt lgkmcnt(0)
	v_mul_f64 v[58:59], v[58:59], v[60:61]
	scratch_store_dwordx2 off, v[58:59], off offset:176
.LBB90_36:
	;; [unrolled: 53-line block ×8, first 2 shown]
	s_or_b64 exec, exec, s[4:5]
	scratch_load_dwordx2 v[58:59], off, off offset:120
	v_cmp_lt_u32_e64 s[0:1], 15, v0
	s_waitcnt vmcnt(0)
	ds_write_b64 v1, v[58:59]
	s_waitcnt lgkmcnt(0)
	; wave barrier
	s_and_saveexec_b64 s[4:5], s[0:1]
	s_cbranch_execz .LBB90_106
; %bb.97:
	s_andn2_b64 vcc, exec, s[6:7]
	s_cbranch_vccnz .LBB90_99
; %bb.98:
	scratch_load_dwordx2 v[58:59], v19, off
	ds_read_b64 v[60:61], v1
	s_waitcnt vmcnt(0) lgkmcnt(0)
	v_mul_f64 v[58:59], v[58:59], v[60:61]
	s_cbranch_execz .LBB90_100
	s_branch .LBB90_101
.LBB90_99:
                                        ; implicit-def: $vgpr58_vgpr59
.LBB90_100:
	ds_read_b64 v[58:59], v1
.LBB90_101:
	s_and_saveexec_b64 s[8:9], s[2:3]
	s_cbranch_execz .LBB90_105
; %bb.102:
	v_add_u32_e32 v60, -16, v0
	s_movk_i32 s26, 0x160
	s_mov_b64 s[2:3], 0
.LBB90_103:                             ; =>This Inner Loop Header: Depth=1
	scratch_load_dwordx2 v[62:63], off, s25
	v_mov_b32_e32 v61, s26
	ds_read_b64 v[64:65], v61
	v_add_u32_e32 v60, -1, v60
	s_add_i32 s26, s26, 8
	s_add_i32 s25, s25, 8
	v_cmp_eq_u32_e32 vcc, 0, v60
	s_or_b64 s[2:3], vcc, s[2:3]
	s_waitcnt vmcnt(0) lgkmcnt(0)
	v_fmac_f64_e32 v[58:59], v[62:63], v[64:65]
	s_andn2_b64 exec, exec, s[2:3]
	s_cbranch_execnz .LBB90_103
; %bb.104:
	s_or_b64 exec, exec, s[2:3]
.LBB90_105:
	s_or_b64 exec, exec, s[8:9]
	v_mov_b32_e32 v60, 0
	ds_read_b64 v[60:61], v60 offset:120
	s_waitcnt lgkmcnt(0)
	v_mul_f64 v[58:59], v[58:59], v[60:61]
	scratch_store_dwordx2 off, v[58:59], off offset:120
.LBB90_106:
	s_or_b64 exec, exec, s[4:5]
	scratch_load_dwordx2 v[58:59], off, off offset:112
	v_cmp_lt_u32_e64 s[2:3], 14, v0
	s_waitcnt vmcnt(0)
	ds_write_b64 v1, v[58:59]
	s_waitcnt lgkmcnt(0)
	; wave barrier
	s_and_saveexec_b64 s[4:5], s[2:3]
	s_cbranch_execz .LBB90_116
; %bb.107:
	s_andn2_b64 vcc, exec, s[6:7]
	s_cbranch_vccnz .LBB90_109
; %bb.108:
	scratch_load_dwordx2 v[58:59], v19, off
	ds_read_b64 v[60:61], v1
	s_waitcnt vmcnt(0) lgkmcnt(0)
	v_mul_f64 v[58:59], v[58:59], v[60:61]
	s_cbranch_execz .LBB90_110
	s_branch .LBB90_111
.LBB90_109:
                                        ; implicit-def: $vgpr58_vgpr59
.LBB90_110:
	ds_read_b64 v[58:59], v1
.LBB90_111:
	s_and_saveexec_b64 s[8:9], s[0:1]
	s_cbranch_execz .LBB90_115
; %bb.112:
	v_add_u32_e32 v60, -15, v0
	s_movk_i32 s25, 0x158
	s_mov_b64 s[0:1], 0
.LBB90_113:                             ; =>This Inner Loop Header: Depth=1
	scratch_load_dwordx2 v[62:63], off, s24
	v_mov_b32_e32 v61, s25
	ds_read_b64 v[64:65], v61
	v_add_u32_e32 v60, -1, v60
	s_add_i32 s25, s25, 8
	s_add_i32 s24, s24, 8
	v_cmp_eq_u32_e32 vcc, 0, v60
	s_or_b64 s[0:1], vcc, s[0:1]
	s_waitcnt vmcnt(0) lgkmcnt(0)
	v_fmac_f64_e32 v[58:59], v[62:63], v[64:65]
	s_andn2_b64 exec, exec, s[0:1]
	s_cbranch_execnz .LBB90_113
; %bb.114:
	s_or_b64 exec, exec, s[0:1]
.LBB90_115:
	s_or_b64 exec, exec, s[8:9]
	v_mov_b32_e32 v60, 0
	ds_read_b64 v[60:61], v60 offset:112
	s_waitcnt lgkmcnt(0)
	v_mul_f64 v[58:59], v[58:59], v[60:61]
	scratch_store_dwordx2 off, v[58:59], off offset:112
.LBB90_116:
	;; [unrolled: 53-line block ×15, first 2 shown]
	s_or_b64 exec, exec, s[4:5]
	scratch_load_dwordx2 v[58:59], off, off
	v_cmp_ne_u32_e32 vcc, 0, v0
	s_waitcnt vmcnt(0)
	ds_write_b64 v1, v[58:59]
	s_waitcnt lgkmcnt(0)
	; wave barrier
	s_and_saveexec_b64 s[2:3], vcc
	s_cbranch_execz .LBB90_256
; %bb.247:
	s_andn2_b64 vcc, exec, s[6:7]
	s_cbranch_vccnz .LBB90_249
; %bb.248:
	scratch_load_dwordx2 v[58:59], v19, off
	ds_read_b64 v[60:61], v1
	s_waitcnt vmcnt(0) lgkmcnt(0)
	v_mul_f64 v[58:59], v[58:59], v[60:61]
	s_cbranch_execz .LBB90_250
	s_branch .LBB90_251
.LBB90_249:
                                        ; implicit-def: $vgpr58_vgpr59
.LBB90_250:
	ds_read_b64 v[58:59], v1
.LBB90_251:
	s_and_saveexec_b64 s[4:5], s[0:1]
	s_cbranch_execz .LBB90_255
; %bb.252:
	v_add_u32_e32 v60, -1, v0
	s_movk_i32 s8, 0xe8
	s_mov_b64 s[0:1], 0
.LBB90_253:                             ; =>This Inner Loop Header: Depth=1
	scratch_load_dwordx2 v[62:63], off, s10
	v_mov_b32_e32 v61, s8
	ds_read_b64 v[64:65], v61
	v_add_u32_e32 v60, -1, v60
	s_add_i32 s8, s8, 8
	s_add_i32 s10, s10, 8
	v_cmp_eq_u32_e32 vcc, 0, v60
	s_or_b64 s[0:1], vcc, s[0:1]
	s_waitcnt vmcnt(0) lgkmcnt(0)
	v_fmac_f64_e32 v[58:59], v[62:63], v[64:65]
	s_andn2_b64 exec, exec, s[0:1]
	s_cbranch_execnz .LBB90_253
; %bb.254:
	s_or_b64 exec, exec, s[0:1]
.LBB90_255:
	s_or_b64 exec, exec, s[4:5]
	v_mov_b32_e32 v60, 0
	ds_read_b64 v[60:61], v60
	s_waitcnt lgkmcnt(0)
	v_mul_f64 v[58:59], v[58:59], v[60:61]
	scratch_store_dwordx2 off, v[58:59], off
.LBB90_256:
	s_or_b64 exec, exec, s[2:3]
	s_mov_b64 s[0:1], 0
.LBB90_257:
	s_and_b64 vcc, exec, s[0:1]
	s_cbranch_vccz .LBB90_509
; %bb.258:
	scratch_load_dwordx2 v[58:59], off, off offset:8
	v_cmp_eq_u32_e64 s[2:3], 0, v0
	s_waitcnt vmcnt(0)
	ds_write_b64 v1, v[58:59]
	s_waitcnt lgkmcnt(0)
	; wave barrier
	s_and_saveexec_b64 s[0:1], s[2:3]
	s_cbranch_execz .LBB90_264
; %bb.259:
	s_and_b64 vcc, exec, s[6:7]
	s_cbranch_vccz .LBB90_261
; %bb.260:
	scratch_load_dwordx2 v[58:59], v19, off
	ds_read_b64 v[60:61], v1
	s_waitcnt vmcnt(0) lgkmcnt(0)
	v_mul_f64 v[58:59], v[58:59], v[60:61]
	s_cbranch_execz .LBB90_262
	s_branch .LBB90_263
.LBB90_261:
                                        ; implicit-def: $vgpr58_vgpr59
.LBB90_262:
	ds_read_b64 v[58:59], v1
.LBB90_263:
	v_mov_b32_e32 v60, 0
	ds_read_b64 v[60:61], v60 offset:8
	s_waitcnt lgkmcnt(0)
	v_mul_f64 v[58:59], v[58:59], v[60:61]
	scratch_store_dwordx2 off, v[58:59], off offset:8
.LBB90_264:
	s_or_b64 exec, exec, s[0:1]
	scratch_load_dwordx2 v[58:59], off, off offset:16
	v_cndmask_b32_e64 v60, 0, 1, s[6:7]
	v_cmp_gt_u32_e32 vcc, 2, v0
	v_cmp_ne_u32_e64 s[0:1], 1, v60
	s_waitcnt vmcnt(0)
	ds_write_b64 v1, v[58:59]
	s_waitcnt lgkmcnt(0)
	; wave barrier
	s_and_saveexec_b64 s[4:5], vcc
	s_cbranch_execz .LBB90_270
; %bb.265:
	s_and_b64 vcc, exec, s[0:1]
	s_cbranch_vccnz .LBB90_267
; %bb.266:
	scratch_load_dwordx2 v[58:59], v19, off
	ds_read_b64 v[60:61], v1
	s_waitcnt vmcnt(0) lgkmcnt(0)
	v_mul_f64 v[58:59], v[58:59], v[60:61]
	s_cbranch_execz .LBB90_268
	s_branch .LBB90_269
.LBB90_267:
                                        ; implicit-def: $vgpr58_vgpr59
.LBB90_268:
	ds_read_b64 v[58:59], v1
.LBB90_269:
	scratch_load_dwordx2 v[64:65], off, off offset:8
	v_mov_b32_e32 v60, 0
	ds_read2_b64 v[60:63], v60 offset0:2 offset1:29
	s_waitcnt vmcnt(0) lgkmcnt(0)
	v_fma_f64 v[62:63], v[64:65], v[62:63], v[58:59]
	v_cndmask_b32_e64 v59, v59, v63, s[2:3]
	v_cndmask_b32_e64 v58, v58, v62, s[2:3]
	v_mul_f64 v[58:59], v[58:59], v[60:61]
	scratch_store_dwordx2 off, v[58:59], off offset:16
.LBB90_270:
	s_or_b64 exec, exec, s[4:5]
	scratch_load_dwordx2 v[58:59], off, off offset:24
	v_cmp_gt_u32_e32 vcc, 3, v0
	s_waitcnt vmcnt(0)
	ds_write_b64 v1, v[58:59]
	s_waitcnt lgkmcnt(0)
	; wave barrier
	s_and_saveexec_b64 s[4:5], vcc
	s_cbranch_execz .LBB90_278
; %bb.271:
	s_and_b64 vcc, exec, s[0:1]
	s_cbranch_vccnz .LBB90_273
; %bb.272:
	scratch_load_dwordx2 v[58:59], v19, off
	ds_read_b64 v[60:61], v1
	s_waitcnt vmcnt(0) lgkmcnt(0)
	v_mul_f64 v[58:59], v[58:59], v[60:61]
	s_cbranch_execz .LBB90_274
	s_branch .LBB90_275
.LBB90_273:
                                        ; implicit-def: $vgpr58_vgpr59
.LBB90_274:
	ds_read_b64 v[58:59], v1
.LBB90_275:
	v_cmp_ne_u32_e32 vcc, 2, v0
	s_and_saveexec_b64 s[6:7], vcc
	s_cbranch_execz .LBB90_277
; %bb.276:
	scratch_load_dwordx2 v[60:61], v19, off offset:8
	scratch_load_dwordx2 v[62:63], off, off offset:16
	ds_read_b64 v[64:65], v1 offset:8
	v_mov_b32_e32 v66, 0
	ds_read_b64 v[66:67], v66 offset:240
	s_waitcnt vmcnt(1) lgkmcnt(1)
	v_fmac_f64_e32 v[58:59], v[60:61], v[64:65]
	s_waitcnt vmcnt(0) lgkmcnt(0)
	v_fma_f64 v[60:61], v[62:63], v[66:67], v[58:59]
	v_cndmask_b32_e64 v59, v59, v61, s[2:3]
	v_cndmask_b32_e64 v58, v58, v60, s[2:3]
.LBB90_277:
	s_or_b64 exec, exec, s[6:7]
	v_mov_b32_e32 v60, 0
	ds_read_b64 v[60:61], v60 offset:24
	s_waitcnt lgkmcnt(0)
	v_mul_f64 v[58:59], v[58:59], v[60:61]
	scratch_store_dwordx2 off, v[58:59], off offset:24
.LBB90_278:
	s_or_b64 exec, exec, s[4:5]
	scratch_load_dwordx2 v[58:59], off, off offset:32
	v_cmp_gt_u32_e32 vcc, 4, v0
	s_waitcnt vmcnt(0)
	ds_write_b64 v1, v[58:59]
	s_waitcnt lgkmcnt(0)
	; wave barrier
	s_and_saveexec_b64 s[2:3], vcc
	s_cbranch_execz .LBB90_288
; %bb.279:
	s_and_b64 vcc, exec, s[0:1]
	s_cbranch_vccnz .LBB90_281
; %bb.280:
	scratch_load_dwordx2 v[58:59], v19, off
	ds_read_b64 v[60:61], v1
	s_waitcnt vmcnt(0) lgkmcnt(0)
	v_mul_f64 v[58:59], v[58:59], v[60:61]
	s_cbranch_execz .LBB90_282
	s_branch .LBB90_283
.LBB90_281:
                                        ; implicit-def: $vgpr58_vgpr59
.LBB90_282:
	ds_read_b64 v[58:59], v1
.LBB90_283:
	v_cmp_ne_u32_e32 vcc, 3, v0
	s_and_saveexec_b64 s[4:5], vcc
	s_cbranch_execz .LBB90_287
; %bb.284:
	s_mov_b32 s6, 0
	v_add_u32_e32 v60, 0xe8, v18
	v_add3_u32 v61, v18, s6, 8
	s_mov_b64 s[6:7], 0
	v_mov_b32_e32 v62, v0
.LBB90_285:                             ; =>This Inner Loop Header: Depth=1
	scratch_load_dwordx2 v[64:65], v61, off
	ds_read_b64 v[66:67], v60
	v_add_u32_e32 v62, 1, v62
	v_cmp_lt_u32_e32 vcc, 2, v62
	v_add_u32_e32 v60, 8, v60
	v_add_u32_e32 v61, 8, v61
	s_or_b64 s[6:7], vcc, s[6:7]
	s_waitcnt vmcnt(0) lgkmcnt(0)
	v_fmac_f64_e32 v[58:59], v[64:65], v[66:67]
	s_andn2_b64 exec, exec, s[6:7]
	s_cbranch_execnz .LBB90_285
; %bb.286:
	s_or_b64 exec, exec, s[6:7]
.LBB90_287:
	s_or_b64 exec, exec, s[4:5]
	v_mov_b32_e32 v60, 0
	ds_read_b64 v[60:61], v60 offset:32
	s_waitcnt lgkmcnt(0)
	v_mul_f64 v[58:59], v[58:59], v[60:61]
	scratch_store_dwordx2 off, v[58:59], off offset:32
.LBB90_288:
	s_or_b64 exec, exec, s[2:3]
	scratch_load_dwordx2 v[58:59], off, off offset:40
	v_cmp_gt_u32_e32 vcc, 5, v0
	s_waitcnt vmcnt(0)
	ds_write_b64 v1, v[58:59]
	s_waitcnt lgkmcnt(0)
	; wave barrier
	s_and_saveexec_b64 s[2:3], vcc
	s_cbranch_execz .LBB90_298
; %bb.289:
	s_and_b64 vcc, exec, s[0:1]
	s_cbranch_vccnz .LBB90_291
; %bb.290:
	scratch_load_dwordx2 v[58:59], v19, off
	ds_read_b64 v[60:61], v1
	s_waitcnt vmcnt(0) lgkmcnt(0)
	v_mul_f64 v[58:59], v[58:59], v[60:61]
	s_cbranch_execz .LBB90_292
	s_branch .LBB90_293
.LBB90_291:
                                        ; implicit-def: $vgpr58_vgpr59
.LBB90_292:
	ds_read_b64 v[58:59], v1
.LBB90_293:
	v_cmp_ne_u32_e32 vcc, 4, v0
	s_and_saveexec_b64 s[4:5], vcc
	s_cbranch_execz .LBB90_297
; %bb.294:
	s_mov_b32 s6, 0
	v_add_u32_e32 v60, 0xe8, v18
	v_add3_u32 v61, v18, s6, 8
	s_mov_b64 s[6:7], 0
	v_mov_b32_e32 v62, v0
.LBB90_295:                             ; =>This Inner Loop Header: Depth=1
	scratch_load_dwordx2 v[64:65], v61, off
	ds_read_b64 v[66:67], v60
	v_add_u32_e32 v62, 1, v62
	v_cmp_lt_u32_e32 vcc, 3, v62
	v_add_u32_e32 v60, 8, v60
	v_add_u32_e32 v61, 8, v61
	s_or_b64 s[6:7], vcc, s[6:7]
	s_waitcnt vmcnt(0) lgkmcnt(0)
	v_fmac_f64_e32 v[58:59], v[64:65], v[66:67]
	s_andn2_b64 exec, exec, s[6:7]
	s_cbranch_execnz .LBB90_295
; %bb.296:
	s_or_b64 exec, exec, s[6:7]
.LBB90_297:
	s_or_b64 exec, exec, s[4:5]
	v_mov_b32_e32 v60, 0
	ds_read_b64 v[60:61], v60 offset:40
	s_waitcnt lgkmcnt(0)
	v_mul_f64 v[58:59], v[58:59], v[60:61]
	scratch_store_dwordx2 off, v[58:59], off offset:40
.LBB90_298:
	;; [unrolled: 55-line block ×21, first 2 shown]
	s_or_b64 exec, exec, s[2:3]
	scratch_load_dwordx2 v[58:59], off, off offset:200
	v_cmp_gt_u32_e64 s[2:3], 25, v0
	s_waitcnt vmcnt(0)
	ds_write_b64 v1, v[58:59]
	s_waitcnt lgkmcnt(0)
	; wave barrier
	s_and_saveexec_b64 s[4:5], s[2:3]
	s_cbranch_execz .LBB90_498
; %bb.489:
	s_and_b64 vcc, exec, s[0:1]
	s_cbranch_vccnz .LBB90_491
; %bb.490:
	scratch_load_dwordx2 v[58:59], v19, off
	ds_read_b64 v[60:61], v1
	s_waitcnt vmcnt(0) lgkmcnt(0)
	v_mul_f64 v[58:59], v[58:59], v[60:61]
	s_cbranch_execz .LBB90_492
	s_branch .LBB90_493
.LBB90_491:
                                        ; implicit-def: $vgpr58_vgpr59
.LBB90_492:
	ds_read_b64 v[58:59], v1
.LBB90_493:
	v_cmp_ne_u32_e32 vcc, 24, v0
	s_and_saveexec_b64 s[6:7], vcc
	s_cbranch_execz .LBB90_497
; %bb.494:
	s_mov_b32 s8, 0
	v_add_u32_e32 v60, 0xe8, v18
	v_add3_u32 v61, v18, s8, 8
	s_mov_b64 s[8:9], 0
	v_mov_b32_e32 v62, v0
.LBB90_495:                             ; =>This Inner Loop Header: Depth=1
	scratch_load_dwordx2 v[64:65], v61, off
	ds_read_b64 v[66:67], v60
	v_add_u32_e32 v62, 1, v62
	v_cmp_lt_u32_e32 vcc, 23, v62
	v_add_u32_e32 v60, 8, v60
	v_add_u32_e32 v61, 8, v61
	s_or_b64 s[8:9], vcc, s[8:9]
	s_waitcnt vmcnt(0) lgkmcnt(0)
	v_fmac_f64_e32 v[58:59], v[64:65], v[66:67]
	s_andn2_b64 exec, exec, s[8:9]
	s_cbranch_execnz .LBB90_495
; %bb.496:
	s_or_b64 exec, exec, s[8:9]
.LBB90_497:
	s_or_b64 exec, exec, s[6:7]
	v_mov_b32_e32 v60, 0
	ds_read_b64 v[60:61], v60 offset:200
	s_waitcnt lgkmcnt(0)
	v_mul_f64 v[58:59], v[58:59], v[60:61]
	scratch_store_dwordx2 off, v[58:59], off offset:200
.LBB90_498:
	s_or_b64 exec, exec, s[4:5]
	scratch_load_dwordx2 v[58:59], off, off offset:208
	v_cmp_ne_u32_e32 vcc, 26, v0
	s_waitcnt vmcnt(0)
	ds_write_b64 v1, v[58:59]
	s_waitcnt lgkmcnt(0)
	; wave barrier
	s_and_saveexec_b64 s[4:5], vcc
	s_cbranch_execz .LBB90_508
; %bb.499:
	s_and_b64 vcc, exec, s[0:1]
	s_cbranch_vccnz .LBB90_501
; %bb.500:
	scratch_load_dwordx2 v[58:59], v19, off
	ds_read_b64 v[60:61], v1
	s_waitcnt vmcnt(0) lgkmcnt(0)
	v_mul_f64 v[58:59], v[58:59], v[60:61]
	s_cbranch_execz .LBB90_502
	s_branch .LBB90_503
.LBB90_501:
                                        ; implicit-def: $vgpr58_vgpr59
.LBB90_502:
	ds_read_b64 v[58:59], v1
.LBB90_503:
	s_and_saveexec_b64 s[0:1], s[2:3]
	s_cbranch_execz .LBB90_507
; %bb.504:
	s_mov_b32 s2, 0
	v_add_u32_e32 v1, 0xe8, v18
	v_add3_u32 v18, v18, s2, 8
	s_mov_b64 s[2:3], 0
.LBB90_505:                             ; =>This Inner Loop Header: Depth=1
	scratch_load_dwordx2 v[60:61], v18, off
	ds_read_b64 v[62:63], v1
	v_add_u32_e32 v0, 1, v0
	v_cmp_lt_u32_e32 vcc, 24, v0
	v_add_u32_e32 v1, 8, v1
	v_add_u32_e32 v18, 8, v18
	s_or_b64 s[2:3], vcc, s[2:3]
	s_waitcnt vmcnt(0) lgkmcnt(0)
	v_fmac_f64_e32 v[58:59], v[60:61], v[62:63]
	s_andn2_b64 exec, exec, s[2:3]
	s_cbranch_execnz .LBB90_505
; %bb.506:
	s_or_b64 exec, exec, s[2:3]
.LBB90_507:
	s_or_b64 exec, exec, s[0:1]
	v_mov_b32_e32 v0, 0
	ds_read_b64 v[0:1], v0 offset:208
	s_waitcnt lgkmcnt(0)
	v_mul_f64 v[0:1], v[58:59], v[0:1]
	scratch_store_dwordx2 off, v[0:1], off offset:208
.LBB90_508:
	s_or_b64 exec, exec, s[4:5]
.LBB90_509:
	scratch_load_dwordx2 v[0:1], off, off
	s_waitcnt vmcnt(0)
	flat_store_dwordx2 v[2:3], v[0:1]
	scratch_load_dwordx2 v[0:1], off, off offset:8
	s_waitcnt vmcnt(0)
	flat_store_dwordx2 v[4:5], v[0:1]
	scratch_load_dwordx2 v[0:1], off, off offset:16
	;; [unrolled: 3-line block ×26, first 2 shown]
	s_waitcnt vmcnt(0)
	flat_store_dwordx2 v[56:57], v[0:1]
.LBB90_510:
	s_endpgm
	.section	.rodata,"a",@progbits
	.p2align	6, 0x0
	.amdhsa_kernel _ZN9rocsolver6v33100L18trti2_kernel_smallILi27EdPKPdEEv13rocblas_fill_17rocblas_diagonal_T1_iil
		.amdhsa_group_segment_fixed_size 440
		.amdhsa_private_segment_fixed_size 224
		.amdhsa_kernarg_size 32
		.amdhsa_user_sgpr_count 2
		.amdhsa_user_sgpr_dispatch_ptr 0
		.amdhsa_user_sgpr_queue_ptr 0
		.amdhsa_user_sgpr_kernarg_segment_ptr 1
		.amdhsa_user_sgpr_dispatch_id 0
		.amdhsa_user_sgpr_kernarg_preload_length 0
		.amdhsa_user_sgpr_kernarg_preload_offset 0
		.amdhsa_user_sgpr_private_segment_size 0
		.amdhsa_uses_dynamic_stack 0
		.amdhsa_enable_private_segment 1
		.amdhsa_system_sgpr_workgroup_id_x 1
		.amdhsa_system_sgpr_workgroup_id_y 0
		.amdhsa_system_sgpr_workgroup_id_z 0
		.amdhsa_system_sgpr_workgroup_info 0
		.amdhsa_system_vgpr_workitem_id 0
		.amdhsa_next_free_vgpr 68
		.amdhsa_next_free_sgpr 36
		.amdhsa_accum_offset 68
		.amdhsa_reserve_vcc 1
		.amdhsa_float_round_mode_32 0
		.amdhsa_float_round_mode_16_64 0
		.amdhsa_float_denorm_mode_32 3
		.amdhsa_float_denorm_mode_16_64 3
		.amdhsa_dx10_clamp 1
		.amdhsa_ieee_mode 1
		.amdhsa_fp16_overflow 0
		.amdhsa_tg_split 0
		.amdhsa_exception_fp_ieee_invalid_op 0
		.amdhsa_exception_fp_denorm_src 0
		.amdhsa_exception_fp_ieee_div_zero 0
		.amdhsa_exception_fp_ieee_overflow 0
		.amdhsa_exception_fp_ieee_underflow 0
		.amdhsa_exception_fp_ieee_inexact 0
		.amdhsa_exception_int_div_zero 0
	.end_amdhsa_kernel
	.section	.text._ZN9rocsolver6v33100L18trti2_kernel_smallILi27EdPKPdEEv13rocblas_fill_17rocblas_diagonal_T1_iil,"axG",@progbits,_ZN9rocsolver6v33100L18trti2_kernel_smallILi27EdPKPdEEv13rocblas_fill_17rocblas_diagonal_T1_iil,comdat
.Lfunc_end90:
	.size	_ZN9rocsolver6v33100L18trti2_kernel_smallILi27EdPKPdEEv13rocblas_fill_17rocblas_diagonal_T1_iil, .Lfunc_end90-_ZN9rocsolver6v33100L18trti2_kernel_smallILi27EdPKPdEEv13rocblas_fill_17rocblas_diagonal_T1_iil
                                        ; -- End function
	.set _ZN9rocsolver6v33100L18trti2_kernel_smallILi27EdPKPdEEv13rocblas_fill_17rocblas_diagonal_T1_iil.num_vgpr, 68
	.set _ZN9rocsolver6v33100L18trti2_kernel_smallILi27EdPKPdEEv13rocblas_fill_17rocblas_diagonal_T1_iil.num_agpr, 0
	.set _ZN9rocsolver6v33100L18trti2_kernel_smallILi27EdPKPdEEv13rocblas_fill_17rocblas_diagonal_T1_iil.numbered_sgpr, 36
	.set _ZN9rocsolver6v33100L18trti2_kernel_smallILi27EdPKPdEEv13rocblas_fill_17rocblas_diagonal_T1_iil.num_named_barrier, 0
	.set _ZN9rocsolver6v33100L18trti2_kernel_smallILi27EdPKPdEEv13rocblas_fill_17rocblas_diagonal_T1_iil.private_seg_size, 224
	.set _ZN9rocsolver6v33100L18trti2_kernel_smallILi27EdPKPdEEv13rocblas_fill_17rocblas_diagonal_T1_iil.uses_vcc, 1
	.set _ZN9rocsolver6v33100L18trti2_kernel_smallILi27EdPKPdEEv13rocblas_fill_17rocblas_diagonal_T1_iil.uses_flat_scratch, 0
	.set _ZN9rocsolver6v33100L18trti2_kernel_smallILi27EdPKPdEEv13rocblas_fill_17rocblas_diagonal_T1_iil.has_dyn_sized_stack, 0
	.set _ZN9rocsolver6v33100L18trti2_kernel_smallILi27EdPKPdEEv13rocblas_fill_17rocblas_diagonal_T1_iil.has_recursion, 0
	.set _ZN9rocsolver6v33100L18trti2_kernel_smallILi27EdPKPdEEv13rocblas_fill_17rocblas_diagonal_T1_iil.has_indirect_call, 0
	.section	.AMDGPU.csdata,"",@progbits
; Kernel info:
; codeLenInByte = 12904
; TotalNumSgprs: 42
; NumVgprs: 68
; NumAgprs: 0
; TotalNumVgprs: 68
; ScratchSize: 224
; MemoryBound: 0
; FloatMode: 240
; IeeeMode: 1
; LDSByteSize: 440 bytes/workgroup (compile time only)
; SGPRBlocks: 5
; VGPRBlocks: 8
; NumSGPRsForWavesPerEU: 42
; NumVGPRsForWavesPerEU: 68
; AccumOffset: 68
; Occupancy: 7
; WaveLimiterHint : 1
; COMPUTE_PGM_RSRC2:SCRATCH_EN: 1
; COMPUTE_PGM_RSRC2:USER_SGPR: 2
; COMPUTE_PGM_RSRC2:TRAP_HANDLER: 0
; COMPUTE_PGM_RSRC2:TGID_X_EN: 1
; COMPUTE_PGM_RSRC2:TGID_Y_EN: 0
; COMPUTE_PGM_RSRC2:TGID_Z_EN: 0
; COMPUTE_PGM_RSRC2:TIDIG_COMP_CNT: 0
; COMPUTE_PGM_RSRC3_GFX90A:ACCUM_OFFSET: 16
; COMPUTE_PGM_RSRC3_GFX90A:TG_SPLIT: 0
	.section	.text._ZN9rocsolver6v33100L18trti2_kernel_smallILi28EdPKPdEEv13rocblas_fill_17rocblas_diagonal_T1_iil,"axG",@progbits,_ZN9rocsolver6v33100L18trti2_kernel_smallILi28EdPKPdEEv13rocblas_fill_17rocblas_diagonal_T1_iil,comdat
	.globl	_ZN9rocsolver6v33100L18trti2_kernel_smallILi28EdPKPdEEv13rocblas_fill_17rocblas_diagonal_T1_iil ; -- Begin function _ZN9rocsolver6v33100L18trti2_kernel_smallILi28EdPKPdEEv13rocblas_fill_17rocblas_diagonal_T1_iil
	.p2align	8
	.type	_ZN9rocsolver6v33100L18trti2_kernel_smallILi28EdPKPdEEv13rocblas_fill_17rocblas_diagonal_T1_iil,@function
_ZN9rocsolver6v33100L18trti2_kernel_smallILi28EdPKPdEEv13rocblas_fill_17rocblas_diagonal_T1_iil: ; @_ZN9rocsolver6v33100L18trti2_kernel_smallILi28EdPKPdEEv13rocblas_fill_17rocblas_diagonal_T1_iil
; %bb.0:
	v_cmp_gt_u32_e32 vcc, 28, v0
	s_and_saveexec_b64 s[4:5], vcc
	s_cbranch_execz .LBB91_530
; %bb.1:
	s_load_dwordx2 s[8:9], s[0:1], 0x10
	s_load_dwordx4 s[4:7], s[0:1], 0x0
	s_ashr_i32 s3, s2, 31
	s_lshl_b64 s[0:1], s[2:3], 3
	v_lshlrev_b32_e32 v18, 3, v0
	s_waitcnt lgkmcnt(0)
	s_ashr_i32 s3, s8, 31
	s_add_u32 s0, s6, s0
	s_addc_u32 s1, s7, s1
	s_load_dwordx2 s[0:1], s[0:1], 0x0
	s_mov_b32 s2, s8
	s_lshl_b64 s[2:3], s[2:3], 3
	v_mov_b32_e32 v19, 0
	s_waitcnt lgkmcnt(0)
	s_add_u32 s0, s0, s2
	s_addc_u32 s1, s1, s3
	v_lshl_add_u64 v[2:3], s[0:1], 0, v[18:19]
	flat_load_dwordx2 v[6:7], v[2:3]
	s_mov_b32 s2, s9
	s_ashr_i32 s3, s9, 31
	v_lshl_add_u64 v[4:5], s[2:3], 3, v[2:3]
	s_add_i32 s2, s9, s9
	v_add_u32_e32 v10, s2, v0
	v_ashrrev_i32_e32 v11, 31, v10
	s_cmpk_lg_i32 s5, 0x84
	s_cselect_b64 s[6:7], -1, 0
	s_cmpk_eq_i32 s5, 0x84
	s_waitcnt vmcnt(0) lgkmcnt(0)
	scratch_store_dwordx2 off, v[6:7], off
	flat_load_dwordx2 v[8:9], v[4:5]
	v_lshl_add_u64 v[6:7], v[10:11], 3, s[0:1]
	v_add_u32_e32 v10, s9, v10
	v_ashrrev_i32_e32 v11, 31, v10
	v_add_u32_e32 v14, s9, v10
	v_ashrrev_i32_e32 v15, 31, v14
	s_waitcnt vmcnt(0) lgkmcnt(0)
	scratch_store_dwordx2 off, v[8:9], off offset:8
	flat_load_dwordx2 v[12:13], v[6:7]
	v_lshl_add_u64 v[8:9], v[10:11], 3, s[0:1]
	v_lshl_add_u64 v[10:11], v[14:15], 3, s[0:1]
	v_add_u32_e32 v14, s9, v14
	v_ashrrev_i32_e32 v15, 31, v14
	v_add_u32_e32 v20, s9, v14
	v_ashrrev_i32_e32 v21, 31, v20
	s_waitcnt vmcnt(0) lgkmcnt(0)
	scratch_store_dwordx2 off, v[12:13], off offset:16
	flat_load_dwordx2 v[12:13], v[8:9]
	s_waitcnt vmcnt(0) lgkmcnt(0)
	scratch_store_dwordx2 off, v[12:13], off offset:24
	flat_load_dwordx2 v[16:17], v[10:11]
	v_lshl_add_u64 v[12:13], v[14:15], 3, s[0:1]
	v_lshl_add_u64 v[14:15], v[20:21], 3, s[0:1]
	v_add_u32_e32 v20, s9, v20
	v_ashrrev_i32_e32 v21, 31, v20
	v_add_u32_e32 v24, s9, v20
	v_ashrrev_i32_e32 v25, 31, v24
	s_waitcnt vmcnt(0) lgkmcnt(0)
	scratch_store_dwordx2 off, v[16:17], off offset:32
	flat_load_dwordx2 v[16:17], v[12:13]
	;; [unrolled: 12-line block ×11, first 2 shown]
	s_waitcnt vmcnt(0) lgkmcnt(0)
	scratch_store_dwordx2 off, v[54:55], off offset:184
	flat_load_dwordx2 v[58:59], v[52:53]
	v_lshl_add_u64 v[54:55], v[56:57], 3, s[0:1]
	v_lshl_add_u64 v[56:57], v[60:61], 3, s[0:1]
	s_waitcnt vmcnt(0) lgkmcnt(0)
	scratch_store_dwordx2 off, v[58:59], off offset:192
	flat_load_dwordx2 v[58:59], v[54:55]
	s_waitcnt vmcnt(0) lgkmcnt(0)
	scratch_store_dwordx2 off, v[58:59], off offset:200
	flat_load_dwordx2 v[62:63], v[56:57]
	v_add_u32_e32 v58, s9, v60
	v_ashrrev_i32_e32 v59, 31, v58
	v_lshl_add_u64 v[58:59], v[58:59], 3, s[0:1]
	s_waitcnt vmcnt(0) lgkmcnt(0)
	scratch_store_dwordx2 off, v[62:63], off offset:208
	flat_load_dwordx2 v[60:61], v[58:59]
	s_waitcnt vmcnt(0) lgkmcnt(0)
	scratch_store_dwordx2 off, v[60:61], off offset:216
	v_mov_b64_e32 v[60:61], -1.0
	s_cbranch_scc1 .LBB91_3
; %bb.2:
	scratch_load_dwordx2 v[60:61], v18, off
	s_waitcnt vmcnt(0)
	v_div_scale_f64 v[62:63], s[0:1], v[60:61], v[60:61], 1.0
	v_rcp_f64_e32 v[64:65], v[62:63]
	v_div_scale_f64 v[66:67], vcc, 1.0, v[60:61], 1.0
	v_fma_f64 v[68:69], -v[62:63], v[64:65], 1.0
	v_fmac_f64_e32 v[64:65], v[64:65], v[68:69]
	v_fma_f64 v[68:69], -v[62:63], v[64:65], 1.0
	v_fmac_f64_e32 v[64:65], v[64:65], v[68:69]
	v_mul_f64 v[68:69], v[66:67], v[64:65]
	v_fma_f64 v[62:63], -v[62:63], v[68:69], v[66:67]
	v_div_fmas_f64 v[62:63], v[62:63], v[64:65], v[68:69]
	v_div_fixup_f64 v[60:61], v[62:63], v[60:61], 1.0
	scratch_store_dwordx2 v18, v[60:61], off
	v_xor_b32_e32 v61, 0x80000000, v61
.LBB91_3:
	s_cmpk_eq_i32 s4, 0x79
	v_add_u32_e32 v1, 0xe0, v18
	v_mov_b32_e32 v19, v18
	s_mov_b64 s[0:1], -1
	ds_write_b64 v18, v[60:61]
	s_cbranch_scc1 .LBB91_267
; %bb.4:
	scratch_load_dwordx2 v[60:61], off, off offset:208
	s_movk_i32 s8, 0x48
	s_movk_i32 s9, 0x50
	;; [unrolled: 1-line block ×17, first 2 shown]
	v_cmp_eq_u32_e64 s[0:1], 27, v0
	s_waitcnt vmcnt(0)
	ds_write_b64 v1, v[60:61]
	s_waitcnt lgkmcnt(0)
	; wave barrier
	s_and_saveexec_b64 s[2:3], s[0:1]
	s_cbranch_execz .LBB91_10
; %bb.5:
	s_and_b64 vcc, exec, s[6:7]
	s_cbranch_vccz .LBB91_7
; %bb.6:
	scratch_load_dwordx2 v[60:61], v19, off
	ds_read_b64 v[62:63], v1
	s_waitcnt vmcnt(0) lgkmcnt(0)
	v_mul_f64 v[60:61], v[60:61], v[62:63]
	s_cbranch_execz .LBB91_8
	s_branch .LBB91_9
.LBB91_7:
                                        ; implicit-def: $vgpr60_vgpr61
.LBB91_8:
	ds_read_b64 v[60:61], v1
.LBB91_9:
	v_mov_b32_e32 v62, 0
	ds_read_b64 v[62:63], v62 offset:208
	s_waitcnt lgkmcnt(0)
	v_mul_f64 v[60:61], v[60:61], v[62:63]
	scratch_store_dwordx2 off, v[60:61], off offset:208
.LBB91_10:
	s_or_b64 exec, exec, s[2:3]
	scratch_load_dwordx2 v[60:61], off, off offset:200
	s_or_b32 s10, 0, 8
	s_mov_b32 s11, 16
	s_mov_b32 s12, 24
	;; [unrolled: 1-line block ×9, first 2 shown]
	v_cmp_lt_u32_e64 s[2:3], 25, v0
	s_waitcnt vmcnt(0)
	ds_write_b64 v1, v[60:61]
	s_waitcnt lgkmcnt(0)
	; wave barrier
	s_and_saveexec_b64 s[4:5], s[2:3]
	s_cbranch_execz .LBB91_16
; %bb.11:
	s_andn2_b64 vcc, exec, s[6:7]
	s_cbranch_vccnz .LBB91_13
; %bb.12:
	scratch_load_dwordx2 v[60:61], v19, off
	ds_read_b64 v[62:63], v1
	s_waitcnt vmcnt(0) lgkmcnt(0)
	v_mul_f64 v[60:61], v[60:61], v[62:63]
	s_cbranch_execz .LBB91_14
	s_branch .LBB91_15
.LBB91_13:
                                        ; implicit-def: $vgpr60_vgpr61
.LBB91_14:
	ds_read_b64 v[60:61], v1
.LBB91_15:
	scratch_load_dwordx2 v[66:67], off, off offset:208
	v_mov_b32_e32 v62, 0
	ds_read2_b64 v[62:65], v62 offset0:25 offset1:54
	s_waitcnt vmcnt(0) lgkmcnt(0)
	v_fma_f64 v[64:65], v[66:67], v[64:65], v[60:61]
	v_cndmask_b32_e64 v61, v61, v65, s[0:1]
	v_cndmask_b32_e64 v60, v60, v64, s[0:1]
	v_mul_f64 v[60:61], v[60:61], v[62:63]
	scratch_store_dwordx2 off, v[60:61], off offset:200
.LBB91_16:
	s_or_b64 exec, exec, s[4:5]
	scratch_load_dwordx2 v[60:61], off, off offset:192
	v_cmp_lt_u32_e64 s[0:1], 24, v0
	s_waitcnt vmcnt(0)
	ds_write_b64 v1, v[60:61]
	s_waitcnt lgkmcnt(0)
	; wave barrier
	s_and_saveexec_b64 s[4:5], s[0:1]
	s_cbranch_execz .LBB91_26
; %bb.17:
	s_andn2_b64 vcc, exec, s[6:7]
	s_cbranch_vccnz .LBB91_19
; %bb.18:
	scratch_load_dwordx2 v[60:61], v19, off
	ds_read_b64 v[62:63], v1
	s_waitcnt vmcnt(0) lgkmcnt(0)
	v_mul_f64 v[60:61], v[60:61], v[62:63]
	s_cbranch_execz .LBB91_20
	s_branch .LBB91_21
.LBB91_19:
                                        ; implicit-def: $vgpr60_vgpr61
.LBB91_20:
	ds_read_b64 v[60:61], v1
.LBB91_21:
	s_and_saveexec_b64 s[8:9], s[2:3]
	s_cbranch_execz .LBB91_25
; %bb.22:
	v_subrev_u32_e32 v62, 25, v0
	s_movk_i32 s36, 0x1a8
	s_mov_b64 s[2:3], 0
.LBB91_23:                              ; =>This Inner Loop Header: Depth=1
	scratch_load_dwordx2 v[64:65], off, s35
	v_mov_b32_e32 v63, s36
	ds_read_b64 v[66:67], v63
	v_add_u32_e32 v62, -1, v62
	s_add_i32 s36, s36, 8
	s_add_i32 s35, s35, 8
	v_cmp_eq_u32_e32 vcc, 0, v62
	s_or_b64 s[2:3], vcc, s[2:3]
	s_waitcnt vmcnt(0) lgkmcnt(0)
	v_fmac_f64_e32 v[60:61], v[64:65], v[66:67]
	s_andn2_b64 exec, exec, s[2:3]
	s_cbranch_execnz .LBB91_23
; %bb.24:
	s_or_b64 exec, exec, s[2:3]
.LBB91_25:
	s_or_b64 exec, exec, s[8:9]
	v_mov_b32_e32 v62, 0
	ds_read_b64 v[62:63], v62 offset:192
	s_waitcnt lgkmcnt(0)
	v_mul_f64 v[60:61], v[60:61], v[62:63]
	scratch_store_dwordx2 off, v[60:61], off offset:192
.LBB91_26:
	s_or_b64 exec, exec, s[4:5]
	scratch_load_dwordx2 v[60:61], off, off offset:184
	v_cmp_lt_u32_e64 s[2:3], 23, v0
	s_waitcnt vmcnt(0)
	ds_write_b64 v1, v[60:61]
	s_waitcnt lgkmcnt(0)
	; wave barrier
	s_and_saveexec_b64 s[4:5], s[2:3]
	s_cbranch_execz .LBB91_36
; %bb.27:
	s_andn2_b64 vcc, exec, s[6:7]
	s_cbranch_vccnz .LBB91_29
; %bb.28:
	scratch_load_dwordx2 v[60:61], v19, off
	ds_read_b64 v[62:63], v1
	s_waitcnt vmcnt(0) lgkmcnt(0)
	v_mul_f64 v[60:61], v[60:61], v[62:63]
	s_cbranch_execz .LBB91_30
	s_branch .LBB91_31
.LBB91_29:
                                        ; implicit-def: $vgpr60_vgpr61
.LBB91_30:
	ds_read_b64 v[60:61], v1
.LBB91_31:
	s_and_saveexec_b64 s[8:9], s[0:1]
	s_cbranch_execz .LBB91_35
; %bb.32:
	v_subrev_u32_e32 v62, 24, v0
	s_movk_i32 s35, 0x1a0
	s_mov_b64 s[0:1], 0
.LBB91_33:                              ; =>This Inner Loop Header: Depth=1
	scratch_load_dwordx2 v[64:65], off, s34
	v_mov_b32_e32 v63, s35
	ds_read_b64 v[66:67], v63
	v_add_u32_e32 v62, -1, v62
	s_add_i32 s35, s35, 8
	s_add_i32 s34, s34, 8
	v_cmp_eq_u32_e32 vcc, 0, v62
	s_or_b64 s[0:1], vcc, s[0:1]
	s_waitcnt vmcnt(0) lgkmcnt(0)
	v_fmac_f64_e32 v[60:61], v[64:65], v[66:67]
	s_andn2_b64 exec, exec, s[0:1]
	s_cbranch_execnz .LBB91_33
; %bb.34:
	s_or_b64 exec, exec, s[0:1]
.LBB91_35:
	s_or_b64 exec, exec, s[8:9]
	v_mov_b32_e32 v62, 0
	ds_read_b64 v[62:63], v62 offset:184
	s_waitcnt lgkmcnt(0)
	v_mul_f64 v[60:61], v[60:61], v[62:63]
	scratch_store_dwordx2 off, v[60:61], off offset:184
.LBB91_36:
	;; [unrolled: 53-line block ×8, first 2 shown]
	s_or_b64 exec, exec, s[4:5]
	scratch_load_dwordx2 v[60:61], off, off offset:128
	v_cmp_lt_u32_e64 s[0:1], 16, v0
	s_waitcnt vmcnt(0)
	ds_write_b64 v1, v[60:61]
	s_waitcnt lgkmcnt(0)
	; wave barrier
	s_and_saveexec_b64 s[4:5], s[0:1]
	s_cbranch_execz .LBB91_106
; %bb.97:
	s_andn2_b64 vcc, exec, s[6:7]
	s_cbranch_vccnz .LBB91_99
; %bb.98:
	scratch_load_dwordx2 v[60:61], v19, off
	ds_read_b64 v[62:63], v1
	s_waitcnt vmcnt(0) lgkmcnt(0)
	v_mul_f64 v[60:61], v[60:61], v[62:63]
	s_cbranch_execz .LBB91_100
	s_branch .LBB91_101
.LBB91_99:
                                        ; implicit-def: $vgpr60_vgpr61
.LBB91_100:
	ds_read_b64 v[60:61], v1
.LBB91_101:
	s_and_saveexec_b64 s[8:9], s[2:3]
	s_cbranch_execz .LBB91_105
; %bb.102:
	v_subrev_u32_e32 v62, 17, v0
	s_movk_i32 s27, 0x168
	s_mov_b64 s[2:3], 0
.LBB91_103:                             ; =>This Inner Loop Header: Depth=1
	scratch_load_dwordx2 v[64:65], off, s26
	v_mov_b32_e32 v63, s27
	ds_read_b64 v[66:67], v63
	v_add_u32_e32 v62, -1, v62
	s_add_i32 s27, s27, 8
	s_add_i32 s26, s26, 8
	v_cmp_eq_u32_e32 vcc, 0, v62
	s_or_b64 s[2:3], vcc, s[2:3]
	s_waitcnt vmcnt(0) lgkmcnt(0)
	v_fmac_f64_e32 v[60:61], v[64:65], v[66:67]
	s_andn2_b64 exec, exec, s[2:3]
	s_cbranch_execnz .LBB91_103
; %bb.104:
	s_or_b64 exec, exec, s[2:3]
.LBB91_105:
	s_or_b64 exec, exec, s[8:9]
	v_mov_b32_e32 v62, 0
	ds_read_b64 v[62:63], v62 offset:128
	s_waitcnt lgkmcnt(0)
	v_mul_f64 v[60:61], v[60:61], v[62:63]
	scratch_store_dwordx2 off, v[60:61], off offset:128
.LBB91_106:
	s_or_b64 exec, exec, s[4:5]
	scratch_load_dwordx2 v[60:61], off, off offset:120
	v_cmp_lt_u32_e64 s[2:3], 15, v0
	s_waitcnt vmcnt(0)
	ds_write_b64 v1, v[60:61]
	s_waitcnt lgkmcnt(0)
	; wave barrier
	s_and_saveexec_b64 s[4:5], s[2:3]
	s_cbranch_execz .LBB91_116
; %bb.107:
	s_andn2_b64 vcc, exec, s[6:7]
	s_cbranch_vccnz .LBB91_109
; %bb.108:
	scratch_load_dwordx2 v[60:61], v19, off
	ds_read_b64 v[62:63], v1
	s_waitcnt vmcnt(0) lgkmcnt(0)
	v_mul_f64 v[60:61], v[60:61], v[62:63]
	s_cbranch_execz .LBB91_110
	s_branch .LBB91_111
.LBB91_109:
                                        ; implicit-def: $vgpr60_vgpr61
.LBB91_110:
	ds_read_b64 v[60:61], v1
.LBB91_111:
	s_and_saveexec_b64 s[8:9], s[0:1]
	s_cbranch_execz .LBB91_115
; %bb.112:
	v_add_u32_e32 v62, -16, v0
	s_movk_i32 s26, 0x160
	s_mov_b64 s[0:1], 0
.LBB91_113:                             ; =>This Inner Loop Header: Depth=1
	scratch_load_dwordx2 v[64:65], off, s25
	v_mov_b32_e32 v63, s26
	ds_read_b64 v[66:67], v63
	v_add_u32_e32 v62, -1, v62
	s_add_i32 s26, s26, 8
	s_add_i32 s25, s25, 8
	v_cmp_eq_u32_e32 vcc, 0, v62
	s_or_b64 s[0:1], vcc, s[0:1]
	s_waitcnt vmcnt(0) lgkmcnt(0)
	v_fmac_f64_e32 v[60:61], v[64:65], v[66:67]
	s_andn2_b64 exec, exec, s[0:1]
	s_cbranch_execnz .LBB91_113
; %bb.114:
	s_or_b64 exec, exec, s[0:1]
.LBB91_115:
	s_or_b64 exec, exec, s[8:9]
	v_mov_b32_e32 v62, 0
	ds_read_b64 v[62:63], v62 offset:120
	s_waitcnt lgkmcnt(0)
	v_mul_f64 v[60:61], v[60:61], v[62:63]
	scratch_store_dwordx2 off, v[60:61], off offset:120
.LBB91_116:
	s_or_b64 exec, exec, s[4:5]
	scratch_load_dwordx2 v[60:61], off, off offset:112
	v_cmp_lt_u32_e64 s[0:1], 14, v0
	s_waitcnt vmcnt(0)
	ds_write_b64 v1, v[60:61]
	s_waitcnt lgkmcnt(0)
	; wave barrier
	s_and_saveexec_b64 s[4:5], s[0:1]
	s_cbranch_execz .LBB91_126
; %bb.117:
	s_andn2_b64 vcc, exec, s[6:7]
	s_cbranch_vccnz .LBB91_119
; %bb.118:
	scratch_load_dwordx2 v[60:61], v19, off
	ds_read_b64 v[62:63], v1
	s_waitcnt vmcnt(0) lgkmcnt(0)
	v_mul_f64 v[60:61], v[60:61], v[62:63]
	s_cbranch_execz .LBB91_120
	s_branch .LBB91_121
.LBB91_119:
                                        ; implicit-def: $vgpr60_vgpr61
.LBB91_120:
	ds_read_b64 v[60:61], v1
.LBB91_121:
	s_and_saveexec_b64 s[8:9], s[2:3]
	s_cbranch_execz .LBB91_125
; %bb.122:
	v_add_u32_e32 v62, -15, v0
	s_movk_i32 s25, 0x158
	s_mov_b64 s[2:3], 0
.LBB91_123:                             ; =>This Inner Loop Header: Depth=1
	scratch_load_dwordx2 v[64:65], off, s24
	v_mov_b32_e32 v63, s25
	ds_read_b64 v[66:67], v63
	v_add_u32_e32 v62, -1, v62
	s_add_i32 s25, s25, 8
	s_add_i32 s24, s24, 8
	v_cmp_eq_u32_e32 vcc, 0, v62
	s_or_b64 s[2:3], vcc, s[2:3]
	s_waitcnt vmcnt(0) lgkmcnt(0)
	v_fmac_f64_e32 v[60:61], v[64:65], v[66:67]
	s_andn2_b64 exec, exec, s[2:3]
	s_cbranch_execnz .LBB91_123
; %bb.124:
	s_or_b64 exec, exec, s[2:3]
.LBB91_125:
	s_or_b64 exec, exec, s[8:9]
	v_mov_b32_e32 v62, 0
	ds_read_b64 v[62:63], v62 offset:112
	s_waitcnt lgkmcnt(0)
	v_mul_f64 v[60:61], v[60:61], v[62:63]
	scratch_store_dwordx2 off, v[60:61], off offset:112
.LBB91_126:
	;; [unrolled: 53-line block ×15, first 2 shown]
	s_or_b64 exec, exec, s[4:5]
	scratch_load_dwordx2 v[60:61], off, off
	v_cmp_ne_u32_e32 vcc, 0, v0
	s_waitcnt vmcnt(0)
	ds_write_b64 v1, v[60:61]
	s_waitcnt lgkmcnt(0)
	; wave barrier
	s_and_saveexec_b64 s[0:1], vcc
	s_cbranch_execz .LBB91_266
; %bb.257:
	s_andn2_b64 vcc, exec, s[6:7]
	s_cbranch_vccnz .LBB91_259
; %bb.258:
	scratch_load_dwordx2 v[60:61], v19, off
	ds_read_b64 v[62:63], v1
	s_waitcnt vmcnt(0) lgkmcnt(0)
	v_mul_f64 v[60:61], v[60:61], v[62:63]
	s_cbranch_execz .LBB91_260
	s_branch .LBB91_261
.LBB91_259:
                                        ; implicit-def: $vgpr60_vgpr61
.LBB91_260:
	ds_read_b64 v[60:61], v1
.LBB91_261:
	s_and_saveexec_b64 s[4:5], s[2:3]
	s_cbranch_execz .LBB91_265
; %bb.262:
	v_add_u32_e32 v62, -1, v0
	s_movk_i32 s8, 0xe8
	s_mov_b64 s[2:3], 0
.LBB91_263:                             ; =>This Inner Loop Header: Depth=1
	scratch_load_dwordx2 v[64:65], off, s10
	v_mov_b32_e32 v63, s8
	ds_read_b64 v[66:67], v63
	v_add_u32_e32 v62, -1, v62
	s_add_i32 s8, s8, 8
	s_add_i32 s10, s10, 8
	v_cmp_eq_u32_e32 vcc, 0, v62
	s_or_b64 s[2:3], vcc, s[2:3]
	s_waitcnt vmcnt(0) lgkmcnt(0)
	v_fmac_f64_e32 v[60:61], v[64:65], v[66:67]
	s_andn2_b64 exec, exec, s[2:3]
	s_cbranch_execnz .LBB91_263
; %bb.264:
	s_or_b64 exec, exec, s[2:3]
.LBB91_265:
	s_or_b64 exec, exec, s[4:5]
	v_mov_b32_e32 v62, 0
	ds_read_b64 v[62:63], v62
	s_waitcnt lgkmcnt(0)
	v_mul_f64 v[60:61], v[60:61], v[62:63]
	scratch_store_dwordx2 off, v[60:61], off
.LBB91_266:
	s_or_b64 exec, exec, s[0:1]
	s_mov_b64 s[0:1], 0
.LBB91_267:
	s_and_b64 vcc, exec, s[0:1]
	s_cbranch_vccz .LBB91_529
; %bb.268:
	scratch_load_dwordx2 v[60:61], off, off offset:8
	v_cmp_eq_u32_e64 s[2:3], 0, v0
	s_waitcnt vmcnt(0)
	ds_write_b64 v1, v[60:61]
	s_waitcnt lgkmcnt(0)
	; wave barrier
	s_and_saveexec_b64 s[0:1], s[2:3]
	s_cbranch_execz .LBB91_274
; %bb.269:
	s_and_b64 vcc, exec, s[6:7]
	s_cbranch_vccz .LBB91_271
; %bb.270:
	scratch_load_dwordx2 v[60:61], v19, off
	ds_read_b64 v[62:63], v1
	s_waitcnt vmcnt(0) lgkmcnt(0)
	v_mul_f64 v[60:61], v[60:61], v[62:63]
	s_cbranch_execz .LBB91_272
	s_branch .LBB91_273
.LBB91_271:
                                        ; implicit-def: $vgpr60_vgpr61
.LBB91_272:
	ds_read_b64 v[60:61], v1
.LBB91_273:
	v_mov_b32_e32 v62, 0
	ds_read_b64 v[62:63], v62 offset:8
	s_waitcnt lgkmcnt(0)
	v_mul_f64 v[60:61], v[60:61], v[62:63]
	scratch_store_dwordx2 off, v[60:61], off offset:8
.LBB91_274:
	s_or_b64 exec, exec, s[0:1]
	scratch_load_dwordx2 v[60:61], off, off offset:16
	v_cndmask_b32_e64 v62, 0, 1, s[6:7]
	v_cmp_gt_u32_e32 vcc, 2, v0
	v_cmp_ne_u32_e64 s[0:1], 1, v62
	s_waitcnt vmcnt(0)
	ds_write_b64 v1, v[60:61]
	s_waitcnt lgkmcnt(0)
	; wave barrier
	s_and_saveexec_b64 s[4:5], vcc
	s_cbranch_execz .LBB91_280
; %bb.275:
	s_and_b64 vcc, exec, s[0:1]
	s_cbranch_vccnz .LBB91_277
; %bb.276:
	scratch_load_dwordx2 v[60:61], v19, off
	ds_read_b64 v[62:63], v1
	s_waitcnt vmcnt(0) lgkmcnt(0)
	v_mul_f64 v[60:61], v[60:61], v[62:63]
	s_cbranch_execz .LBB91_278
	s_branch .LBB91_279
.LBB91_277:
                                        ; implicit-def: $vgpr60_vgpr61
.LBB91_278:
	ds_read_b64 v[60:61], v1
.LBB91_279:
	scratch_load_dwordx2 v[66:67], off, off offset:8
	v_mov_b32_e32 v62, 0
	ds_read2_b64 v[62:65], v62 offset0:2 offset1:29
	s_waitcnt vmcnt(0) lgkmcnt(0)
	v_fma_f64 v[64:65], v[66:67], v[64:65], v[60:61]
	v_cndmask_b32_e64 v61, v61, v65, s[2:3]
	v_cndmask_b32_e64 v60, v60, v64, s[2:3]
	v_mul_f64 v[60:61], v[60:61], v[62:63]
	scratch_store_dwordx2 off, v[60:61], off offset:16
.LBB91_280:
	s_or_b64 exec, exec, s[4:5]
	scratch_load_dwordx2 v[60:61], off, off offset:24
	v_cmp_gt_u32_e32 vcc, 3, v0
	s_waitcnt vmcnt(0)
	ds_write_b64 v1, v[60:61]
	s_waitcnt lgkmcnt(0)
	; wave barrier
	s_and_saveexec_b64 s[4:5], vcc
	s_cbranch_execz .LBB91_288
; %bb.281:
	s_and_b64 vcc, exec, s[0:1]
	s_cbranch_vccnz .LBB91_283
; %bb.282:
	scratch_load_dwordx2 v[60:61], v19, off
	ds_read_b64 v[62:63], v1
	s_waitcnt vmcnt(0) lgkmcnt(0)
	v_mul_f64 v[60:61], v[60:61], v[62:63]
	s_cbranch_execz .LBB91_284
	s_branch .LBB91_285
.LBB91_283:
                                        ; implicit-def: $vgpr60_vgpr61
.LBB91_284:
	ds_read_b64 v[60:61], v1
.LBB91_285:
	v_cmp_ne_u32_e32 vcc, 2, v0
	s_and_saveexec_b64 s[6:7], vcc
	s_cbranch_execz .LBB91_287
; %bb.286:
	scratch_load_dwordx2 v[62:63], v19, off offset:8
	scratch_load_dwordx2 v[64:65], off, off offset:16
	ds_read_b64 v[66:67], v1 offset:8
	v_mov_b32_e32 v68, 0
	ds_read_b64 v[68:69], v68 offset:240
	s_waitcnt vmcnt(1) lgkmcnt(1)
	v_fmac_f64_e32 v[60:61], v[62:63], v[66:67]
	s_waitcnt vmcnt(0) lgkmcnt(0)
	v_fma_f64 v[62:63], v[64:65], v[68:69], v[60:61]
	v_cndmask_b32_e64 v61, v61, v63, s[2:3]
	v_cndmask_b32_e64 v60, v60, v62, s[2:3]
.LBB91_287:
	s_or_b64 exec, exec, s[6:7]
	v_mov_b32_e32 v62, 0
	ds_read_b64 v[62:63], v62 offset:24
	s_waitcnt lgkmcnt(0)
	v_mul_f64 v[60:61], v[60:61], v[62:63]
	scratch_store_dwordx2 off, v[60:61], off offset:24
.LBB91_288:
	s_or_b64 exec, exec, s[4:5]
	scratch_load_dwordx2 v[60:61], off, off offset:32
	v_cmp_gt_u32_e32 vcc, 4, v0
	s_waitcnt vmcnt(0)
	ds_write_b64 v1, v[60:61]
	s_waitcnt lgkmcnt(0)
	; wave barrier
	s_and_saveexec_b64 s[2:3], vcc
	s_cbranch_execz .LBB91_298
; %bb.289:
	s_and_b64 vcc, exec, s[0:1]
	s_cbranch_vccnz .LBB91_291
; %bb.290:
	scratch_load_dwordx2 v[60:61], v19, off
	ds_read_b64 v[62:63], v1
	s_waitcnt vmcnt(0) lgkmcnt(0)
	v_mul_f64 v[60:61], v[60:61], v[62:63]
	s_cbranch_execz .LBB91_292
	s_branch .LBB91_293
.LBB91_291:
                                        ; implicit-def: $vgpr60_vgpr61
.LBB91_292:
	ds_read_b64 v[60:61], v1
.LBB91_293:
	v_cmp_ne_u32_e32 vcc, 3, v0
	s_and_saveexec_b64 s[4:5], vcc
	s_cbranch_execz .LBB91_297
; %bb.294:
	s_mov_b32 s6, 0
	v_add_u32_e32 v62, 0xe8, v18
	v_add3_u32 v63, v18, s6, 8
	s_mov_b64 s[6:7], 0
	v_mov_b32_e32 v64, v0
.LBB91_295:                             ; =>This Inner Loop Header: Depth=1
	scratch_load_dwordx2 v[66:67], v63, off
	ds_read_b64 v[68:69], v62
	v_add_u32_e32 v64, 1, v64
	v_cmp_lt_u32_e32 vcc, 2, v64
	v_add_u32_e32 v62, 8, v62
	v_add_u32_e32 v63, 8, v63
	s_or_b64 s[6:7], vcc, s[6:7]
	s_waitcnt vmcnt(0) lgkmcnt(0)
	v_fmac_f64_e32 v[60:61], v[66:67], v[68:69]
	s_andn2_b64 exec, exec, s[6:7]
	s_cbranch_execnz .LBB91_295
; %bb.296:
	s_or_b64 exec, exec, s[6:7]
.LBB91_297:
	s_or_b64 exec, exec, s[4:5]
	v_mov_b32_e32 v62, 0
	ds_read_b64 v[62:63], v62 offset:32
	s_waitcnt lgkmcnt(0)
	v_mul_f64 v[60:61], v[60:61], v[62:63]
	scratch_store_dwordx2 off, v[60:61], off offset:32
.LBB91_298:
	s_or_b64 exec, exec, s[2:3]
	scratch_load_dwordx2 v[60:61], off, off offset:40
	v_cmp_gt_u32_e32 vcc, 5, v0
	s_waitcnt vmcnt(0)
	ds_write_b64 v1, v[60:61]
	s_waitcnt lgkmcnt(0)
	; wave barrier
	s_and_saveexec_b64 s[2:3], vcc
	s_cbranch_execz .LBB91_308
; %bb.299:
	s_and_b64 vcc, exec, s[0:1]
	s_cbranch_vccnz .LBB91_301
; %bb.300:
	scratch_load_dwordx2 v[60:61], v19, off
	ds_read_b64 v[62:63], v1
	s_waitcnt vmcnt(0) lgkmcnt(0)
	v_mul_f64 v[60:61], v[60:61], v[62:63]
	s_cbranch_execz .LBB91_302
	s_branch .LBB91_303
.LBB91_301:
                                        ; implicit-def: $vgpr60_vgpr61
.LBB91_302:
	ds_read_b64 v[60:61], v1
.LBB91_303:
	v_cmp_ne_u32_e32 vcc, 4, v0
	s_and_saveexec_b64 s[4:5], vcc
	s_cbranch_execz .LBB91_307
; %bb.304:
	s_mov_b32 s6, 0
	v_add_u32_e32 v62, 0xe8, v18
	v_add3_u32 v63, v18, s6, 8
	s_mov_b64 s[6:7], 0
	v_mov_b32_e32 v64, v0
.LBB91_305:                             ; =>This Inner Loop Header: Depth=1
	scratch_load_dwordx2 v[66:67], v63, off
	ds_read_b64 v[68:69], v62
	v_add_u32_e32 v64, 1, v64
	v_cmp_lt_u32_e32 vcc, 3, v64
	v_add_u32_e32 v62, 8, v62
	v_add_u32_e32 v63, 8, v63
	s_or_b64 s[6:7], vcc, s[6:7]
	s_waitcnt vmcnt(0) lgkmcnt(0)
	v_fmac_f64_e32 v[60:61], v[66:67], v[68:69]
	s_andn2_b64 exec, exec, s[6:7]
	s_cbranch_execnz .LBB91_305
; %bb.306:
	s_or_b64 exec, exec, s[6:7]
.LBB91_307:
	s_or_b64 exec, exec, s[4:5]
	v_mov_b32_e32 v62, 0
	ds_read_b64 v[62:63], v62 offset:40
	s_waitcnt lgkmcnt(0)
	v_mul_f64 v[60:61], v[60:61], v[62:63]
	scratch_store_dwordx2 off, v[60:61], off offset:40
.LBB91_308:
	;; [unrolled: 55-line block ×22, first 2 shown]
	s_or_b64 exec, exec, s[2:3]
	scratch_load_dwordx2 v[60:61], off, off offset:208
	v_cmp_gt_u32_e64 s[2:3], 26, v0
	s_waitcnt vmcnt(0)
	ds_write_b64 v1, v[60:61]
	s_waitcnt lgkmcnt(0)
	; wave barrier
	s_and_saveexec_b64 s[4:5], s[2:3]
	s_cbranch_execz .LBB91_518
; %bb.509:
	s_and_b64 vcc, exec, s[0:1]
	s_cbranch_vccnz .LBB91_511
; %bb.510:
	scratch_load_dwordx2 v[60:61], v19, off
	ds_read_b64 v[62:63], v1
	s_waitcnt vmcnt(0) lgkmcnt(0)
	v_mul_f64 v[60:61], v[60:61], v[62:63]
	s_cbranch_execz .LBB91_512
	s_branch .LBB91_513
.LBB91_511:
                                        ; implicit-def: $vgpr60_vgpr61
.LBB91_512:
	ds_read_b64 v[60:61], v1
.LBB91_513:
	v_cmp_ne_u32_e32 vcc, 25, v0
	s_and_saveexec_b64 s[6:7], vcc
	s_cbranch_execz .LBB91_517
; %bb.514:
	s_mov_b32 s8, 0
	v_add_u32_e32 v62, 0xe8, v18
	v_add3_u32 v63, v18, s8, 8
	s_mov_b64 s[8:9], 0
	v_mov_b32_e32 v64, v0
.LBB91_515:                             ; =>This Inner Loop Header: Depth=1
	scratch_load_dwordx2 v[66:67], v63, off
	ds_read_b64 v[68:69], v62
	v_add_u32_e32 v64, 1, v64
	v_cmp_lt_u32_e32 vcc, 24, v64
	v_add_u32_e32 v62, 8, v62
	v_add_u32_e32 v63, 8, v63
	s_or_b64 s[8:9], vcc, s[8:9]
	s_waitcnt vmcnt(0) lgkmcnt(0)
	v_fmac_f64_e32 v[60:61], v[66:67], v[68:69]
	s_andn2_b64 exec, exec, s[8:9]
	s_cbranch_execnz .LBB91_515
; %bb.516:
	s_or_b64 exec, exec, s[8:9]
.LBB91_517:
	s_or_b64 exec, exec, s[6:7]
	v_mov_b32_e32 v62, 0
	ds_read_b64 v[62:63], v62 offset:208
	s_waitcnt lgkmcnt(0)
	v_mul_f64 v[60:61], v[60:61], v[62:63]
	scratch_store_dwordx2 off, v[60:61], off offset:208
.LBB91_518:
	s_or_b64 exec, exec, s[4:5]
	scratch_load_dwordx2 v[60:61], off, off offset:216
	v_cmp_ne_u32_e32 vcc, 27, v0
	s_waitcnt vmcnt(0)
	ds_write_b64 v1, v[60:61]
	s_waitcnt lgkmcnt(0)
	; wave barrier
	s_and_saveexec_b64 s[4:5], vcc
	s_cbranch_execz .LBB91_528
; %bb.519:
	s_and_b64 vcc, exec, s[0:1]
	s_cbranch_vccnz .LBB91_521
; %bb.520:
	scratch_load_dwordx2 v[60:61], v19, off
	ds_read_b64 v[62:63], v1
	s_waitcnt vmcnt(0) lgkmcnt(0)
	v_mul_f64 v[60:61], v[60:61], v[62:63]
	s_cbranch_execz .LBB91_522
	s_branch .LBB91_523
.LBB91_521:
                                        ; implicit-def: $vgpr60_vgpr61
.LBB91_522:
	ds_read_b64 v[60:61], v1
.LBB91_523:
	s_and_saveexec_b64 s[0:1], s[2:3]
	s_cbranch_execz .LBB91_527
; %bb.524:
	s_mov_b32 s2, 0
	v_add_u32_e32 v1, 0xe8, v18
	v_add3_u32 v18, v18, s2, 8
	s_mov_b64 s[2:3], 0
.LBB91_525:                             ; =>This Inner Loop Header: Depth=1
	scratch_load_dwordx2 v[62:63], v18, off
	ds_read_b64 v[64:65], v1
	v_add_u32_e32 v0, 1, v0
	v_cmp_lt_u32_e32 vcc, 25, v0
	v_add_u32_e32 v1, 8, v1
	v_add_u32_e32 v18, 8, v18
	s_or_b64 s[2:3], vcc, s[2:3]
	s_waitcnt vmcnt(0) lgkmcnt(0)
	v_fmac_f64_e32 v[60:61], v[62:63], v[64:65]
	s_andn2_b64 exec, exec, s[2:3]
	s_cbranch_execnz .LBB91_525
; %bb.526:
	s_or_b64 exec, exec, s[2:3]
.LBB91_527:
	s_or_b64 exec, exec, s[0:1]
	v_mov_b32_e32 v0, 0
	ds_read_b64 v[0:1], v0 offset:216
	s_waitcnt lgkmcnt(0)
	v_mul_f64 v[0:1], v[60:61], v[0:1]
	scratch_store_dwordx2 off, v[0:1], off offset:216
.LBB91_528:
	s_or_b64 exec, exec, s[4:5]
.LBB91_529:
	scratch_load_dwordx2 v[0:1], off, off
	s_waitcnt vmcnt(0)
	flat_store_dwordx2 v[2:3], v[0:1]
	scratch_load_dwordx2 v[0:1], off, off offset:8
	s_waitcnt vmcnt(0)
	flat_store_dwordx2 v[4:5], v[0:1]
	scratch_load_dwordx2 v[0:1], off, off offset:16
	;; [unrolled: 3-line block ×27, first 2 shown]
	s_waitcnt vmcnt(0)
	flat_store_dwordx2 v[58:59], v[0:1]
.LBB91_530:
	s_endpgm
	.section	.rodata,"a",@progbits
	.p2align	6, 0x0
	.amdhsa_kernel _ZN9rocsolver6v33100L18trti2_kernel_smallILi28EdPKPdEEv13rocblas_fill_17rocblas_diagonal_T1_iil
		.amdhsa_group_segment_fixed_size 448
		.amdhsa_private_segment_fixed_size 240
		.amdhsa_kernarg_size 32
		.amdhsa_user_sgpr_count 2
		.amdhsa_user_sgpr_dispatch_ptr 0
		.amdhsa_user_sgpr_queue_ptr 0
		.amdhsa_user_sgpr_kernarg_segment_ptr 1
		.amdhsa_user_sgpr_dispatch_id 0
		.amdhsa_user_sgpr_kernarg_preload_length 0
		.amdhsa_user_sgpr_kernarg_preload_offset 0
		.amdhsa_user_sgpr_private_segment_size 0
		.amdhsa_uses_dynamic_stack 0
		.amdhsa_enable_private_segment 1
		.amdhsa_system_sgpr_workgroup_id_x 1
		.amdhsa_system_sgpr_workgroup_id_y 0
		.amdhsa_system_sgpr_workgroup_id_z 0
		.amdhsa_system_sgpr_workgroup_info 0
		.amdhsa_system_vgpr_workitem_id 0
		.amdhsa_next_free_vgpr 70
		.amdhsa_next_free_sgpr 37
		.amdhsa_accum_offset 72
		.amdhsa_reserve_vcc 1
		.amdhsa_float_round_mode_32 0
		.amdhsa_float_round_mode_16_64 0
		.amdhsa_float_denorm_mode_32 3
		.amdhsa_float_denorm_mode_16_64 3
		.amdhsa_dx10_clamp 1
		.amdhsa_ieee_mode 1
		.amdhsa_fp16_overflow 0
		.amdhsa_tg_split 0
		.amdhsa_exception_fp_ieee_invalid_op 0
		.amdhsa_exception_fp_denorm_src 0
		.amdhsa_exception_fp_ieee_div_zero 0
		.amdhsa_exception_fp_ieee_overflow 0
		.amdhsa_exception_fp_ieee_underflow 0
		.amdhsa_exception_fp_ieee_inexact 0
		.amdhsa_exception_int_div_zero 0
	.end_amdhsa_kernel
	.section	.text._ZN9rocsolver6v33100L18trti2_kernel_smallILi28EdPKPdEEv13rocblas_fill_17rocblas_diagonal_T1_iil,"axG",@progbits,_ZN9rocsolver6v33100L18trti2_kernel_smallILi28EdPKPdEEv13rocblas_fill_17rocblas_diagonal_T1_iil,comdat
.Lfunc_end91:
	.size	_ZN9rocsolver6v33100L18trti2_kernel_smallILi28EdPKPdEEv13rocblas_fill_17rocblas_diagonal_T1_iil, .Lfunc_end91-_ZN9rocsolver6v33100L18trti2_kernel_smallILi28EdPKPdEEv13rocblas_fill_17rocblas_diagonal_T1_iil
                                        ; -- End function
	.set _ZN9rocsolver6v33100L18trti2_kernel_smallILi28EdPKPdEEv13rocblas_fill_17rocblas_diagonal_T1_iil.num_vgpr, 70
	.set _ZN9rocsolver6v33100L18trti2_kernel_smallILi28EdPKPdEEv13rocblas_fill_17rocblas_diagonal_T1_iil.num_agpr, 0
	.set _ZN9rocsolver6v33100L18trti2_kernel_smallILi28EdPKPdEEv13rocblas_fill_17rocblas_diagonal_T1_iil.numbered_sgpr, 37
	.set _ZN9rocsolver6v33100L18trti2_kernel_smallILi28EdPKPdEEv13rocblas_fill_17rocblas_diagonal_T1_iil.num_named_barrier, 0
	.set _ZN9rocsolver6v33100L18trti2_kernel_smallILi28EdPKPdEEv13rocblas_fill_17rocblas_diagonal_T1_iil.private_seg_size, 240
	.set _ZN9rocsolver6v33100L18trti2_kernel_smallILi28EdPKPdEEv13rocblas_fill_17rocblas_diagonal_T1_iil.uses_vcc, 1
	.set _ZN9rocsolver6v33100L18trti2_kernel_smallILi28EdPKPdEEv13rocblas_fill_17rocblas_diagonal_T1_iil.uses_flat_scratch, 0
	.set _ZN9rocsolver6v33100L18trti2_kernel_smallILi28EdPKPdEEv13rocblas_fill_17rocblas_diagonal_T1_iil.has_dyn_sized_stack, 0
	.set _ZN9rocsolver6v33100L18trti2_kernel_smallILi28EdPKPdEEv13rocblas_fill_17rocblas_diagonal_T1_iil.has_recursion, 0
	.set _ZN9rocsolver6v33100L18trti2_kernel_smallILi28EdPKPdEEv13rocblas_fill_17rocblas_diagonal_T1_iil.has_indirect_call, 0
	.section	.AMDGPU.csdata,"",@progbits
; Kernel info:
; codeLenInByte = 13400
; TotalNumSgprs: 43
; NumVgprs: 70
; NumAgprs: 0
; TotalNumVgprs: 70
; ScratchSize: 240
; MemoryBound: 0
; FloatMode: 240
; IeeeMode: 1
; LDSByteSize: 448 bytes/workgroup (compile time only)
; SGPRBlocks: 5
; VGPRBlocks: 8
; NumSGPRsForWavesPerEU: 43
; NumVGPRsForWavesPerEU: 70
; AccumOffset: 72
; Occupancy: 7
; WaveLimiterHint : 1
; COMPUTE_PGM_RSRC2:SCRATCH_EN: 1
; COMPUTE_PGM_RSRC2:USER_SGPR: 2
; COMPUTE_PGM_RSRC2:TRAP_HANDLER: 0
; COMPUTE_PGM_RSRC2:TGID_X_EN: 1
; COMPUTE_PGM_RSRC2:TGID_Y_EN: 0
; COMPUTE_PGM_RSRC2:TGID_Z_EN: 0
; COMPUTE_PGM_RSRC2:TIDIG_COMP_CNT: 0
; COMPUTE_PGM_RSRC3_GFX90A:ACCUM_OFFSET: 17
; COMPUTE_PGM_RSRC3_GFX90A:TG_SPLIT: 0
	.section	.text._ZN9rocsolver6v33100L18trti2_kernel_smallILi29EdPKPdEEv13rocblas_fill_17rocblas_diagonal_T1_iil,"axG",@progbits,_ZN9rocsolver6v33100L18trti2_kernel_smallILi29EdPKPdEEv13rocblas_fill_17rocblas_diagonal_T1_iil,comdat
	.globl	_ZN9rocsolver6v33100L18trti2_kernel_smallILi29EdPKPdEEv13rocblas_fill_17rocblas_diagonal_T1_iil ; -- Begin function _ZN9rocsolver6v33100L18trti2_kernel_smallILi29EdPKPdEEv13rocblas_fill_17rocblas_diagonal_T1_iil
	.p2align	8
	.type	_ZN9rocsolver6v33100L18trti2_kernel_smallILi29EdPKPdEEv13rocblas_fill_17rocblas_diagonal_T1_iil,@function
_ZN9rocsolver6v33100L18trti2_kernel_smallILi29EdPKPdEEv13rocblas_fill_17rocblas_diagonal_T1_iil: ; @_ZN9rocsolver6v33100L18trti2_kernel_smallILi29EdPKPdEEv13rocblas_fill_17rocblas_diagonal_T1_iil
; %bb.0:
	v_cmp_gt_u32_e32 vcc, 29, v0
	s_and_saveexec_b64 s[4:5], vcc
	s_cbranch_execz .LBB92_550
; %bb.1:
	s_load_dwordx2 s[8:9], s[0:1], 0x10
	s_load_dwordx4 s[4:7], s[0:1], 0x0
	s_ashr_i32 s3, s2, 31
	s_lshl_b64 s[0:1], s[2:3], 3
	v_lshlrev_b32_e32 v18, 3, v0
	s_waitcnt lgkmcnt(0)
	s_ashr_i32 s3, s8, 31
	s_add_u32 s0, s6, s0
	s_addc_u32 s1, s7, s1
	s_load_dwordx2 s[0:1], s[0:1], 0x0
	s_mov_b32 s2, s8
	s_lshl_b64 s[2:3], s[2:3], 3
	v_mov_b32_e32 v19, 0
	s_waitcnt lgkmcnt(0)
	s_add_u32 s0, s0, s2
	s_addc_u32 s1, s1, s3
	v_lshl_add_u64 v[2:3], s[0:1], 0, v[18:19]
	flat_load_dwordx2 v[6:7], v[2:3]
	s_mov_b32 s2, s9
	s_ashr_i32 s3, s9, 31
	v_lshl_add_u64 v[4:5], s[2:3], 3, v[2:3]
	s_add_i32 s2, s9, s9
	v_add_u32_e32 v10, s2, v0
	v_ashrrev_i32_e32 v11, 31, v10
	s_cmpk_lg_i32 s5, 0x84
	s_cselect_b64 s[6:7], -1, 0
	s_cmpk_eq_i32 s5, 0x84
	s_waitcnt vmcnt(0) lgkmcnt(0)
	scratch_store_dwordx2 off, v[6:7], off
	flat_load_dwordx2 v[8:9], v[4:5]
	v_lshl_add_u64 v[6:7], v[10:11], 3, s[0:1]
	v_add_u32_e32 v10, s9, v10
	v_ashrrev_i32_e32 v11, 31, v10
	v_add_u32_e32 v14, s9, v10
	v_ashrrev_i32_e32 v15, 31, v14
	s_waitcnt vmcnt(0) lgkmcnt(0)
	scratch_store_dwordx2 off, v[8:9], off offset:8
	flat_load_dwordx2 v[12:13], v[6:7]
	v_lshl_add_u64 v[8:9], v[10:11], 3, s[0:1]
	v_lshl_add_u64 v[10:11], v[14:15], 3, s[0:1]
	v_add_u32_e32 v14, s9, v14
	v_ashrrev_i32_e32 v15, 31, v14
	v_add_u32_e32 v20, s9, v14
	v_ashrrev_i32_e32 v21, 31, v20
	s_waitcnt vmcnt(0) lgkmcnt(0)
	scratch_store_dwordx2 off, v[12:13], off offset:16
	flat_load_dwordx2 v[12:13], v[8:9]
	s_waitcnt vmcnt(0) lgkmcnt(0)
	scratch_store_dwordx2 off, v[12:13], off offset:24
	flat_load_dwordx2 v[16:17], v[10:11]
	v_lshl_add_u64 v[12:13], v[14:15], 3, s[0:1]
	v_lshl_add_u64 v[14:15], v[20:21], 3, s[0:1]
	v_add_u32_e32 v20, s9, v20
	v_ashrrev_i32_e32 v21, 31, v20
	v_add_u32_e32 v24, s9, v20
	v_ashrrev_i32_e32 v25, 31, v24
	s_waitcnt vmcnt(0) lgkmcnt(0)
	scratch_store_dwordx2 off, v[16:17], off offset:32
	flat_load_dwordx2 v[16:17], v[12:13]
	;; [unrolled: 12-line block ×11, first 2 shown]
	s_waitcnt vmcnt(0) lgkmcnt(0)
	scratch_store_dwordx2 off, v[54:55], off offset:184
	flat_load_dwordx2 v[58:59], v[52:53]
	v_lshl_add_u64 v[54:55], v[56:57], 3, s[0:1]
	v_lshl_add_u64 v[56:57], v[60:61], 3, s[0:1]
	v_add_u32_e32 v60, s9, v60
	v_ashrrev_i32_e32 v61, 31, v60
	s_waitcnt vmcnt(0) lgkmcnt(0)
	scratch_store_dwordx2 off, v[58:59], off offset:192
	flat_load_dwordx2 v[58:59], v[54:55]
	s_waitcnt vmcnt(0) lgkmcnt(0)
	scratch_store_dwordx2 off, v[58:59], off offset:200
	flat_load_dwordx2 v[62:63], v[56:57]
	v_lshl_add_u64 v[58:59], v[60:61], 3, s[0:1]
	v_add_u32_e32 v60, s9, v60
	v_ashrrev_i32_e32 v61, 31, v60
	v_lshl_add_u64 v[60:61], v[60:61], 3, s[0:1]
	s_waitcnt vmcnt(0) lgkmcnt(0)
	scratch_store_dwordx2 off, v[62:63], off offset:208
	flat_load_dwordx2 v[62:63], v[58:59]
	s_waitcnt vmcnt(0) lgkmcnt(0)
	scratch_store_dwordx2 off, v[62:63], off offset:216
	flat_load_dwordx2 v[62:63], v[60:61]
	s_waitcnt vmcnt(0) lgkmcnt(0)
	scratch_store_dwordx2 off, v[62:63], off offset:224
	v_mov_b64_e32 v[62:63], -1.0
	s_cbranch_scc1 .LBB92_3
; %bb.2:
	scratch_load_dwordx2 v[62:63], v18, off
	s_waitcnt vmcnt(0)
	v_div_scale_f64 v[64:65], s[0:1], v[62:63], v[62:63], 1.0
	v_rcp_f64_e32 v[66:67], v[64:65]
	v_div_scale_f64 v[68:69], vcc, 1.0, v[62:63], 1.0
	v_fma_f64 v[70:71], -v[64:65], v[66:67], 1.0
	v_fmac_f64_e32 v[66:67], v[66:67], v[70:71]
	v_fma_f64 v[70:71], -v[64:65], v[66:67], 1.0
	v_fmac_f64_e32 v[66:67], v[66:67], v[70:71]
	v_mul_f64 v[70:71], v[68:69], v[66:67]
	v_fma_f64 v[64:65], -v[64:65], v[70:71], v[68:69]
	v_div_fmas_f64 v[64:65], v[64:65], v[66:67], v[70:71]
	v_div_fixup_f64 v[62:63], v[64:65], v[62:63], 1.0
	scratch_store_dwordx2 v18, v[62:63], off
	v_xor_b32_e32 v63, 0x80000000, v63
.LBB92_3:
	s_cmpk_eq_i32 s4, 0x79
	v_add_u32_e32 v1, 0xf0, v18
	v_mov_b32_e32 v19, v18
	s_mov_b64 s[0:1], -1
	ds_write_b64 v18, v[62:63]
	s_cbranch_scc1 .LBB92_277
; %bb.4:
	scratch_load_dwordx2 v[62:63], off, off offset:216
	s_movk_i32 s8, 0x48
	s_movk_i32 s9, 0x50
	;; [unrolled: 1-line block ×18, first 2 shown]
	v_cmp_eq_u32_e64 s[0:1], 28, v0
	s_waitcnt vmcnt(0)
	ds_write_b64 v1, v[62:63]
	s_waitcnt lgkmcnt(0)
	; wave barrier
	s_and_saveexec_b64 s[2:3], s[0:1]
	s_cbranch_execz .LBB92_10
; %bb.5:
	s_and_b64 vcc, exec, s[6:7]
	s_cbranch_vccz .LBB92_7
; %bb.6:
	scratch_load_dwordx2 v[62:63], v19, off
	ds_read_b64 v[64:65], v1
	s_waitcnt vmcnt(0) lgkmcnt(0)
	v_mul_f64 v[62:63], v[62:63], v[64:65]
	s_cbranch_execz .LBB92_8
	s_branch .LBB92_9
.LBB92_7:
                                        ; implicit-def: $vgpr62_vgpr63
.LBB92_8:
	ds_read_b64 v[62:63], v1
.LBB92_9:
	v_mov_b32_e32 v64, 0
	ds_read_b64 v[64:65], v64 offset:216
	s_waitcnt lgkmcnt(0)
	v_mul_f64 v[62:63], v[62:63], v[64:65]
	scratch_store_dwordx2 off, v[62:63], off offset:216
.LBB92_10:
	s_or_b64 exec, exec, s[2:3]
	scratch_load_dwordx2 v[62:63], off, off offset:208
	s_or_b32 s10, 0, 8
	s_mov_b32 s11, 16
	s_mov_b32 s12, 24
	s_mov_b32 s13, 32
	s_mov_b32 s14, 40
	s_mov_b32 s15, 48
	s_mov_b32 s16, 56
	s_mov_b32 s17, 64
	s_mov_b32 s18, s8
	s_mov_b32 s19, s9
	v_cmp_lt_u32_e64 s[2:3], 26, v0
	s_waitcnt vmcnt(0)
	ds_write_b64 v1, v[62:63]
	s_waitcnt lgkmcnt(0)
	; wave barrier
	s_and_saveexec_b64 s[4:5], s[2:3]
	s_cbranch_execz .LBB92_16
; %bb.11:
	s_andn2_b64 vcc, exec, s[6:7]
	s_cbranch_vccnz .LBB92_13
; %bb.12:
	scratch_load_dwordx2 v[62:63], v19, off
	ds_read_b64 v[64:65], v1
	s_waitcnt vmcnt(0) lgkmcnt(0)
	v_mul_f64 v[62:63], v[62:63], v[64:65]
	s_cbranch_execz .LBB92_14
	s_branch .LBB92_15
.LBB92_13:
                                        ; implicit-def: $vgpr62_vgpr63
.LBB92_14:
	ds_read_b64 v[62:63], v1
.LBB92_15:
	scratch_load_dwordx2 v[68:69], off, off offset:216
	v_mov_b32_e32 v64, 0
	ds_read2_b64 v[64:67], v64 offset0:26 offset1:57
	s_waitcnt vmcnt(0) lgkmcnt(0)
	v_fma_f64 v[66:67], v[68:69], v[66:67], v[62:63]
	v_cndmask_b32_e64 v63, v63, v67, s[0:1]
	v_cndmask_b32_e64 v62, v62, v66, s[0:1]
	v_mul_f64 v[62:63], v[62:63], v[64:65]
	scratch_store_dwordx2 off, v[62:63], off offset:208
.LBB92_16:
	s_or_b64 exec, exec, s[4:5]
	scratch_load_dwordx2 v[62:63], off, off offset:200
	v_cmp_lt_u32_e64 s[0:1], 25, v0
	s_waitcnt vmcnt(0)
	ds_write_b64 v1, v[62:63]
	s_waitcnt lgkmcnt(0)
	; wave barrier
	s_and_saveexec_b64 s[4:5], s[0:1]
	s_cbranch_execz .LBB92_26
; %bb.17:
	s_andn2_b64 vcc, exec, s[6:7]
	s_cbranch_vccnz .LBB92_19
; %bb.18:
	scratch_load_dwordx2 v[62:63], v19, off
	ds_read_b64 v[64:65], v1
	s_waitcnt vmcnt(0) lgkmcnt(0)
	v_mul_f64 v[62:63], v[62:63], v[64:65]
	s_cbranch_execz .LBB92_20
	s_branch .LBB92_21
.LBB92_19:
                                        ; implicit-def: $vgpr62_vgpr63
.LBB92_20:
	ds_read_b64 v[62:63], v1
.LBB92_21:
	s_and_saveexec_b64 s[8:9], s[2:3]
	s_cbranch_execz .LBB92_25
; %bb.22:
	v_subrev_u32_e32 v64, 26, v0
	s_movk_i32 s37, 0x1c0
	s_mov_b64 s[2:3], 0
.LBB92_23:                              ; =>This Inner Loop Header: Depth=1
	scratch_load_dwordx2 v[66:67], off, s36
	v_mov_b32_e32 v65, s37
	ds_read_b64 v[68:69], v65
	v_add_u32_e32 v64, -1, v64
	s_add_i32 s37, s37, 8
	s_add_i32 s36, s36, 8
	v_cmp_eq_u32_e32 vcc, 0, v64
	s_or_b64 s[2:3], vcc, s[2:3]
	s_waitcnt vmcnt(0) lgkmcnt(0)
	v_fmac_f64_e32 v[62:63], v[66:67], v[68:69]
	s_andn2_b64 exec, exec, s[2:3]
	s_cbranch_execnz .LBB92_23
; %bb.24:
	s_or_b64 exec, exec, s[2:3]
.LBB92_25:
	s_or_b64 exec, exec, s[8:9]
	v_mov_b32_e32 v64, 0
	ds_read_b64 v[64:65], v64 offset:200
	s_waitcnt lgkmcnt(0)
	v_mul_f64 v[62:63], v[62:63], v[64:65]
	scratch_store_dwordx2 off, v[62:63], off offset:200
.LBB92_26:
	s_or_b64 exec, exec, s[4:5]
	scratch_load_dwordx2 v[62:63], off, off offset:192
	v_cmp_lt_u32_e64 s[2:3], 24, v0
	s_waitcnt vmcnt(0)
	ds_write_b64 v1, v[62:63]
	s_waitcnt lgkmcnt(0)
	; wave barrier
	s_and_saveexec_b64 s[4:5], s[2:3]
	s_cbranch_execz .LBB92_36
; %bb.27:
	s_andn2_b64 vcc, exec, s[6:7]
	s_cbranch_vccnz .LBB92_29
; %bb.28:
	scratch_load_dwordx2 v[62:63], v19, off
	ds_read_b64 v[64:65], v1
	s_waitcnt vmcnt(0) lgkmcnt(0)
	v_mul_f64 v[62:63], v[62:63], v[64:65]
	s_cbranch_execz .LBB92_30
	s_branch .LBB92_31
.LBB92_29:
                                        ; implicit-def: $vgpr62_vgpr63
.LBB92_30:
	ds_read_b64 v[62:63], v1
.LBB92_31:
	s_and_saveexec_b64 s[8:9], s[0:1]
	s_cbranch_execz .LBB92_35
; %bb.32:
	v_subrev_u32_e32 v64, 25, v0
	s_movk_i32 s36, 0x1b8
	s_mov_b64 s[0:1], 0
.LBB92_33:                              ; =>This Inner Loop Header: Depth=1
	scratch_load_dwordx2 v[66:67], off, s35
	v_mov_b32_e32 v65, s36
	ds_read_b64 v[68:69], v65
	v_add_u32_e32 v64, -1, v64
	s_add_i32 s36, s36, 8
	s_add_i32 s35, s35, 8
	v_cmp_eq_u32_e32 vcc, 0, v64
	s_or_b64 s[0:1], vcc, s[0:1]
	s_waitcnt vmcnt(0) lgkmcnt(0)
	v_fmac_f64_e32 v[62:63], v[66:67], v[68:69]
	s_andn2_b64 exec, exec, s[0:1]
	s_cbranch_execnz .LBB92_33
; %bb.34:
	s_or_b64 exec, exec, s[0:1]
.LBB92_35:
	s_or_b64 exec, exec, s[8:9]
	v_mov_b32_e32 v64, 0
	ds_read_b64 v[64:65], v64 offset:192
	s_waitcnt lgkmcnt(0)
	v_mul_f64 v[62:63], v[62:63], v[64:65]
	scratch_store_dwordx2 off, v[62:63], off offset:192
.LBB92_36:
	;; [unrolled: 53-line block ×8, first 2 shown]
	s_or_b64 exec, exec, s[4:5]
	scratch_load_dwordx2 v[62:63], off, off offset:136
	v_cmp_lt_u32_e64 s[0:1], 17, v0
	s_waitcnt vmcnt(0)
	ds_write_b64 v1, v[62:63]
	s_waitcnt lgkmcnt(0)
	; wave barrier
	s_and_saveexec_b64 s[4:5], s[0:1]
	s_cbranch_execz .LBB92_106
; %bb.97:
	s_andn2_b64 vcc, exec, s[6:7]
	s_cbranch_vccnz .LBB92_99
; %bb.98:
	scratch_load_dwordx2 v[62:63], v19, off
	ds_read_b64 v[64:65], v1
	s_waitcnt vmcnt(0) lgkmcnt(0)
	v_mul_f64 v[62:63], v[62:63], v[64:65]
	s_cbranch_execz .LBB92_100
	s_branch .LBB92_101
.LBB92_99:
                                        ; implicit-def: $vgpr62_vgpr63
.LBB92_100:
	ds_read_b64 v[62:63], v1
.LBB92_101:
	s_and_saveexec_b64 s[8:9], s[2:3]
	s_cbranch_execz .LBB92_105
; %bb.102:
	v_subrev_u32_e32 v64, 18, v0
	s_movk_i32 s28, 0x180
	s_mov_b64 s[2:3], 0
.LBB92_103:                             ; =>This Inner Loop Header: Depth=1
	scratch_load_dwordx2 v[66:67], off, s27
	v_mov_b32_e32 v65, s28
	ds_read_b64 v[68:69], v65
	v_add_u32_e32 v64, -1, v64
	s_add_i32 s28, s28, 8
	s_add_i32 s27, s27, 8
	v_cmp_eq_u32_e32 vcc, 0, v64
	s_or_b64 s[2:3], vcc, s[2:3]
	s_waitcnt vmcnt(0) lgkmcnt(0)
	v_fmac_f64_e32 v[62:63], v[66:67], v[68:69]
	s_andn2_b64 exec, exec, s[2:3]
	s_cbranch_execnz .LBB92_103
; %bb.104:
	s_or_b64 exec, exec, s[2:3]
.LBB92_105:
	s_or_b64 exec, exec, s[8:9]
	v_mov_b32_e32 v64, 0
	ds_read_b64 v[64:65], v64 offset:136
	s_waitcnt lgkmcnt(0)
	v_mul_f64 v[62:63], v[62:63], v[64:65]
	scratch_store_dwordx2 off, v[62:63], off offset:136
.LBB92_106:
	s_or_b64 exec, exec, s[4:5]
	scratch_load_dwordx2 v[62:63], off, off offset:128
	v_cmp_lt_u32_e64 s[2:3], 16, v0
	s_waitcnt vmcnt(0)
	ds_write_b64 v1, v[62:63]
	s_waitcnt lgkmcnt(0)
	; wave barrier
	s_and_saveexec_b64 s[4:5], s[2:3]
	s_cbranch_execz .LBB92_116
; %bb.107:
	s_andn2_b64 vcc, exec, s[6:7]
	s_cbranch_vccnz .LBB92_109
; %bb.108:
	scratch_load_dwordx2 v[62:63], v19, off
	ds_read_b64 v[64:65], v1
	s_waitcnt vmcnt(0) lgkmcnt(0)
	v_mul_f64 v[62:63], v[62:63], v[64:65]
	s_cbranch_execz .LBB92_110
	s_branch .LBB92_111
.LBB92_109:
                                        ; implicit-def: $vgpr62_vgpr63
.LBB92_110:
	ds_read_b64 v[62:63], v1
.LBB92_111:
	s_and_saveexec_b64 s[8:9], s[0:1]
	s_cbranch_execz .LBB92_115
; %bb.112:
	v_subrev_u32_e32 v64, 17, v0
	s_movk_i32 s27, 0x178
	s_mov_b64 s[0:1], 0
.LBB92_113:                             ; =>This Inner Loop Header: Depth=1
	scratch_load_dwordx2 v[66:67], off, s26
	v_mov_b32_e32 v65, s27
	ds_read_b64 v[68:69], v65
	v_add_u32_e32 v64, -1, v64
	s_add_i32 s27, s27, 8
	s_add_i32 s26, s26, 8
	v_cmp_eq_u32_e32 vcc, 0, v64
	s_or_b64 s[0:1], vcc, s[0:1]
	s_waitcnt vmcnt(0) lgkmcnt(0)
	v_fmac_f64_e32 v[62:63], v[66:67], v[68:69]
	s_andn2_b64 exec, exec, s[0:1]
	s_cbranch_execnz .LBB92_113
; %bb.114:
	s_or_b64 exec, exec, s[0:1]
.LBB92_115:
	s_or_b64 exec, exec, s[8:9]
	v_mov_b32_e32 v64, 0
	ds_read_b64 v[64:65], v64 offset:128
	s_waitcnt lgkmcnt(0)
	v_mul_f64 v[62:63], v[62:63], v[64:65]
	scratch_store_dwordx2 off, v[62:63], off offset:128
.LBB92_116:
	s_or_b64 exec, exec, s[4:5]
	scratch_load_dwordx2 v[62:63], off, off offset:120
	v_cmp_lt_u32_e64 s[0:1], 15, v0
	s_waitcnt vmcnt(0)
	ds_write_b64 v1, v[62:63]
	s_waitcnt lgkmcnt(0)
	; wave barrier
	s_and_saveexec_b64 s[4:5], s[0:1]
	s_cbranch_execz .LBB92_126
; %bb.117:
	s_andn2_b64 vcc, exec, s[6:7]
	s_cbranch_vccnz .LBB92_119
; %bb.118:
	scratch_load_dwordx2 v[62:63], v19, off
	ds_read_b64 v[64:65], v1
	s_waitcnt vmcnt(0) lgkmcnt(0)
	v_mul_f64 v[62:63], v[62:63], v[64:65]
	s_cbranch_execz .LBB92_120
	s_branch .LBB92_121
.LBB92_119:
                                        ; implicit-def: $vgpr62_vgpr63
.LBB92_120:
	ds_read_b64 v[62:63], v1
.LBB92_121:
	s_and_saveexec_b64 s[8:9], s[2:3]
	s_cbranch_execz .LBB92_125
; %bb.122:
	v_add_u32_e32 v64, -16, v0
	s_movk_i32 s26, 0x170
	s_mov_b64 s[2:3], 0
.LBB92_123:                             ; =>This Inner Loop Header: Depth=1
	scratch_load_dwordx2 v[66:67], off, s25
	v_mov_b32_e32 v65, s26
	ds_read_b64 v[68:69], v65
	v_add_u32_e32 v64, -1, v64
	s_add_i32 s26, s26, 8
	s_add_i32 s25, s25, 8
	v_cmp_eq_u32_e32 vcc, 0, v64
	s_or_b64 s[2:3], vcc, s[2:3]
	s_waitcnt vmcnt(0) lgkmcnt(0)
	v_fmac_f64_e32 v[62:63], v[66:67], v[68:69]
	s_andn2_b64 exec, exec, s[2:3]
	s_cbranch_execnz .LBB92_123
; %bb.124:
	s_or_b64 exec, exec, s[2:3]
.LBB92_125:
	s_or_b64 exec, exec, s[8:9]
	v_mov_b32_e32 v64, 0
	ds_read_b64 v[64:65], v64 offset:120
	s_waitcnt lgkmcnt(0)
	v_mul_f64 v[62:63], v[62:63], v[64:65]
	scratch_store_dwordx2 off, v[62:63], off offset:120
.LBB92_126:
	s_or_b64 exec, exec, s[4:5]
	scratch_load_dwordx2 v[62:63], off, off offset:112
	v_cmp_lt_u32_e64 s[2:3], 14, v0
	s_waitcnt vmcnt(0)
	ds_write_b64 v1, v[62:63]
	s_waitcnt lgkmcnt(0)
	; wave barrier
	s_and_saveexec_b64 s[4:5], s[2:3]
	s_cbranch_execz .LBB92_136
; %bb.127:
	s_andn2_b64 vcc, exec, s[6:7]
	s_cbranch_vccnz .LBB92_129
; %bb.128:
	scratch_load_dwordx2 v[62:63], v19, off
	ds_read_b64 v[64:65], v1
	s_waitcnt vmcnt(0) lgkmcnt(0)
	v_mul_f64 v[62:63], v[62:63], v[64:65]
	s_cbranch_execz .LBB92_130
	s_branch .LBB92_131
.LBB92_129:
                                        ; implicit-def: $vgpr62_vgpr63
.LBB92_130:
	ds_read_b64 v[62:63], v1
.LBB92_131:
	s_and_saveexec_b64 s[8:9], s[0:1]
	s_cbranch_execz .LBB92_135
; %bb.132:
	v_add_u32_e32 v64, -15, v0
	s_movk_i32 s25, 0x168
	s_mov_b64 s[0:1], 0
.LBB92_133:                             ; =>This Inner Loop Header: Depth=1
	scratch_load_dwordx2 v[66:67], off, s24
	v_mov_b32_e32 v65, s25
	ds_read_b64 v[68:69], v65
	v_add_u32_e32 v64, -1, v64
	s_add_i32 s25, s25, 8
	s_add_i32 s24, s24, 8
	v_cmp_eq_u32_e32 vcc, 0, v64
	s_or_b64 s[0:1], vcc, s[0:1]
	s_waitcnt vmcnt(0) lgkmcnt(0)
	v_fmac_f64_e32 v[62:63], v[66:67], v[68:69]
	s_andn2_b64 exec, exec, s[0:1]
	s_cbranch_execnz .LBB92_133
; %bb.134:
	s_or_b64 exec, exec, s[0:1]
.LBB92_135:
	s_or_b64 exec, exec, s[8:9]
	v_mov_b32_e32 v64, 0
	ds_read_b64 v[64:65], v64 offset:112
	s_waitcnt lgkmcnt(0)
	v_mul_f64 v[62:63], v[62:63], v[64:65]
	scratch_store_dwordx2 off, v[62:63], off offset:112
.LBB92_136:
	;; [unrolled: 53-line block ×15, first 2 shown]
	s_or_b64 exec, exec, s[4:5]
	scratch_load_dwordx2 v[62:63], off, off
	v_cmp_ne_u32_e32 vcc, 0, v0
	s_waitcnt vmcnt(0)
	ds_write_b64 v1, v[62:63]
	s_waitcnt lgkmcnt(0)
	; wave barrier
	s_and_saveexec_b64 s[2:3], vcc
	s_cbranch_execz .LBB92_276
; %bb.267:
	s_andn2_b64 vcc, exec, s[6:7]
	s_cbranch_vccnz .LBB92_269
; %bb.268:
	scratch_load_dwordx2 v[62:63], v19, off
	ds_read_b64 v[64:65], v1
	s_waitcnt vmcnt(0) lgkmcnt(0)
	v_mul_f64 v[62:63], v[62:63], v[64:65]
	s_cbranch_execz .LBB92_270
	s_branch .LBB92_271
.LBB92_269:
                                        ; implicit-def: $vgpr62_vgpr63
.LBB92_270:
	ds_read_b64 v[62:63], v1
.LBB92_271:
	s_and_saveexec_b64 s[4:5], s[0:1]
	s_cbranch_execz .LBB92_275
; %bb.272:
	v_add_u32_e32 v64, -1, v0
	s_movk_i32 s8, 0xf8
	s_mov_b64 s[0:1], 0
.LBB92_273:                             ; =>This Inner Loop Header: Depth=1
	scratch_load_dwordx2 v[66:67], off, s10
	v_mov_b32_e32 v65, s8
	ds_read_b64 v[68:69], v65
	v_add_u32_e32 v64, -1, v64
	s_add_i32 s8, s8, 8
	s_add_i32 s10, s10, 8
	v_cmp_eq_u32_e32 vcc, 0, v64
	s_or_b64 s[0:1], vcc, s[0:1]
	s_waitcnt vmcnt(0) lgkmcnt(0)
	v_fmac_f64_e32 v[62:63], v[66:67], v[68:69]
	s_andn2_b64 exec, exec, s[0:1]
	s_cbranch_execnz .LBB92_273
; %bb.274:
	s_or_b64 exec, exec, s[0:1]
.LBB92_275:
	s_or_b64 exec, exec, s[4:5]
	v_mov_b32_e32 v64, 0
	ds_read_b64 v[64:65], v64
	s_waitcnt lgkmcnt(0)
	v_mul_f64 v[62:63], v[62:63], v[64:65]
	scratch_store_dwordx2 off, v[62:63], off
.LBB92_276:
	s_or_b64 exec, exec, s[2:3]
	s_mov_b64 s[0:1], 0
.LBB92_277:
	s_and_b64 vcc, exec, s[0:1]
	s_cbranch_vccz .LBB92_549
; %bb.278:
	scratch_load_dwordx2 v[62:63], off, off offset:8
	v_cmp_eq_u32_e64 s[2:3], 0, v0
	s_waitcnt vmcnt(0)
	ds_write_b64 v1, v[62:63]
	s_waitcnt lgkmcnt(0)
	; wave barrier
	s_and_saveexec_b64 s[0:1], s[2:3]
	s_cbranch_execz .LBB92_284
; %bb.279:
	s_and_b64 vcc, exec, s[6:7]
	s_cbranch_vccz .LBB92_281
; %bb.280:
	scratch_load_dwordx2 v[62:63], v19, off
	ds_read_b64 v[64:65], v1
	s_waitcnt vmcnt(0) lgkmcnt(0)
	v_mul_f64 v[62:63], v[62:63], v[64:65]
	s_cbranch_execz .LBB92_282
	s_branch .LBB92_283
.LBB92_281:
                                        ; implicit-def: $vgpr62_vgpr63
.LBB92_282:
	ds_read_b64 v[62:63], v1
.LBB92_283:
	v_mov_b32_e32 v64, 0
	ds_read_b64 v[64:65], v64 offset:8
	s_waitcnt lgkmcnt(0)
	v_mul_f64 v[62:63], v[62:63], v[64:65]
	scratch_store_dwordx2 off, v[62:63], off offset:8
.LBB92_284:
	s_or_b64 exec, exec, s[0:1]
	scratch_load_dwordx2 v[62:63], off, off offset:16
	v_cndmask_b32_e64 v64, 0, 1, s[6:7]
	v_cmp_gt_u32_e32 vcc, 2, v0
	v_cmp_ne_u32_e64 s[0:1], 1, v64
	s_waitcnt vmcnt(0)
	ds_write_b64 v1, v[62:63]
	s_waitcnt lgkmcnt(0)
	; wave barrier
	s_and_saveexec_b64 s[4:5], vcc
	s_cbranch_execz .LBB92_290
; %bb.285:
	s_and_b64 vcc, exec, s[0:1]
	s_cbranch_vccnz .LBB92_287
; %bb.286:
	scratch_load_dwordx2 v[62:63], v19, off
	ds_read_b64 v[64:65], v1
	s_waitcnt vmcnt(0) lgkmcnt(0)
	v_mul_f64 v[62:63], v[62:63], v[64:65]
	s_cbranch_execz .LBB92_288
	s_branch .LBB92_289
.LBB92_287:
                                        ; implicit-def: $vgpr62_vgpr63
.LBB92_288:
	ds_read_b64 v[62:63], v1
.LBB92_289:
	scratch_load_dwordx2 v[68:69], off, off offset:8
	v_mov_b32_e32 v64, 0
	ds_read2_b64 v[64:67], v64 offset0:2 offset1:31
	s_waitcnt vmcnt(0) lgkmcnt(0)
	v_fma_f64 v[66:67], v[68:69], v[66:67], v[62:63]
	v_cndmask_b32_e64 v63, v63, v67, s[2:3]
	v_cndmask_b32_e64 v62, v62, v66, s[2:3]
	v_mul_f64 v[62:63], v[62:63], v[64:65]
	scratch_store_dwordx2 off, v[62:63], off offset:16
.LBB92_290:
	s_or_b64 exec, exec, s[4:5]
	scratch_load_dwordx2 v[62:63], off, off offset:24
	v_cmp_gt_u32_e32 vcc, 3, v0
	s_waitcnt vmcnt(0)
	ds_write_b64 v1, v[62:63]
	s_waitcnt lgkmcnt(0)
	; wave barrier
	s_and_saveexec_b64 s[4:5], vcc
	s_cbranch_execz .LBB92_298
; %bb.291:
	s_and_b64 vcc, exec, s[0:1]
	s_cbranch_vccnz .LBB92_293
; %bb.292:
	scratch_load_dwordx2 v[62:63], v19, off
	ds_read_b64 v[64:65], v1
	s_waitcnt vmcnt(0) lgkmcnt(0)
	v_mul_f64 v[62:63], v[62:63], v[64:65]
	s_cbranch_execz .LBB92_294
	s_branch .LBB92_295
.LBB92_293:
                                        ; implicit-def: $vgpr62_vgpr63
.LBB92_294:
	ds_read_b64 v[62:63], v1
.LBB92_295:
	v_cmp_ne_u32_e32 vcc, 2, v0
	s_and_saveexec_b64 s[6:7], vcc
	s_cbranch_execz .LBB92_297
; %bb.296:
	scratch_load_dwordx2 v[64:65], v19, off offset:8
	scratch_load_dwordx2 v[66:67], off, off offset:16
	ds_read_b64 v[68:69], v1 offset:8
	v_mov_b32_e32 v70, 0
	ds_read_b64 v[70:71], v70 offset:256
	s_waitcnt vmcnt(1) lgkmcnt(1)
	v_fmac_f64_e32 v[62:63], v[64:65], v[68:69]
	s_waitcnt vmcnt(0) lgkmcnt(0)
	v_fma_f64 v[64:65], v[66:67], v[70:71], v[62:63]
	v_cndmask_b32_e64 v63, v63, v65, s[2:3]
	v_cndmask_b32_e64 v62, v62, v64, s[2:3]
.LBB92_297:
	s_or_b64 exec, exec, s[6:7]
	v_mov_b32_e32 v64, 0
	ds_read_b64 v[64:65], v64 offset:24
	s_waitcnt lgkmcnt(0)
	v_mul_f64 v[62:63], v[62:63], v[64:65]
	scratch_store_dwordx2 off, v[62:63], off offset:24
.LBB92_298:
	s_or_b64 exec, exec, s[4:5]
	scratch_load_dwordx2 v[62:63], off, off offset:32
	v_cmp_gt_u32_e32 vcc, 4, v0
	s_waitcnt vmcnt(0)
	ds_write_b64 v1, v[62:63]
	s_waitcnt lgkmcnt(0)
	; wave barrier
	s_and_saveexec_b64 s[2:3], vcc
	s_cbranch_execz .LBB92_308
; %bb.299:
	s_and_b64 vcc, exec, s[0:1]
	s_cbranch_vccnz .LBB92_301
; %bb.300:
	scratch_load_dwordx2 v[62:63], v19, off
	ds_read_b64 v[64:65], v1
	s_waitcnt vmcnt(0) lgkmcnt(0)
	v_mul_f64 v[62:63], v[62:63], v[64:65]
	s_cbranch_execz .LBB92_302
	s_branch .LBB92_303
.LBB92_301:
                                        ; implicit-def: $vgpr62_vgpr63
.LBB92_302:
	ds_read_b64 v[62:63], v1
.LBB92_303:
	v_cmp_ne_u32_e32 vcc, 3, v0
	s_and_saveexec_b64 s[4:5], vcc
	s_cbranch_execz .LBB92_307
; %bb.304:
	s_mov_b32 s6, 0
	v_add_u32_e32 v64, 0xf8, v18
	v_add3_u32 v65, v18, s6, 8
	s_mov_b64 s[6:7], 0
	v_mov_b32_e32 v66, v0
.LBB92_305:                             ; =>This Inner Loop Header: Depth=1
	scratch_load_dwordx2 v[68:69], v65, off
	ds_read_b64 v[70:71], v64
	v_add_u32_e32 v66, 1, v66
	v_cmp_lt_u32_e32 vcc, 2, v66
	v_add_u32_e32 v64, 8, v64
	v_add_u32_e32 v65, 8, v65
	s_or_b64 s[6:7], vcc, s[6:7]
	s_waitcnt vmcnt(0) lgkmcnt(0)
	v_fmac_f64_e32 v[62:63], v[68:69], v[70:71]
	s_andn2_b64 exec, exec, s[6:7]
	s_cbranch_execnz .LBB92_305
; %bb.306:
	s_or_b64 exec, exec, s[6:7]
.LBB92_307:
	s_or_b64 exec, exec, s[4:5]
	v_mov_b32_e32 v64, 0
	ds_read_b64 v[64:65], v64 offset:32
	s_waitcnt lgkmcnt(0)
	v_mul_f64 v[62:63], v[62:63], v[64:65]
	scratch_store_dwordx2 off, v[62:63], off offset:32
.LBB92_308:
	s_or_b64 exec, exec, s[2:3]
	scratch_load_dwordx2 v[62:63], off, off offset:40
	v_cmp_gt_u32_e32 vcc, 5, v0
	s_waitcnt vmcnt(0)
	ds_write_b64 v1, v[62:63]
	s_waitcnt lgkmcnt(0)
	; wave barrier
	s_and_saveexec_b64 s[2:3], vcc
	s_cbranch_execz .LBB92_318
; %bb.309:
	s_and_b64 vcc, exec, s[0:1]
	s_cbranch_vccnz .LBB92_311
; %bb.310:
	scratch_load_dwordx2 v[62:63], v19, off
	ds_read_b64 v[64:65], v1
	s_waitcnt vmcnt(0) lgkmcnt(0)
	v_mul_f64 v[62:63], v[62:63], v[64:65]
	s_cbranch_execz .LBB92_312
	s_branch .LBB92_313
.LBB92_311:
                                        ; implicit-def: $vgpr62_vgpr63
.LBB92_312:
	ds_read_b64 v[62:63], v1
.LBB92_313:
	v_cmp_ne_u32_e32 vcc, 4, v0
	s_and_saveexec_b64 s[4:5], vcc
	s_cbranch_execz .LBB92_317
; %bb.314:
	s_mov_b32 s6, 0
	v_add_u32_e32 v64, 0xf8, v18
	v_add3_u32 v65, v18, s6, 8
	s_mov_b64 s[6:7], 0
	v_mov_b32_e32 v66, v0
.LBB92_315:                             ; =>This Inner Loop Header: Depth=1
	scratch_load_dwordx2 v[68:69], v65, off
	ds_read_b64 v[70:71], v64
	v_add_u32_e32 v66, 1, v66
	v_cmp_lt_u32_e32 vcc, 3, v66
	v_add_u32_e32 v64, 8, v64
	v_add_u32_e32 v65, 8, v65
	s_or_b64 s[6:7], vcc, s[6:7]
	s_waitcnt vmcnt(0) lgkmcnt(0)
	v_fmac_f64_e32 v[62:63], v[68:69], v[70:71]
	s_andn2_b64 exec, exec, s[6:7]
	s_cbranch_execnz .LBB92_315
; %bb.316:
	s_or_b64 exec, exec, s[6:7]
.LBB92_317:
	s_or_b64 exec, exec, s[4:5]
	v_mov_b32_e32 v64, 0
	ds_read_b64 v[64:65], v64 offset:40
	s_waitcnt lgkmcnt(0)
	v_mul_f64 v[62:63], v[62:63], v[64:65]
	scratch_store_dwordx2 off, v[62:63], off offset:40
.LBB92_318:
	s_or_b64 exec, exec, s[2:3]
	scratch_load_dwordx2 v[62:63], off, off offset:48
	v_cmp_gt_u32_e32 vcc, 6, v0
	s_waitcnt vmcnt(0)
	ds_write_b64 v1, v[62:63]
	s_waitcnt lgkmcnt(0)
	; wave barrier
	s_and_saveexec_b64 s[2:3], vcc
	s_cbranch_execz .LBB92_328
; %bb.319:
	s_and_b64 vcc, exec, s[0:1]
	s_cbranch_vccnz .LBB92_321
; %bb.320:
	scratch_load_dwordx2 v[62:63], v19, off
	ds_read_b64 v[64:65], v1
	s_waitcnt vmcnt(0) lgkmcnt(0)
	v_mul_f64 v[62:63], v[62:63], v[64:65]
	s_cbranch_execz .LBB92_322
	s_branch .LBB92_323
.LBB92_321:
                                        ; implicit-def: $vgpr62_vgpr63
.LBB92_322:
	ds_read_b64 v[62:63], v1
.LBB92_323:
	v_cmp_ne_u32_e32 vcc, 5, v0
	s_and_saveexec_b64 s[4:5], vcc
	s_cbranch_execz .LBB92_327
; %bb.324:
	s_mov_b32 s6, 0
	v_add_u32_e32 v64, 0xf8, v18
	v_add3_u32 v65, v18, s6, 8
	s_mov_b64 s[6:7], 0
	v_mov_b32_e32 v66, v0
.LBB92_325:                             ; =>This Inner Loop Header: Depth=1
	scratch_load_dwordx2 v[68:69], v65, off
	ds_read_b64 v[70:71], v64
	v_add_u32_e32 v66, 1, v66
	v_cmp_lt_u32_e32 vcc, 4, v66
	v_add_u32_e32 v64, 8, v64
	v_add_u32_e32 v65, 8, v65
	s_or_b64 s[6:7], vcc, s[6:7]
	s_waitcnt vmcnt(0) lgkmcnt(0)
	v_fmac_f64_e32 v[62:63], v[68:69], v[70:71]
	s_andn2_b64 exec, exec, s[6:7]
	s_cbranch_execnz .LBB92_325
; %bb.326:
	s_or_b64 exec, exec, s[6:7]
.LBB92_327:
	s_or_b64 exec, exec, s[4:5]
	v_mov_b32_e32 v64, 0
	ds_read_b64 v[64:65], v64 offset:48
	s_waitcnt lgkmcnt(0)
	v_mul_f64 v[62:63], v[62:63], v[64:65]
	scratch_store_dwordx2 off, v[62:63], off offset:48
.LBB92_328:
	s_or_b64 exec, exec, s[2:3]
	scratch_load_dwordx2 v[62:63], off, off offset:56
	v_cmp_gt_u32_e32 vcc, 7, v0
	s_waitcnt vmcnt(0)
	ds_write_b64 v1, v[62:63]
	s_waitcnt lgkmcnt(0)
	; wave barrier
	s_and_saveexec_b64 s[2:3], vcc
	s_cbranch_execz .LBB92_338
; %bb.329:
	s_and_b64 vcc, exec, s[0:1]
	s_cbranch_vccnz .LBB92_331
; %bb.330:
	scratch_load_dwordx2 v[62:63], v19, off
	ds_read_b64 v[64:65], v1
	s_waitcnt vmcnt(0) lgkmcnt(0)
	v_mul_f64 v[62:63], v[62:63], v[64:65]
	s_cbranch_execz .LBB92_332
	s_branch .LBB92_333
.LBB92_331:
                                        ; implicit-def: $vgpr62_vgpr63
.LBB92_332:
	ds_read_b64 v[62:63], v1
.LBB92_333:
	v_cmp_ne_u32_e32 vcc, 6, v0
	s_and_saveexec_b64 s[4:5], vcc
	s_cbranch_execz .LBB92_337
; %bb.334:
	s_mov_b32 s6, 0
	v_add_u32_e32 v64, 0xf8, v18
	v_add3_u32 v65, v18, s6, 8
	s_mov_b64 s[6:7], 0
	v_mov_b32_e32 v66, v0
.LBB92_335:                             ; =>This Inner Loop Header: Depth=1
	scratch_load_dwordx2 v[68:69], v65, off
	ds_read_b64 v[70:71], v64
	v_add_u32_e32 v66, 1, v66
	v_cmp_lt_u32_e32 vcc, 5, v66
	v_add_u32_e32 v64, 8, v64
	v_add_u32_e32 v65, 8, v65
	s_or_b64 s[6:7], vcc, s[6:7]
	s_waitcnt vmcnt(0) lgkmcnt(0)
	v_fmac_f64_e32 v[62:63], v[68:69], v[70:71]
	s_andn2_b64 exec, exec, s[6:7]
	s_cbranch_execnz .LBB92_335
; %bb.336:
	s_or_b64 exec, exec, s[6:7]
.LBB92_337:
	s_or_b64 exec, exec, s[4:5]
	v_mov_b32_e32 v64, 0
	ds_read_b64 v[64:65], v64 offset:56
	s_waitcnt lgkmcnt(0)
	v_mul_f64 v[62:63], v[62:63], v[64:65]
	scratch_store_dwordx2 off, v[62:63], off offset:56
.LBB92_338:
	s_or_b64 exec, exec, s[2:3]
	scratch_load_dwordx2 v[62:63], off, off offset:64
	v_cmp_gt_u32_e32 vcc, 8, v0
	s_waitcnt vmcnt(0)
	ds_write_b64 v1, v[62:63]
	s_waitcnt lgkmcnt(0)
	; wave barrier
	s_and_saveexec_b64 s[2:3], vcc
	s_cbranch_execz .LBB92_348
; %bb.339:
	s_and_b64 vcc, exec, s[0:1]
	s_cbranch_vccnz .LBB92_341
; %bb.340:
	scratch_load_dwordx2 v[62:63], v19, off
	ds_read_b64 v[64:65], v1
	s_waitcnt vmcnt(0) lgkmcnt(0)
	v_mul_f64 v[62:63], v[62:63], v[64:65]
	s_cbranch_execz .LBB92_342
	s_branch .LBB92_343
.LBB92_341:
                                        ; implicit-def: $vgpr62_vgpr63
.LBB92_342:
	ds_read_b64 v[62:63], v1
.LBB92_343:
	v_cmp_ne_u32_e32 vcc, 7, v0
	s_and_saveexec_b64 s[4:5], vcc
	s_cbranch_execz .LBB92_347
; %bb.344:
	s_mov_b32 s6, 0
	v_add_u32_e32 v64, 0xf8, v18
	v_add3_u32 v65, v18, s6, 8
	s_mov_b64 s[6:7], 0
	v_mov_b32_e32 v66, v0
.LBB92_345:                             ; =>This Inner Loop Header: Depth=1
	scratch_load_dwordx2 v[68:69], v65, off
	ds_read_b64 v[70:71], v64
	v_add_u32_e32 v66, 1, v66
	v_cmp_lt_u32_e32 vcc, 6, v66
	v_add_u32_e32 v64, 8, v64
	v_add_u32_e32 v65, 8, v65
	s_or_b64 s[6:7], vcc, s[6:7]
	s_waitcnt vmcnt(0) lgkmcnt(0)
	v_fmac_f64_e32 v[62:63], v[68:69], v[70:71]
	s_andn2_b64 exec, exec, s[6:7]
	s_cbranch_execnz .LBB92_345
; %bb.346:
	s_or_b64 exec, exec, s[6:7]
.LBB92_347:
	s_or_b64 exec, exec, s[4:5]
	v_mov_b32_e32 v64, 0
	ds_read_b64 v[64:65], v64 offset:64
	s_waitcnt lgkmcnt(0)
	v_mul_f64 v[62:63], v[62:63], v[64:65]
	scratch_store_dwordx2 off, v[62:63], off offset:64
.LBB92_348:
	s_or_b64 exec, exec, s[2:3]
	scratch_load_dwordx2 v[62:63], off, off offset:72
	v_cmp_gt_u32_e32 vcc, 9, v0
	s_waitcnt vmcnt(0)
	ds_write_b64 v1, v[62:63]
	s_waitcnt lgkmcnt(0)
	; wave barrier
	s_and_saveexec_b64 s[2:3], vcc
	s_cbranch_execz .LBB92_358
; %bb.349:
	s_and_b64 vcc, exec, s[0:1]
	s_cbranch_vccnz .LBB92_351
; %bb.350:
	scratch_load_dwordx2 v[62:63], v19, off
	ds_read_b64 v[64:65], v1
	s_waitcnt vmcnt(0) lgkmcnt(0)
	v_mul_f64 v[62:63], v[62:63], v[64:65]
	s_cbranch_execz .LBB92_352
	s_branch .LBB92_353
.LBB92_351:
                                        ; implicit-def: $vgpr62_vgpr63
.LBB92_352:
	ds_read_b64 v[62:63], v1
.LBB92_353:
	v_cmp_ne_u32_e32 vcc, 8, v0
	s_and_saveexec_b64 s[4:5], vcc
	s_cbranch_execz .LBB92_357
; %bb.354:
	s_mov_b32 s6, 0
	v_add_u32_e32 v64, 0xf8, v18
	v_add3_u32 v65, v18, s6, 8
	s_mov_b64 s[6:7], 0
	v_mov_b32_e32 v66, v0
.LBB92_355:                             ; =>This Inner Loop Header: Depth=1
	scratch_load_dwordx2 v[68:69], v65, off
	ds_read_b64 v[70:71], v64
	v_add_u32_e32 v66, 1, v66
	v_cmp_lt_u32_e32 vcc, 7, v66
	v_add_u32_e32 v64, 8, v64
	v_add_u32_e32 v65, 8, v65
	s_or_b64 s[6:7], vcc, s[6:7]
	s_waitcnt vmcnt(0) lgkmcnt(0)
	v_fmac_f64_e32 v[62:63], v[68:69], v[70:71]
	s_andn2_b64 exec, exec, s[6:7]
	s_cbranch_execnz .LBB92_355
; %bb.356:
	s_or_b64 exec, exec, s[6:7]
.LBB92_357:
	s_or_b64 exec, exec, s[4:5]
	v_mov_b32_e32 v64, 0
	ds_read_b64 v[64:65], v64 offset:72
	s_waitcnt lgkmcnt(0)
	v_mul_f64 v[62:63], v[62:63], v[64:65]
	scratch_store_dwordx2 off, v[62:63], off offset:72
.LBB92_358:
	s_or_b64 exec, exec, s[2:3]
	scratch_load_dwordx2 v[62:63], off, off offset:80
	v_cmp_gt_u32_e32 vcc, 10, v0
	s_waitcnt vmcnt(0)
	ds_write_b64 v1, v[62:63]
	s_waitcnt lgkmcnt(0)
	; wave barrier
	s_and_saveexec_b64 s[2:3], vcc
	s_cbranch_execz .LBB92_368
; %bb.359:
	s_and_b64 vcc, exec, s[0:1]
	s_cbranch_vccnz .LBB92_361
; %bb.360:
	scratch_load_dwordx2 v[62:63], v19, off
	ds_read_b64 v[64:65], v1
	s_waitcnt vmcnt(0) lgkmcnt(0)
	v_mul_f64 v[62:63], v[62:63], v[64:65]
	s_cbranch_execz .LBB92_362
	s_branch .LBB92_363
.LBB92_361:
                                        ; implicit-def: $vgpr62_vgpr63
.LBB92_362:
	ds_read_b64 v[62:63], v1
.LBB92_363:
	v_cmp_ne_u32_e32 vcc, 9, v0
	s_and_saveexec_b64 s[4:5], vcc
	s_cbranch_execz .LBB92_367
; %bb.364:
	s_mov_b32 s6, 0
	v_add_u32_e32 v64, 0xf8, v18
	v_add3_u32 v65, v18, s6, 8
	s_mov_b64 s[6:7], 0
	v_mov_b32_e32 v66, v0
.LBB92_365:                             ; =>This Inner Loop Header: Depth=1
	scratch_load_dwordx2 v[68:69], v65, off
	ds_read_b64 v[70:71], v64
	v_add_u32_e32 v66, 1, v66
	v_cmp_lt_u32_e32 vcc, 8, v66
	v_add_u32_e32 v64, 8, v64
	v_add_u32_e32 v65, 8, v65
	s_or_b64 s[6:7], vcc, s[6:7]
	s_waitcnt vmcnt(0) lgkmcnt(0)
	v_fmac_f64_e32 v[62:63], v[68:69], v[70:71]
	s_andn2_b64 exec, exec, s[6:7]
	s_cbranch_execnz .LBB92_365
; %bb.366:
	s_or_b64 exec, exec, s[6:7]
.LBB92_367:
	s_or_b64 exec, exec, s[4:5]
	v_mov_b32_e32 v64, 0
	ds_read_b64 v[64:65], v64 offset:80
	s_waitcnt lgkmcnt(0)
	v_mul_f64 v[62:63], v[62:63], v[64:65]
	scratch_store_dwordx2 off, v[62:63], off offset:80
.LBB92_368:
	s_or_b64 exec, exec, s[2:3]
	scratch_load_dwordx2 v[62:63], off, off offset:88
	v_cmp_gt_u32_e32 vcc, 11, v0
	s_waitcnt vmcnt(0)
	ds_write_b64 v1, v[62:63]
	s_waitcnt lgkmcnt(0)
	; wave barrier
	s_and_saveexec_b64 s[2:3], vcc
	s_cbranch_execz .LBB92_378
; %bb.369:
	s_and_b64 vcc, exec, s[0:1]
	s_cbranch_vccnz .LBB92_371
; %bb.370:
	scratch_load_dwordx2 v[62:63], v19, off
	ds_read_b64 v[64:65], v1
	s_waitcnt vmcnt(0) lgkmcnt(0)
	v_mul_f64 v[62:63], v[62:63], v[64:65]
	s_cbranch_execz .LBB92_372
	s_branch .LBB92_373
.LBB92_371:
                                        ; implicit-def: $vgpr62_vgpr63
.LBB92_372:
	ds_read_b64 v[62:63], v1
.LBB92_373:
	v_cmp_ne_u32_e32 vcc, 10, v0
	s_and_saveexec_b64 s[4:5], vcc
	s_cbranch_execz .LBB92_377
; %bb.374:
	s_mov_b32 s6, 0
	v_add_u32_e32 v64, 0xf8, v18
	v_add3_u32 v65, v18, s6, 8
	s_mov_b64 s[6:7], 0
	v_mov_b32_e32 v66, v0
.LBB92_375:                             ; =>This Inner Loop Header: Depth=1
	scratch_load_dwordx2 v[68:69], v65, off
	ds_read_b64 v[70:71], v64
	v_add_u32_e32 v66, 1, v66
	v_cmp_lt_u32_e32 vcc, 9, v66
	v_add_u32_e32 v64, 8, v64
	v_add_u32_e32 v65, 8, v65
	s_or_b64 s[6:7], vcc, s[6:7]
	s_waitcnt vmcnt(0) lgkmcnt(0)
	v_fmac_f64_e32 v[62:63], v[68:69], v[70:71]
	s_andn2_b64 exec, exec, s[6:7]
	s_cbranch_execnz .LBB92_375
; %bb.376:
	s_or_b64 exec, exec, s[6:7]
.LBB92_377:
	s_or_b64 exec, exec, s[4:5]
	v_mov_b32_e32 v64, 0
	ds_read_b64 v[64:65], v64 offset:88
	s_waitcnt lgkmcnt(0)
	v_mul_f64 v[62:63], v[62:63], v[64:65]
	scratch_store_dwordx2 off, v[62:63], off offset:88
.LBB92_378:
	s_or_b64 exec, exec, s[2:3]
	scratch_load_dwordx2 v[62:63], off, off offset:96
	v_cmp_gt_u32_e32 vcc, 12, v0
	s_waitcnt vmcnt(0)
	ds_write_b64 v1, v[62:63]
	s_waitcnt lgkmcnt(0)
	; wave barrier
	s_and_saveexec_b64 s[2:3], vcc
	s_cbranch_execz .LBB92_388
; %bb.379:
	s_and_b64 vcc, exec, s[0:1]
	s_cbranch_vccnz .LBB92_381
; %bb.380:
	scratch_load_dwordx2 v[62:63], v19, off
	ds_read_b64 v[64:65], v1
	s_waitcnt vmcnt(0) lgkmcnt(0)
	v_mul_f64 v[62:63], v[62:63], v[64:65]
	s_cbranch_execz .LBB92_382
	s_branch .LBB92_383
.LBB92_381:
                                        ; implicit-def: $vgpr62_vgpr63
.LBB92_382:
	ds_read_b64 v[62:63], v1
.LBB92_383:
	v_cmp_ne_u32_e32 vcc, 11, v0
	s_and_saveexec_b64 s[4:5], vcc
	s_cbranch_execz .LBB92_387
; %bb.384:
	s_mov_b32 s6, 0
	v_add_u32_e32 v64, 0xf8, v18
	v_add3_u32 v65, v18, s6, 8
	s_mov_b64 s[6:7], 0
	v_mov_b32_e32 v66, v0
.LBB92_385:                             ; =>This Inner Loop Header: Depth=1
	scratch_load_dwordx2 v[68:69], v65, off
	ds_read_b64 v[70:71], v64
	v_add_u32_e32 v66, 1, v66
	v_cmp_lt_u32_e32 vcc, 10, v66
	v_add_u32_e32 v64, 8, v64
	v_add_u32_e32 v65, 8, v65
	s_or_b64 s[6:7], vcc, s[6:7]
	s_waitcnt vmcnt(0) lgkmcnt(0)
	v_fmac_f64_e32 v[62:63], v[68:69], v[70:71]
	s_andn2_b64 exec, exec, s[6:7]
	s_cbranch_execnz .LBB92_385
; %bb.386:
	s_or_b64 exec, exec, s[6:7]
.LBB92_387:
	s_or_b64 exec, exec, s[4:5]
	v_mov_b32_e32 v64, 0
	ds_read_b64 v[64:65], v64 offset:96
	s_waitcnt lgkmcnt(0)
	v_mul_f64 v[62:63], v[62:63], v[64:65]
	scratch_store_dwordx2 off, v[62:63], off offset:96
.LBB92_388:
	s_or_b64 exec, exec, s[2:3]
	scratch_load_dwordx2 v[62:63], off, off offset:104
	v_cmp_gt_u32_e32 vcc, 13, v0
	s_waitcnt vmcnt(0)
	ds_write_b64 v1, v[62:63]
	s_waitcnt lgkmcnt(0)
	; wave barrier
	s_and_saveexec_b64 s[2:3], vcc
	s_cbranch_execz .LBB92_398
; %bb.389:
	s_and_b64 vcc, exec, s[0:1]
	s_cbranch_vccnz .LBB92_391
; %bb.390:
	scratch_load_dwordx2 v[62:63], v19, off
	ds_read_b64 v[64:65], v1
	s_waitcnt vmcnt(0) lgkmcnt(0)
	v_mul_f64 v[62:63], v[62:63], v[64:65]
	s_cbranch_execz .LBB92_392
	s_branch .LBB92_393
.LBB92_391:
                                        ; implicit-def: $vgpr62_vgpr63
.LBB92_392:
	ds_read_b64 v[62:63], v1
.LBB92_393:
	v_cmp_ne_u32_e32 vcc, 12, v0
	s_and_saveexec_b64 s[4:5], vcc
	s_cbranch_execz .LBB92_397
; %bb.394:
	s_mov_b32 s6, 0
	v_add_u32_e32 v64, 0xf8, v18
	v_add3_u32 v65, v18, s6, 8
	s_mov_b64 s[6:7], 0
	v_mov_b32_e32 v66, v0
.LBB92_395:                             ; =>This Inner Loop Header: Depth=1
	scratch_load_dwordx2 v[68:69], v65, off
	ds_read_b64 v[70:71], v64
	v_add_u32_e32 v66, 1, v66
	v_cmp_lt_u32_e32 vcc, 11, v66
	v_add_u32_e32 v64, 8, v64
	v_add_u32_e32 v65, 8, v65
	s_or_b64 s[6:7], vcc, s[6:7]
	s_waitcnt vmcnt(0) lgkmcnt(0)
	v_fmac_f64_e32 v[62:63], v[68:69], v[70:71]
	s_andn2_b64 exec, exec, s[6:7]
	s_cbranch_execnz .LBB92_395
; %bb.396:
	s_or_b64 exec, exec, s[6:7]
.LBB92_397:
	s_or_b64 exec, exec, s[4:5]
	v_mov_b32_e32 v64, 0
	ds_read_b64 v[64:65], v64 offset:104
	s_waitcnt lgkmcnt(0)
	v_mul_f64 v[62:63], v[62:63], v[64:65]
	scratch_store_dwordx2 off, v[62:63], off offset:104
.LBB92_398:
	s_or_b64 exec, exec, s[2:3]
	scratch_load_dwordx2 v[62:63], off, off offset:112
	v_cmp_gt_u32_e32 vcc, 14, v0
	s_waitcnt vmcnt(0)
	ds_write_b64 v1, v[62:63]
	s_waitcnt lgkmcnt(0)
	; wave barrier
	s_and_saveexec_b64 s[2:3], vcc
	s_cbranch_execz .LBB92_408
; %bb.399:
	s_and_b64 vcc, exec, s[0:1]
	s_cbranch_vccnz .LBB92_401
; %bb.400:
	scratch_load_dwordx2 v[62:63], v19, off
	ds_read_b64 v[64:65], v1
	s_waitcnt vmcnt(0) lgkmcnt(0)
	v_mul_f64 v[62:63], v[62:63], v[64:65]
	s_cbranch_execz .LBB92_402
	s_branch .LBB92_403
.LBB92_401:
                                        ; implicit-def: $vgpr62_vgpr63
.LBB92_402:
	ds_read_b64 v[62:63], v1
.LBB92_403:
	v_cmp_ne_u32_e32 vcc, 13, v0
	s_and_saveexec_b64 s[4:5], vcc
	s_cbranch_execz .LBB92_407
; %bb.404:
	s_mov_b32 s6, 0
	v_add_u32_e32 v64, 0xf8, v18
	v_add3_u32 v65, v18, s6, 8
	s_mov_b64 s[6:7], 0
	v_mov_b32_e32 v66, v0
.LBB92_405:                             ; =>This Inner Loop Header: Depth=1
	scratch_load_dwordx2 v[68:69], v65, off
	ds_read_b64 v[70:71], v64
	v_add_u32_e32 v66, 1, v66
	v_cmp_lt_u32_e32 vcc, 12, v66
	v_add_u32_e32 v64, 8, v64
	v_add_u32_e32 v65, 8, v65
	s_or_b64 s[6:7], vcc, s[6:7]
	s_waitcnt vmcnt(0) lgkmcnt(0)
	v_fmac_f64_e32 v[62:63], v[68:69], v[70:71]
	s_andn2_b64 exec, exec, s[6:7]
	s_cbranch_execnz .LBB92_405
; %bb.406:
	s_or_b64 exec, exec, s[6:7]
.LBB92_407:
	s_or_b64 exec, exec, s[4:5]
	v_mov_b32_e32 v64, 0
	ds_read_b64 v[64:65], v64 offset:112
	s_waitcnt lgkmcnt(0)
	v_mul_f64 v[62:63], v[62:63], v[64:65]
	scratch_store_dwordx2 off, v[62:63], off offset:112
.LBB92_408:
	s_or_b64 exec, exec, s[2:3]
	scratch_load_dwordx2 v[62:63], off, off offset:120
	v_cmp_gt_u32_e32 vcc, 15, v0
	s_waitcnt vmcnt(0)
	ds_write_b64 v1, v[62:63]
	s_waitcnt lgkmcnt(0)
	; wave barrier
	s_and_saveexec_b64 s[2:3], vcc
	s_cbranch_execz .LBB92_418
; %bb.409:
	s_and_b64 vcc, exec, s[0:1]
	s_cbranch_vccnz .LBB92_411
; %bb.410:
	scratch_load_dwordx2 v[62:63], v19, off
	ds_read_b64 v[64:65], v1
	s_waitcnt vmcnt(0) lgkmcnt(0)
	v_mul_f64 v[62:63], v[62:63], v[64:65]
	s_cbranch_execz .LBB92_412
	s_branch .LBB92_413
.LBB92_411:
                                        ; implicit-def: $vgpr62_vgpr63
.LBB92_412:
	ds_read_b64 v[62:63], v1
.LBB92_413:
	v_cmp_ne_u32_e32 vcc, 14, v0
	s_and_saveexec_b64 s[4:5], vcc
	s_cbranch_execz .LBB92_417
; %bb.414:
	s_mov_b32 s6, 0
	v_add_u32_e32 v64, 0xf8, v18
	v_add3_u32 v65, v18, s6, 8
	s_mov_b64 s[6:7], 0
	v_mov_b32_e32 v66, v0
.LBB92_415:                             ; =>This Inner Loop Header: Depth=1
	scratch_load_dwordx2 v[68:69], v65, off
	ds_read_b64 v[70:71], v64
	v_add_u32_e32 v66, 1, v66
	v_cmp_lt_u32_e32 vcc, 13, v66
	v_add_u32_e32 v64, 8, v64
	v_add_u32_e32 v65, 8, v65
	s_or_b64 s[6:7], vcc, s[6:7]
	s_waitcnt vmcnt(0) lgkmcnt(0)
	v_fmac_f64_e32 v[62:63], v[68:69], v[70:71]
	s_andn2_b64 exec, exec, s[6:7]
	s_cbranch_execnz .LBB92_415
; %bb.416:
	s_or_b64 exec, exec, s[6:7]
.LBB92_417:
	s_or_b64 exec, exec, s[4:5]
	v_mov_b32_e32 v64, 0
	ds_read_b64 v[64:65], v64 offset:120
	s_waitcnt lgkmcnt(0)
	v_mul_f64 v[62:63], v[62:63], v[64:65]
	scratch_store_dwordx2 off, v[62:63], off offset:120
.LBB92_418:
	s_or_b64 exec, exec, s[2:3]
	scratch_load_dwordx2 v[62:63], off, off offset:128
	v_cmp_gt_u32_e32 vcc, 16, v0
	s_waitcnt vmcnt(0)
	ds_write_b64 v1, v[62:63]
	s_waitcnt lgkmcnt(0)
	; wave barrier
	s_and_saveexec_b64 s[2:3], vcc
	s_cbranch_execz .LBB92_428
; %bb.419:
	s_and_b64 vcc, exec, s[0:1]
	s_cbranch_vccnz .LBB92_421
; %bb.420:
	scratch_load_dwordx2 v[62:63], v19, off
	ds_read_b64 v[64:65], v1
	s_waitcnt vmcnt(0) lgkmcnt(0)
	v_mul_f64 v[62:63], v[62:63], v[64:65]
	s_cbranch_execz .LBB92_422
	s_branch .LBB92_423
.LBB92_421:
                                        ; implicit-def: $vgpr62_vgpr63
.LBB92_422:
	ds_read_b64 v[62:63], v1
.LBB92_423:
	v_cmp_ne_u32_e32 vcc, 15, v0
	s_and_saveexec_b64 s[4:5], vcc
	s_cbranch_execz .LBB92_427
; %bb.424:
	s_mov_b32 s6, 0
	v_add_u32_e32 v64, 0xf8, v18
	v_add3_u32 v65, v18, s6, 8
	s_mov_b64 s[6:7], 0
	v_mov_b32_e32 v66, v0
.LBB92_425:                             ; =>This Inner Loop Header: Depth=1
	scratch_load_dwordx2 v[68:69], v65, off
	ds_read_b64 v[70:71], v64
	v_add_u32_e32 v66, 1, v66
	v_cmp_lt_u32_e32 vcc, 14, v66
	v_add_u32_e32 v64, 8, v64
	v_add_u32_e32 v65, 8, v65
	s_or_b64 s[6:7], vcc, s[6:7]
	s_waitcnt vmcnt(0) lgkmcnt(0)
	v_fmac_f64_e32 v[62:63], v[68:69], v[70:71]
	s_andn2_b64 exec, exec, s[6:7]
	s_cbranch_execnz .LBB92_425
; %bb.426:
	s_or_b64 exec, exec, s[6:7]
.LBB92_427:
	s_or_b64 exec, exec, s[4:5]
	v_mov_b32_e32 v64, 0
	ds_read_b64 v[64:65], v64 offset:128
	s_waitcnt lgkmcnt(0)
	v_mul_f64 v[62:63], v[62:63], v[64:65]
	scratch_store_dwordx2 off, v[62:63], off offset:128
.LBB92_428:
	s_or_b64 exec, exec, s[2:3]
	scratch_load_dwordx2 v[62:63], off, off offset:136
	v_cmp_gt_u32_e32 vcc, 17, v0
	s_waitcnt vmcnt(0)
	ds_write_b64 v1, v[62:63]
	s_waitcnt lgkmcnt(0)
	; wave barrier
	s_and_saveexec_b64 s[2:3], vcc
	s_cbranch_execz .LBB92_438
; %bb.429:
	s_and_b64 vcc, exec, s[0:1]
	s_cbranch_vccnz .LBB92_431
; %bb.430:
	scratch_load_dwordx2 v[62:63], v19, off
	ds_read_b64 v[64:65], v1
	s_waitcnt vmcnt(0) lgkmcnt(0)
	v_mul_f64 v[62:63], v[62:63], v[64:65]
	s_cbranch_execz .LBB92_432
	s_branch .LBB92_433
.LBB92_431:
                                        ; implicit-def: $vgpr62_vgpr63
.LBB92_432:
	ds_read_b64 v[62:63], v1
.LBB92_433:
	v_cmp_ne_u32_e32 vcc, 16, v0
	s_and_saveexec_b64 s[4:5], vcc
	s_cbranch_execz .LBB92_437
; %bb.434:
	s_mov_b32 s6, 0
	v_add_u32_e32 v64, 0xf8, v18
	v_add3_u32 v65, v18, s6, 8
	s_mov_b64 s[6:7], 0
	v_mov_b32_e32 v66, v0
.LBB92_435:                             ; =>This Inner Loop Header: Depth=1
	scratch_load_dwordx2 v[68:69], v65, off
	ds_read_b64 v[70:71], v64
	v_add_u32_e32 v66, 1, v66
	v_cmp_lt_u32_e32 vcc, 15, v66
	v_add_u32_e32 v64, 8, v64
	v_add_u32_e32 v65, 8, v65
	s_or_b64 s[6:7], vcc, s[6:7]
	s_waitcnt vmcnt(0) lgkmcnt(0)
	v_fmac_f64_e32 v[62:63], v[68:69], v[70:71]
	s_andn2_b64 exec, exec, s[6:7]
	s_cbranch_execnz .LBB92_435
; %bb.436:
	s_or_b64 exec, exec, s[6:7]
.LBB92_437:
	s_or_b64 exec, exec, s[4:5]
	v_mov_b32_e32 v64, 0
	ds_read_b64 v[64:65], v64 offset:136
	s_waitcnt lgkmcnt(0)
	v_mul_f64 v[62:63], v[62:63], v[64:65]
	scratch_store_dwordx2 off, v[62:63], off offset:136
.LBB92_438:
	s_or_b64 exec, exec, s[2:3]
	scratch_load_dwordx2 v[62:63], off, off offset:144
	v_cmp_gt_u32_e32 vcc, 18, v0
	s_waitcnt vmcnt(0)
	ds_write_b64 v1, v[62:63]
	s_waitcnt lgkmcnt(0)
	; wave barrier
	s_and_saveexec_b64 s[2:3], vcc
	s_cbranch_execz .LBB92_448
; %bb.439:
	s_and_b64 vcc, exec, s[0:1]
	s_cbranch_vccnz .LBB92_441
; %bb.440:
	scratch_load_dwordx2 v[62:63], v19, off
	ds_read_b64 v[64:65], v1
	s_waitcnt vmcnt(0) lgkmcnt(0)
	v_mul_f64 v[62:63], v[62:63], v[64:65]
	s_cbranch_execz .LBB92_442
	s_branch .LBB92_443
.LBB92_441:
                                        ; implicit-def: $vgpr62_vgpr63
.LBB92_442:
	ds_read_b64 v[62:63], v1
.LBB92_443:
	v_cmp_ne_u32_e32 vcc, 17, v0
	s_and_saveexec_b64 s[4:5], vcc
	s_cbranch_execz .LBB92_447
; %bb.444:
	s_mov_b32 s6, 0
	v_add_u32_e32 v64, 0xf8, v18
	v_add3_u32 v65, v18, s6, 8
	s_mov_b64 s[6:7], 0
	v_mov_b32_e32 v66, v0
.LBB92_445:                             ; =>This Inner Loop Header: Depth=1
	scratch_load_dwordx2 v[68:69], v65, off
	ds_read_b64 v[70:71], v64
	v_add_u32_e32 v66, 1, v66
	v_cmp_lt_u32_e32 vcc, 16, v66
	v_add_u32_e32 v64, 8, v64
	v_add_u32_e32 v65, 8, v65
	s_or_b64 s[6:7], vcc, s[6:7]
	s_waitcnt vmcnt(0) lgkmcnt(0)
	v_fmac_f64_e32 v[62:63], v[68:69], v[70:71]
	s_andn2_b64 exec, exec, s[6:7]
	s_cbranch_execnz .LBB92_445
; %bb.446:
	s_or_b64 exec, exec, s[6:7]
.LBB92_447:
	s_or_b64 exec, exec, s[4:5]
	v_mov_b32_e32 v64, 0
	ds_read_b64 v[64:65], v64 offset:144
	s_waitcnt lgkmcnt(0)
	v_mul_f64 v[62:63], v[62:63], v[64:65]
	scratch_store_dwordx2 off, v[62:63], off offset:144
.LBB92_448:
	s_or_b64 exec, exec, s[2:3]
	scratch_load_dwordx2 v[62:63], off, off offset:152
	v_cmp_gt_u32_e32 vcc, 19, v0
	s_waitcnt vmcnt(0)
	ds_write_b64 v1, v[62:63]
	s_waitcnt lgkmcnt(0)
	; wave barrier
	s_and_saveexec_b64 s[2:3], vcc
	s_cbranch_execz .LBB92_458
; %bb.449:
	s_and_b64 vcc, exec, s[0:1]
	s_cbranch_vccnz .LBB92_451
; %bb.450:
	scratch_load_dwordx2 v[62:63], v19, off
	ds_read_b64 v[64:65], v1
	s_waitcnt vmcnt(0) lgkmcnt(0)
	v_mul_f64 v[62:63], v[62:63], v[64:65]
	s_cbranch_execz .LBB92_452
	s_branch .LBB92_453
.LBB92_451:
                                        ; implicit-def: $vgpr62_vgpr63
.LBB92_452:
	ds_read_b64 v[62:63], v1
.LBB92_453:
	v_cmp_ne_u32_e32 vcc, 18, v0
	s_and_saveexec_b64 s[4:5], vcc
	s_cbranch_execz .LBB92_457
; %bb.454:
	s_mov_b32 s6, 0
	v_add_u32_e32 v64, 0xf8, v18
	v_add3_u32 v65, v18, s6, 8
	s_mov_b64 s[6:7], 0
	v_mov_b32_e32 v66, v0
.LBB92_455:                             ; =>This Inner Loop Header: Depth=1
	scratch_load_dwordx2 v[68:69], v65, off
	ds_read_b64 v[70:71], v64
	v_add_u32_e32 v66, 1, v66
	v_cmp_lt_u32_e32 vcc, 17, v66
	v_add_u32_e32 v64, 8, v64
	v_add_u32_e32 v65, 8, v65
	s_or_b64 s[6:7], vcc, s[6:7]
	s_waitcnt vmcnt(0) lgkmcnt(0)
	v_fmac_f64_e32 v[62:63], v[68:69], v[70:71]
	s_andn2_b64 exec, exec, s[6:7]
	s_cbranch_execnz .LBB92_455
; %bb.456:
	s_or_b64 exec, exec, s[6:7]
.LBB92_457:
	s_or_b64 exec, exec, s[4:5]
	v_mov_b32_e32 v64, 0
	ds_read_b64 v[64:65], v64 offset:152
	s_waitcnt lgkmcnt(0)
	v_mul_f64 v[62:63], v[62:63], v[64:65]
	scratch_store_dwordx2 off, v[62:63], off offset:152
.LBB92_458:
	s_or_b64 exec, exec, s[2:3]
	scratch_load_dwordx2 v[62:63], off, off offset:160
	v_cmp_gt_u32_e32 vcc, 20, v0
	s_waitcnt vmcnt(0)
	ds_write_b64 v1, v[62:63]
	s_waitcnt lgkmcnt(0)
	; wave barrier
	s_and_saveexec_b64 s[2:3], vcc
	s_cbranch_execz .LBB92_468
; %bb.459:
	s_and_b64 vcc, exec, s[0:1]
	s_cbranch_vccnz .LBB92_461
; %bb.460:
	scratch_load_dwordx2 v[62:63], v19, off
	ds_read_b64 v[64:65], v1
	s_waitcnt vmcnt(0) lgkmcnt(0)
	v_mul_f64 v[62:63], v[62:63], v[64:65]
	s_cbranch_execz .LBB92_462
	s_branch .LBB92_463
.LBB92_461:
                                        ; implicit-def: $vgpr62_vgpr63
.LBB92_462:
	ds_read_b64 v[62:63], v1
.LBB92_463:
	v_cmp_ne_u32_e32 vcc, 19, v0
	s_and_saveexec_b64 s[4:5], vcc
	s_cbranch_execz .LBB92_467
; %bb.464:
	s_mov_b32 s6, 0
	v_add_u32_e32 v64, 0xf8, v18
	v_add3_u32 v65, v18, s6, 8
	s_mov_b64 s[6:7], 0
	v_mov_b32_e32 v66, v0
.LBB92_465:                             ; =>This Inner Loop Header: Depth=1
	scratch_load_dwordx2 v[68:69], v65, off
	ds_read_b64 v[70:71], v64
	v_add_u32_e32 v66, 1, v66
	v_cmp_lt_u32_e32 vcc, 18, v66
	v_add_u32_e32 v64, 8, v64
	v_add_u32_e32 v65, 8, v65
	s_or_b64 s[6:7], vcc, s[6:7]
	s_waitcnt vmcnt(0) lgkmcnt(0)
	v_fmac_f64_e32 v[62:63], v[68:69], v[70:71]
	s_andn2_b64 exec, exec, s[6:7]
	s_cbranch_execnz .LBB92_465
; %bb.466:
	s_or_b64 exec, exec, s[6:7]
.LBB92_467:
	s_or_b64 exec, exec, s[4:5]
	v_mov_b32_e32 v64, 0
	ds_read_b64 v[64:65], v64 offset:160
	s_waitcnt lgkmcnt(0)
	v_mul_f64 v[62:63], v[62:63], v[64:65]
	scratch_store_dwordx2 off, v[62:63], off offset:160
.LBB92_468:
	s_or_b64 exec, exec, s[2:3]
	scratch_load_dwordx2 v[62:63], off, off offset:168
	v_cmp_gt_u32_e32 vcc, 21, v0
	s_waitcnt vmcnt(0)
	ds_write_b64 v1, v[62:63]
	s_waitcnt lgkmcnt(0)
	; wave barrier
	s_and_saveexec_b64 s[2:3], vcc
	s_cbranch_execz .LBB92_478
; %bb.469:
	s_and_b64 vcc, exec, s[0:1]
	s_cbranch_vccnz .LBB92_471
; %bb.470:
	scratch_load_dwordx2 v[62:63], v19, off
	ds_read_b64 v[64:65], v1
	s_waitcnt vmcnt(0) lgkmcnt(0)
	v_mul_f64 v[62:63], v[62:63], v[64:65]
	s_cbranch_execz .LBB92_472
	s_branch .LBB92_473
.LBB92_471:
                                        ; implicit-def: $vgpr62_vgpr63
.LBB92_472:
	ds_read_b64 v[62:63], v1
.LBB92_473:
	v_cmp_ne_u32_e32 vcc, 20, v0
	s_and_saveexec_b64 s[4:5], vcc
	s_cbranch_execz .LBB92_477
; %bb.474:
	s_mov_b32 s6, 0
	v_add_u32_e32 v64, 0xf8, v18
	v_add3_u32 v65, v18, s6, 8
	s_mov_b64 s[6:7], 0
	v_mov_b32_e32 v66, v0
.LBB92_475:                             ; =>This Inner Loop Header: Depth=1
	scratch_load_dwordx2 v[68:69], v65, off
	ds_read_b64 v[70:71], v64
	v_add_u32_e32 v66, 1, v66
	v_cmp_lt_u32_e32 vcc, 19, v66
	v_add_u32_e32 v64, 8, v64
	v_add_u32_e32 v65, 8, v65
	s_or_b64 s[6:7], vcc, s[6:7]
	s_waitcnt vmcnt(0) lgkmcnt(0)
	v_fmac_f64_e32 v[62:63], v[68:69], v[70:71]
	s_andn2_b64 exec, exec, s[6:7]
	s_cbranch_execnz .LBB92_475
; %bb.476:
	s_or_b64 exec, exec, s[6:7]
.LBB92_477:
	s_or_b64 exec, exec, s[4:5]
	v_mov_b32_e32 v64, 0
	ds_read_b64 v[64:65], v64 offset:168
	s_waitcnt lgkmcnt(0)
	v_mul_f64 v[62:63], v[62:63], v[64:65]
	scratch_store_dwordx2 off, v[62:63], off offset:168
.LBB92_478:
	s_or_b64 exec, exec, s[2:3]
	scratch_load_dwordx2 v[62:63], off, off offset:176
	v_cmp_gt_u32_e32 vcc, 22, v0
	s_waitcnt vmcnt(0)
	ds_write_b64 v1, v[62:63]
	s_waitcnt lgkmcnt(0)
	; wave barrier
	s_and_saveexec_b64 s[2:3], vcc
	s_cbranch_execz .LBB92_488
; %bb.479:
	s_and_b64 vcc, exec, s[0:1]
	s_cbranch_vccnz .LBB92_481
; %bb.480:
	scratch_load_dwordx2 v[62:63], v19, off
	ds_read_b64 v[64:65], v1
	s_waitcnt vmcnt(0) lgkmcnt(0)
	v_mul_f64 v[62:63], v[62:63], v[64:65]
	s_cbranch_execz .LBB92_482
	s_branch .LBB92_483
.LBB92_481:
                                        ; implicit-def: $vgpr62_vgpr63
.LBB92_482:
	ds_read_b64 v[62:63], v1
.LBB92_483:
	v_cmp_ne_u32_e32 vcc, 21, v0
	s_and_saveexec_b64 s[4:5], vcc
	s_cbranch_execz .LBB92_487
; %bb.484:
	s_mov_b32 s6, 0
	v_add_u32_e32 v64, 0xf8, v18
	v_add3_u32 v65, v18, s6, 8
	s_mov_b64 s[6:7], 0
	v_mov_b32_e32 v66, v0
.LBB92_485:                             ; =>This Inner Loop Header: Depth=1
	scratch_load_dwordx2 v[68:69], v65, off
	ds_read_b64 v[70:71], v64
	v_add_u32_e32 v66, 1, v66
	v_cmp_lt_u32_e32 vcc, 20, v66
	v_add_u32_e32 v64, 8, v64
	v_add_u32_e32 v65, 8, v65
	s_or_b64 s[6:7], vcc, s[6:7]
	s_waitcnt vmcnt(0) lgkmcnt(0)
	v_fmac_f64_e32 v[62:63], v[68:69], v[70:71]
	s_andn2_b64 exec, exec, s[6:7]
	s_cbranch_execnz .LBB92_485
; %bb.486:
	s_or_b64 exec, exec, s[6:7]
.LBB92_487:
	s_or_b64 exec, exec, s[4:5]
	v_mov_b32_e32 v64, 0
	ds_read_b64 v[64:65], v64 offset:176
	s_waitcnt lgkmcnt(0)
	v_mul_f64 v[62:63], v[62:63], v[64:65]
	scratch_store_dwordx2 off, v[62:63], off offset:176
.LBB92_488:
	s_or_b64 exec, exec, s[2:3]
	scratch_load_dwordx2 v[62:63], off, off offset:184
	v_cmp_gt_u32_e32 vcc, 23, v0
	s_waitcnt vmcnt(0)
	ds_write_b64 v1, v[62:63]
	s_waitcnt lgkmcnt(0)
	; wave barrier
	s_and_saveexec_b64 s[2:3], vcc
	s_cbranch_execz .LBB92_498
; %bb.489:
	s_and_b64 vcc, exec, s[0:1]
	s_cbranch_vccnz .LBB92_491
; %bb.490:
	scratch_load_dwordx2 v[62:63], v19, off
	ds_read_b64 v[64:65], v1
	s_waitcnt vmcnt(0) lgkmcnt(0)
	v_mul_f64 v[62:63], v[62:63], v[64:65]
	s_cbranch_execz .LBB92_492
	s_branch .LBB92_493
.LBB92_491:
                                        ; implicit-def: $vgpr62_vgpr63
.LBB92_492:
	ds_read_b64 v[62:63], v1
.LBB92_493:
	v_cmp_ne_u32_e32 vcc, 22, v0
	s_and_saveexec_b64 s[4:5], vcc
	s_cbranch_execz .LBB92_497
; %bb.494:
	s_mov_b32 s6, 0
	v_add_u32_e32 v64, 0xf8, v18
	v_add3_u32 v65, v18, s6, 8
	s_mov_b64 s[6:7], 0
	v_mov_b32_e32 v66, v0
.LBB92_495:                             ; =>This Inner Loop Header: Depth=1
	scratch_load_dwordx2 v[68:69], v65, off
	ds_read_b64 v[70:71], v64
	v_add_u32_e32 v66, 1, v66
	v_cmp_lt_u32_e32 vcc, 21, v66
	v_add_u32_e32 v64, 8, v64
	v_add_u32_e32 v65, 8, v65
	s_or_b64 s[6:7], vcc, s[6:7]
	s_waitcnt vmcnt(0) lgkmcnt(0)
	v_fmac_f64_e32 v[62:63], v[68:69], v[70:71]
	s_andn2_b64 exec, exec, s[6:7]
	s_cbranch_execnz .LBB92_495
; %bb.496:
	s_or_b64 exec, exec, s[6:7]
.LBB92_497:
	s_or_b64 exec, exec, s[4:5]
	v_mov_b32_e32 v64, 0
	ds_read_b64 v[64:65], v64 offset:184
	s_waitcnt lgkmcnt(0)
	v_mul_f64 v[62:63], v[62:63], v[64:65]
	scratch_store_dwordx2 off, v[62:63], off offset:184
.LBB92_498:
	s_or_b64 exec, exec, s[2:3]
	scratch_load_dwordx2 v[62:63], off, off offset:192
	v_cmp_gt_u32_e32 vcc, 24, v0
	s_waitcnt vmcnt(0)
	ds_write_b64 v1, v[62:63]
	s_waitcnt lgkmcnt(0)
	; wave barrier
	s_and_saveexec_b64 s[2:3], vcc
	s_cbranch_execz .LBB92_508
; %bb.499:
	s_and_b64 vcc, exec, s[0:1]
	s_cbranch_vccnz .LBB92_501
; %bb.500:
	scratch_load_dwordx2 v[62:63], v19, off
	ds_read_b64 v[64:65], v1
	s_waitcnt vmcnt(0) lgkmcnt(0)
	v_mul_f64 v[62:63], v[62:63], v[64:65]
	s_cbranch_execz .LBB92_502
	s_branch .LBB92_503
.LBB92_501:
                                        ; implicit-def: $vgpr62_vgpr63
.LBB92_502:
	ds_read_b64 v[62:63], v1
.LBB92_503:
	v_cmp_ne_u32_e32 vcc, 23, v0
	s_and_saveexec_b64 s[4:5], vcc
	s_cbranch_execz .LBB92_507
; %bb.504:
	s_mov_b32 s6, 0
	v_add_u32_e32 v64, 0xf8, v18
	v_add3_u32 v65, v18, s6, 8
	s_mov_b64 s[6:7], 0
	v_mov_b32_e32 v66, v0
.LBB92_505:                             ; =>This Inner Loop Header: Depth=1
	scratch_load_dwordx2 v[68:69], v65, off
	ds_read_b64 v[70:71], v64
	v_add_u32_e32 v66, 1, v66
	v_cmp_lt_u32_e32 vcc, 22, v66
	v_add_u32_e32 v64, 8, v64
	v_add_u32_e32 v65, 8, v65
	s_or_b64 s[6:7], vcc, s[6:7]
	s_waitcnt vmcnt(0) lgkmcnt(0)
	v_fmac_f64_e32 v[62:63], v[68:69], v[70:71]
	s_andn2_b64 exec, exec, s[6:7]
	s_cbranch_execnz .LBB92_505
; %bb.506:
	s_or_b64 exec, exec, s[6:7]
.LBB92_507:
	s_or_b64 exec, exec, s[4:5]
	v_mov_b32_e32 v64, 0
	ds_read_b64 v[64:65], v64 offset:192
	s_waitcnt lgkmcnt(0)
	v_mul_f64 v[62:63], v[62:63], v[64:65]
	scratch_store_dwordx2 off, v[62:63], off offset:192
.LBB92_508:
	s_or_b64 exec, exec, s[2:3]
	scratch_load_dwordx2 v[62:63], off, off offset:200
	v_cmp_gt_u32_e32 vcc, 25, v0
	s_waitcnt vmcnt(0)
	ds_write_b64 v1, v[62:63]
	s_waitcnt lgkmcnt(0)
	; wave barrier
	s_and_saveexec_b64 s[2:3], vcc
	s_cbranch_execz .LBB92_518
; %bb.509:
	s_and_b64 vcc, exec, s[0:1]
	s_cbranch_vccnz .LBB92_511
; %bb.510:
	scratch_load_dwordx2 v[62:63], v19, off
	ds_read_b64 v[64:65], v1
	s_waitcnt vmcnt(0) lgkmcnt(0)
	v_mul_f64 v[62:63], v[62:63], v[64:65]
	s_cbranch_execz .LBB92_512
	s_branch .LBB92_513
.LBB92_511:
                                        ; implicit-def: $vgpr62_vgpr63
.LBB92_512:
	ds_read_b64 v[62:63], v1
.LBB92_513:
	v_cmp_ne_u32_e32 vcc, 24, v0
	s_and_saveexec_b64 s[4:5], vcc
	s_cbranch_execz .LBB92_517
; %bb.514:
	s_mov_b32 s6, 0
	v_add_u32_e32 v64, 0xf8, v18
	v_add3_u32 v65, v18, s6, 8
	s_mov_b64 s[6:7], 0
	v_mov_b32_e32 v66, v0
.LBB92_515:                             ; =>This Inner Loop Header: Depth=1
	scratch_load_dwordx2 v[68:69], v65, off
	ds_read_b64 v[70:71], v64
	v_add_u32_e32 v66, 1, v66
	v_cmp_lt_u32_e32 vcc, 23, v66
	v_add_u32_e32 v64, 8, v64
	v_add_u32_e32 v65, 8, v65
	s_or_b64 s[6:7], vcc, s[6:7]
	s_waitcnt vmcnt(0) lgkmcnt(0)
	v_fmac_f64_e32 v[62:63], v[68:69], v[70:71]
	s_andn2_b64 exec, exec, s[6:7]
	s_cbranch_execnz .LBB92_515
; %bb.516:
	s_or_b64 exec, exec, s[6:7]
.LBB92_517:
	s_or_b64 exec, exec, s[4:5]
	v_mov_b32_e32 v64, 0
	ds_read_b64 v[64:65], v64 offset:200
	s_waitcnt lgkmcnt(0)
	v_mul_f64 v[62:63], v[62:63], v[64:65]
	scratch_store_dwordx2 off, v[62:63], off offset:200
.LBB92_518:
	s_or_b64 exec, exec, s[2:3]
	scratch_load_dwordx2 v[62:63], off, off offset:208
	v_cmp_gt_u32_e32 vcc, 26, v0
	s_waitcnt vmcnt(0)
	ds_write_b64 v1, v[62:63]
	s_waitcnt lgkmcnt(0)
	; wave barrier
	s_and_saveexec_b64 s[2:3], vcc
	s_cbranch_execz .LBB92_528
; %bb.519:
	s_and_b64 vcc, exec, s[0:1]
	s_cbranch_vccnz .LBB92_521
; %bb.520:
	scratch_load_dwordx2 v[62:63], v19, off
	ds_read_b64 v[64:65], v1
	s_waitcnt vmcnt(0) lgkmcnt(0)
	v_mul_f64 v[62:63], v[62:63], v[64:65]
	s_cbranch_execz .LBB92_522
	s_branch .LBB92_523
.LBB92_521:
                                        ; implicit-def: $vgpr62_vgpr63
.LBB92_522:
	ds_read_b64 v[62:63], v1
.LBB92_523:
	v_cmp_ne_u32_e32 vcc, 25, v0
	s_and_saveexec_b64 s[4:5], vcc
	s_cbranch_execz .LBB92_527
; %bb.524:
	s_mov_b32 s6, 0
	v_add_u32_e32 v64, 0xf8, v18
	v_add3_u32 v65, v18, s6, 8
	s_mov_b64 s[6:7], 0
	v_mov_b32_e32 v66, v0
.LBB92_525:                             ; =>This Inner Loop Header: Depth=1
	scratch_load_dwordx2 v[68:69], v65, off
	ds_read_b64 v[70:71], v64
	v_add_u32_e32 v66, 1, v66
	v_cmp_lt_u32_e32 vcc, 24, v66
	v_add_u32_e32 v64, 8, v64
	v_add_u32_e32 v65, 8, v65
	s_or_b64 s[6:7], vcc, s[6:7]
	s_waitcnt vmcnt(0) lgkmcnt(0)
	v_fmac_f64_e32 v[62:63], v[68:69], v[70:71]
	s_andn2_b64 exec, exec, s[6:7]
	s_cbranch_execnz .LBB92_525
; %bb.526:
	s_or_b64 exec, exec, s[6:7]
.LBB92_527:
	s_or_b64 exec, exec, s[4:5]
	v_mov_b32_e32 v64, 0
	ds_read_b64 v[64:65], v64 offset:208
	s_waitcnt lgkmcnt(0)
	v_mul_f64 v[62:63], v[62:63], v[64:65]
	scratch_store_dwordx2 off, v[62:63], off offset:208
.LBB92_528:
	s_or_b64 exec, exec, s[2:3]
	scratch_load_dwordx2 v[62:63], off, off offset:216
	v_cmp_gt_u32_e64 s[2:3], 27, v0
	s_waitcnt vmcnt(0)
	ds_write_b64 v1, v[62:63]
	s_waitcnt lgkmcnt(0)
	; wave barrier
	s_and_saveexec_b64 s[4:5], s[2:3]
	s_cbranch_execz .LBB92_538
; %bb.529:
	s_and_b64 vcc, exec, s[0:1]
	s_cbranch_vccnz .LBB92_531
; %bb.530:
	scratch_load_dwordx2 v[62:63], v19, off
	ds_read_b64 v[64:65], v1
	s_waitcnt vmcnt(0) lgkmcnt(0)
	v_mul_f64 v[62:63], v[62:63], v[64:65]
	s_cbranch_execz .LBB92_532
	s_branch .LBB92_533
.LBB92_531:
                                        ; implicit-def: $vgpr62_vgpr63
.LBB92_532:
	ds_read_b64 v[62:63], v1
.LBB92_533:
	v_cmp_ne_u32_e32 vcc, 26, v0
	s_and_saveexec_b64 s[6:7], vcc
	s_cbranch_execz .LBB92_537
; %bb.534:
	s_mov_b32 s8, 0
	v_add_u32_e32 v64, 0xf8, v18
	v_add3_u32 v65, v18, s8, 8
	s_mov_b64 s[8:9], 0
	v_mov_b32_e32 v66, v0
.LBB92_535:                             ; =>This Inner Loop Header: Depth=1
	scratch_load_dwordx2 v[68:69], v65, off
	ds_read_b64 v[70:71], v64
	v_add_u32_e32 v66, 1, v66
	v_cmp_lt_u32_e32 vcc, 25, v66
	v_add_u32_e32 v64, 8, v64
	v_add_u32_e32 v65, 8, v65
	s_or_b64 s[8:9], vcc, s[8:9]
	s_waitcnt vmcnt(0) lgkmcnt(0)
	v_fmac_f64_e32 v[62:63], v[68:69], v[70:71]
	s_andn2_b64 exec, exec, s[8:9]
	s_cbranch_execnz .LBB92_535
; %bb.536:
	s_or_b64 exec, exec, s[8:9]
.LBB92_537:
	s_or_b64 exec, exec, s[6:7]
	v_mov_b32_e32 v64, 0
	ds_read_b64 v[64:65], v64 offset:216
	s_waitcnt lgkmcnt(0)
	v_mul_f64 v[62:63], v[62:63], v[64:65]
	scratch_store_dwordx2 off, v[62:63], off offset:216
.LBB92_538:
	s_or_b64 exec, exec, s[4:5]
	scratch_load_dwordx2 v[62:63], off, off offset:224
	v_cmp_ne_u32_e32 vcc, 28, v0
	s_waitcnt vmcnt(0)
	ds_write_b64 v1, v[62:63]
	s_waitcnt lgkmcnt(0)
	; wave barrier
	s_and_saveexec_b64 s[4:5], vcc
	s_cbranch_execz .LBB92_548
; %bb.539:
	s_and_b64 vcc, exec, s[0:1]
	s_cbranch_vccnz .LBB92_541
; %bb.540:
	scratch_load_dwordx2 v[62:63], v19, off
	ds_read_b64 v[64:65], v1
	s_waitcnt vmcnt(0) lgkmcnt(0)
	v_mul_f64 v[62:63], v[62:63], v[64:65]
	s_cbranch_execz .LBB92_542
	s_branch .LBB92_543
.LBB92_541:
                                        ; implicit-def: $vgpr62_vgpr63
.LBB92_542:
	ds_read_b64 v[62:63], v1
.LBB92_543:
	s_and_saveexec_b64 s[0:1], s[2:3]
	s_cbranch_execz .LBB92_547
; %bb.544:
	s_mov_b32 s2, 0
	v_add_u32_e32 v1, 0xf8, v18
	v_add3_u32 v18, v18, s2, 8
	s_mov_b64 s[2:3], 0
.LBB92_545:                             ; =>This Inner Loop Header: Depth=1
	scratch_load_dwordx2 v[64:65], v18, off
	ds_read_b64 v[66:67], v1
	v_add_u32_e32 v0, 1, v0
	v_cmp_lt_u32_e32 vcc, 26, v0
	v_add_u32_e32 v1, 8, v1
	v_add_u32_e32 v18, 8, v18
	s_or_b64 s[2:3], vcc, s[2:3]
	s_waitcnt vmcnt(0) lgkmcnt(0)
	v_fmac_f64_e32 v[62:63], v[64:65], v[66:67]
	s_andn2_b64 exec, exec, s[2:3]
	s_cbranch_execnz .LBB92_545
; %bb.546:
	s_or_b64 exec, exec, s[2:3]
.LBB92_547:
	s_or_b64 exec, exec, s[0:1]
	v_mov_b32_e32 v0, 0
	ds_read_b64 v[0:1], v0 offset:224
	s_waitcnt lgkmcnt(0)
	v_mul_f64 v[0:1], v[62:63], v[0:1]
	scratch_store_dwordx2 off, v[0:1], off offset:224
.LBB92_548:
	s_or_b64 exec, exec, s[4:5]
.LBB92_549:
	scratch_load_dwordx2 v[0:1], off, off
	s_waitcnt vmcnt(0)
	flat_store_dwordx2 v[2:3], v[0:1]
	scratch_load_dwordx2 v[0:1], off, off offset:8
	s_waitcnt vmcnt(0)
	flat_store_dwordx2 v[4:5], v[0:1]
	scratch_load_dwordx2 v[0:1], off, off offset:16
	s_waitcnt vmcnt(0)
	flat_store_dwordx2 v[6:7], v[0:1]
	scratch_load_dwordx2 v[0:1], off, off offset:24
	s_waitcnt vmcnt(0)
	flat_store_dwordx2 v[8:9], v[0:1]
	scratch_load_dwordx2 v[0:1], off, off offset:32
	s_waitcnt vmcnt(0)
	flat_store_dwordx2 v[10:11], v[0:1]
	scratch_load_dwordx2 v[0:1], off, off offset:40
	s_waitcnt vmcnt(0)
	flat_store_dwordx2 v[12:13], v[0:1]
	scratch_load_dwordx2 v[0:1], off, off offset:48
	s_waitcnt vmcnt(0)
	flat_store_dwordx2 v[14:15], v[0:1]
	scratch_load_dwordx2 v[0:1], off, off offset:56
	s_waitcnt vmcnt(0)
	flat_store_dwordx2 v[16:17], v[0:1]
	scratch_load_dwordx2 v[0:1], off, off offset:64
	s_waitcnt vmcnt(0)
	flat_store_dwordx2 v[20:21], v[0:1]
	scratch_load_dwordx2 v[0:1], off, off offset:72
	s_waitcnt vmcnt(0)
	flat_store_dwordx2 v[22:23], v[0:1]
	scratch_load_dwordx2 v[0:1], off, off offset:80
	s_waitcnt vmcnt(0)
	flat_store_dwordx2 v[24:25], v[0:1]
	scratch_load_dwordx2 v[0:1], off, off offset:88
	s_waitcnt vmcnt(0)
	flat_store_dwordx2 v[26:27], v[0:1]
	scratch_load_dwordx2 v[0:1], off, off offset:96
	s_waitcnt vmcnt(0)
	flat_store_dwordx2 v[28:29], v[0:1]
	scratch_load_dwordx2 v[0:1], off, off offset:104
	s_waitcnt vmcnt(0)
	flat_store_dwordx2 v[30:31], v[0:1]
	scratch_load_dwordx2 v[0:1], off, off offset:112
	s_waitcnt vmcnt(0)
	flat_store_dwordx2 v[32:33], v[0:1]
	scratch_load_dwordx2 v[0:1], off, off offset:120
	s_waitcnt vmcnt(0)
	flat_store_dwordx2 v[34:35], v[0:1]
	scratch_load_dwordx2 v[0:1], off, off offset:128
	s_waitcnt vmcnt(0)
	flat_store_dwordx2 v[36:37], v[0:1]
	scratch_load_dwordx2 v[0:1], off, off offset:136
	s_waitcnt vmcnt(0)
	flat_store_dwordx2 v[38:39], v[0:1]
	scratch_load_dwordx2 v[0:1], off, off offset:144
	s_waitcnt vmcnt(0)
	flat_store_dwordx2 v[40:41], v[0:1]
	scratch_load_dwordx2 v[0:1], off, off offset:152
	s_waitcnt vmcnt(0)
	flat_store_dwordx2 v[42:43], v[0:1]
	scratch_load_dwordx2 v[0:1], off, off offset:160
	s_waitcnt vmcnt(0)
	flat_store_dwordx2 v[44:45], v[0:1]
	scratch_load_dwordx2 v[0:1], off, off offset:168
	s_waitcnt vmcnt(0)
	flat_store_dwordx2 v[46:47], v[0:1]
	scratch_load_dwordx2 v[0:1], off, off offset:176
	s_waitcnt vmcnt(0)
	flat_store_dwordx2 v[48:49], v[0:1]
	scratch_load_dwordx2 v[0:1], off, off offset:184
	s_waitcnt vmcnt(0)
	flat_store_dwordx2 v[50:51], v[0:1]
	scratch_load_dwordx2 v[0:1], off, off offset:192
	s_waitcnt vmcnt(0)
	flat_store_dwordx2 v[52:53], v[0:1]
	scratch_load_dwordx2 v[0:1], off, off offset:200
	s_waitcnt vmcnt(0)
	flat_store_dwordx2 v[54:55], v[0:1]
	scratch_load_dwordx2 v[0:1], off, off offset:208
	s_waitcnt vmcnt(0)
	flat_store_dwordx2 v[56:57], v[0:1]
	scratch_load_dwordx2 v[0:1], off, off offset:216
	s_waitcnt vmcnt(0)
	flat_store_dwordx2 v[58:59], v[0:1]
	scratch_load_dwordx2 v[0:1], off, off offset:224
	s_waitcnt vmcnt(0)
	flat_store_dwordx2 v[60:61], v[0:1]
.LBB92_550:
	s_endpgm
	.section	.rodata,"a",@progbits
	.p2align	6, 0x0
	.amdhsa_kernel _ZN9rocsolver6v33100L18trti2_kernel_smallILi29EdPKPdEEv13rocblas_fill_17rocblas_diagonal_T1_iil
		.amdhsa_group_segment_fixed_size 472
		.amdhsa_private_segment_fixed_size 240
		.amdhsa_kernarg_size 32
		.amdhsa_user_sgpr_count 2
		.amdhsa_user_sgpr_dispatch_ptr 0
		.amdhsa_user_sgpr_queue_ptr 0
		.amdhsa_user_sgpr_kernarg_segment_ptr 1
		.amdhsa_user_sgpr_dispatch_id 0
		.amdhsa_user_sgpr_kernarg_preload_length 0
		.amdhsa_user_sgpr_kernarg_preload_offset 0
		.amdhsa_user_sgpr_private_segment_size 0
		.amdhsa_uses_dynamic_stack 0
		.amdhsa_enable_private_segment 1
		.amdhsa_system_sgpr_workgroup_id_x 1
		.amdhsa_system_sgpr_workgroup_id_y 0
		.amdhsa_system_sgpr_workgroup_id_z 0
		.amdhsa_system_sgpr_workgroup_info 0
		.amdhsa_system_vgpr_workitem_id 0
		.amdhsa_next_free_vgpr 72
		.amdhsa_next_free_sgpr 38
		.amdhsa_accum_offset 72
		.amdhsa_reserve_vcc 1
		.amdhsa_float_round_mode_32 0
		.amdhsa_float_round_mode_16_64 0
		.amdhsa_float_denorm_mode_32 3
		.amdhsa_float_denorm_mode_16_64 3
		.amdhsa_dx10_clamp 1
		.amdhsa_ieee_mode 1
		.amdhsa_fp16_overflow 0
		.amdhsa_tg_split 0
		.amdhsa_exception_fp_ieee_invalid_op 0
		.amdhsa_exception_fp_denorm_src 0
		.amdhsa_exception_fp_ieee_div_zero 0
		.amdhsa_exception_fp_ieee_overflow 0
		.amdhsa_exception_fp_ieee_underflow 0
		.amdhsa_exception_fp_ieee_inexact 0
		.amdhsa_exception_int_div_zero 0
	.end_amdhsa_kernel
	.section	.text._ZN9rocsolver6v33100L18trti2_kernel_smallILi29EdPKPdEEv13rocblas_fill_17rocblas_diagonal_T1_iil,"axG",@progbits,_ZN9rocsolver6v33100L18trti2_kernel_smallILi29EdPKPdEEv13rocblas_fill_17rocblas_diagonal_T1_iil,comdat
.Lfunc_end92:
	.size	_ZN9rocsolver6v33100L18trti2_kernel_smallILi29EdPKPdEEv13rocblas_fill_17rocblas_diagonal_T1_iil, .Lfunc_end92-_ZN9rocsolver6v33100L18trti2_kernel_smallILi29EdPKPdEEv13rocblas_fill_17rocblas_diagonal_T1_iil
                                        ; -- End function
	.set _ZN9rocsolver6v33100L18trti2_kernel_smallILi29EdPKPdEEv13rocblas_fill_17rocblas_diagonal_T1_iil.num_vgpr, 72
	.set _ZN9rocsolver6v33100L18trti2_kernel_smallILi29EdPKPdEEv13rocblas_fill_17rocblas_diagonal_T1_iil.num_agpr, 0
	.set _ZN9rocsolver6v33100L18trti2_kernel_smallILi29EdPKPdEEv13rocblas_fill_17rocblas_diagonal_T1_iil.numbered_sgpr, 38
	.set _ZN9rocsolver6v33100L18trti2_kernel_smallILi29EdPKPdEEv13rocblas_fill_17rocblas_diagonal_T1_iil.num_named_barrier, 0
	.set _ZN9rocsolver6v33100L18trti2_kernel_smallILi29EdPKPdEEv13rocblas_fill_17rocblas_diagonal_T1_iil.private_seg_size, 240
	.set _ZN9rocsolver6v33100L18trti2_kernel_smallILi29EdPKPdEEv13rocblas_fill_17rocblas_diagonal_T1_iil.uses_vcc, 1
	.set _ZN9rocsolver6v33100L18trti2_kernel_smallILi29EdPKPdEEv13rocblas_fill_17rocblas_diagonal_T1_iil.uses_flat_scratch, 0
	.set _ZN9rocsolver6v33100L18trti2_kernel_smallILi29EdPKPdEEv13rocblas_fill_17rocblas_diagonal_T1_iil.has_dyn_sized_stack, 0
	.set _ZN9rocsolver6v33100L18trti2_kernel_smallILi29EdPKPdEEv13rocblas_fill_17rocblas_diagonal_T1_iil.has_recursion, 0
	.set _ZN9rocsolver6v33100L18trti2_kernel_smallILi29EdPKPdEEv13rocblas_fill_17rocblas_diagonal_T1_iil.has_indirect_call, 0
	.section	.AMDGPU.csdata,"",@progbits
; Kernel info:
; codeLenInByte = 13896
; TotalNumSgprs: 44
; NumVgprs: 72
; NumAgprs: 0
; TotalNumVgprs: 72
; ScratchSize: 240
; MemoryBound: 0
; FloatMode: 240
; IeeeMode: 1
; LDSByteSize: 472 bytes/workgroup (compile time only)
; SGPRBlocks: 5
; VGPRBlocks: 8
; NumSGPRsForWavesPerEU: 44
; NumVGPRsForWavesPerEU: 72
; AccumOffset: 72
; Occupancy: 7
; WaveLimiterHint : 1
; COMPUTE_PGM_RSRC2:SCRATCH_EN: 1
; COMPUTE_PGM_RSRC2:USER_SGPR: 2
; COMPUTE_PGM_RSRC2:TRAP_HANDLER: 0
; COMPUTE_PGM_RSRC2:TGID_X_EN: 1
; COMPUTE_PGM_RSRC2:TGID_Y_EN: 0
; COMPUTE_PGM_RSRC2:TGID_Z_EN: 0
; COMPUTE_PGM_RSRC2:TIDIG_COMP_CNT: 0
; COMPUTE_PGM_RSRC3_GFX90A:ACCUM_OFFSET: 17
; COMPUTE_PGM_RSRC3_GFX90A:TG_SPLIT: 0
	.section	.text._ZN9rocsolver6v33100L18trti2_kernel_smallILi30EdPKPdEEv13rocblas_fill_17rocblas_diagonal_T1_iil,"axG",@progbits,_ZN9rocsolver6v33100L18trti2_kernel_smallILi30EdPKPdEEv13rocblas_fill_17rocblas_diagonal_T1_iil,comdat
	.globl	_ZN9rocsolver6v33100L18trti2_kernel_smallILi30EdPKPdEEv13rocblas_fill_17rocblas_diagonal_T1_iil ; -- Begin function _ZN9rocsolver6v33100L18trti2_kernel_smallILi30EdPKPdEEv13rocblas_fill_17rocblas_diagonal_T1_iil
	.p2align	8
	.type	_ZN9rocsolver6v33100L18trti2_kernel_smallILi30EdPKPdEEv13rocblas_fill_17rocblas_diagonal_T1_iil,@function
_ZN9rocsolver6v33100L18trti2_kernel_smallILi30EdPKPdEEv13rocblas_fill_17rocblas_diagonal_T1_iil: ; @_ZN9rocsolver6v33100L18trti2_kernel_smallILi30EdPKPdEEv13rocblas_fill_17rocblas_diagonal_T1_iil
; %bb.0:
	v_cmp_gt_u32_e32 vcc, 30, v0
	s_and_saveexec_b64 s[4:5], vcc
	s_cbranch_execz .LBB93_570
; %bb.1:
	s_load_dwordx2 s[8:9], s[0:1], 0x10
	s_load_dwordx4 s[4:7], s[0:1], 0x0
	s_ashr_i32 s3, s2, 31
	s_lshl_b64 s[0:1], s[2:3], 3
	v_lshlrev_b32_e32 v18, 3, v0
	s_waitcnt lgkmcnt(0)
	s_ashr_i32 s3, s8, 31
	s_add_u32 s0, s6, s0
	s_addc_u32 s1, s7, s1
	s_load_dwordx2 s[0:1], s[0:1], 0x0
	s_mov_b32 s2, s8
	s_lshl_b64 s[2:3], s[2:3], 3
	v_mov_b32_e32 v19, 0
	s_waitcnt lgkmcnt(0)
	s_add_u32 s0, s0, s2
	s_addc_u32 s1, s1, s3
	v_lshl_add_u64 v[2:3], s[0:1], 0, v[18:19]
	flat_load_dwordx2 v[6:7], v[2:3]
	s_mov_b32 s2, s9
	s_ashr_i32 s3, s9, 31
	v_lshl_add_u64 v[4:5], s[2:3], 3, v[2:3]
	s_add_i32 s2, s9, s9
	v_add_u32_e32 v10, s2, v0
	v_ashrrev_i32_e32 v11, 31, v10
	s_cmpk_lg_i32 s5, 0x84
	s_cselect_b64 s[6:7], -1, 0
	s_cmpk_eq_i32 s5, 0x84
	s_waitcnt vmcnt(0) lgkmcnt(0)
	scratch_store_dwordx2 off, v[6:7], off
	flat_load_dwordx2 v[8:9], v[4:5]
	v_lshl_add_u64 v[6:7], v[10:11], 3, s[0:1]
	v_add_u32_e32 v10, s9, v10
	v_ashrrev_i32_e32 v11, 31, v10
	v_add_u32_e32 v14, s9, v10
	v_ashrrev_i32_e32 v15, 31, v14
	s_waitcnt vmcnt(0) lgkmcnt(0)
	scratch_store_dwordx2 off, v[8:9], off offset:8
	flat_load_dwordx2 v[12:13], v[6:7]
	v_lshl_add_u64 v[8:9], v[10:11], 3, s[0:1]
	v_lshl_add_u64 v[10:11], v[14:15], 3, s[0:1]
	v_add_u32_e32 v14, s9, v14
	v_ashrrev_i32_e32 v15, 31, v14
	v_add_u32_e32 v20, s9, v14
	v_ashrrev_i32_e32 v21, 31, v20
	s_waitcnt vmcnt(0) lgkmcnt(0)
	scratch_store_dwordx2 off, v[12:13], off offset:16
	flat_load_dwordx2 v[12:13], v[8:9]
	s_waitcnt vmcnt(0) lgkmcnt(0)
	scratch_store_dwordx2 off, v[12:13], off offset:24
	flat_load_dwordx2 v[16:17], v[10:11]
	v_lshl_add_u64 v[12:13], v[14:15], 3, s[0:1]
	v_lshl_add_u64 v[14:15], v[20:21], 3, s[0:1]
	v_add_u32_e32 v20, s9, v20
	v_ashrrev_i32_e32 v21, 31, v20
	v_add_u32_e32 v24, s9, v20
	v_ashrrev_i32_e32 v25, 31, v24
	s_waitcnt vmcnt(0) lgkmcnt(0)
	scratch_store_dwordx2 off, v[16:17], off offset:32
	flat_load_dwordx2 v[16:17], v[12:13]
	;; [unrolled: 12-line block ×12, first 2 shown]
	s_waitcnt vmcnt(0) lgkmcnt(0)
	scratch_store_dwordx2 off, v[58:59], off offset:200
	flat_load_dwordx2 v[62:63], v[56:57]
	v_lshl_add_u64 v[58:59], v[60:61], 3, s[0:1]
	v_lshl_add_u64 v[60:61], v[64:65], 3, s[0:1]
	s_waitcnt vmcnt(0) lgkmcnt(0)
	scratch_store_dwordx2 off, v[62:63], off offset:208
	flat_load_dwordx2 v[62:63], v[58:59]
	s_waitcnt vmcnt(0) lgkmcnt(0)
	scratch_store_dwordx2 off, v[62:63], off offset:216
	flat_load_dwordx2 v[66:67], v[60:61]
	v_add_u32_e32 v62, s9, v64
	v_ashrrev_i32_e32 v63, 31, v62
	v_lshl_add_u64 v[62:63], v[62:63], 3, s[0:1]
	s_waitcnt vmcnt(0) lgkmcnt(0)
	scratch_store_dwordx2 off, v[66:67], off offset:224
	flat_load_dwordx2 v[64:65], v[62:63]
	s_waitcnt vmcnt(0) lgkmcnt(0)
	scratch_store_dwordx2 off, v[64:65], off offset:232
	v_mov_b64_e32 v[64:65], -1.0
	s_cbranch_scc1 .LBB93_3
; %bb.2:
	scratch_load_dwordx2 v[64:65], v18, off
	s_waitcnt vmcnt(0)
	v_div_scale_f64 v[66:67], s[0:1], v[64:65], v[64:65], 1.0
	v_rcp_f64_e32 v[68:69], v[66:67]
	v_div_scale_f64 v[70:71], vcc, 1.0, v[64:65], 1.0
	v_fma_f64 v[72:73], -v[66:67], v[68:69], 1.0
	v_fmac_f64_e32 v[68:69], v[68:69], v[72:73]
	v_fma_f64 v[72:73], -v[66:67], v[68:69], 1.0
	v_fmac_f64_e32 v[68:69], v[68:69], v[72:73]
	v_mul_f64 v[72:73], v[70:71], v[68:69]
	v_fma_f64 v[66:67], -v[66:67], v[72:73], v[70:71]
	v_div_fmas_f64 v[66:67], v[66:67], v[68:69], v[72:73]
	v_div_fixup_f64 v[64:65], v[66:67], v[64:65], 1.0
	scratch_store_dwordx2 v18, v[64:65], off
	v_xor_b32_e32 v65, 0x80000000, v65
.LBB93_3:
	s_cmpk_eq_i32 s4, 0x79
	v_add_u32_e32 v1, 0xf0, v18
	v_mov_b32_e32 v19, v18
	s_mov_b64 s[0:1], -1
	ds_write_b64 v18, v[64:65]
	s_cbranch_scc1 .LBB93_287
; %bb.4:
	scratch_load_dwordx2 v[64:65], off, off offset:224
	s_movk_i32 s8, 0x48
	s_movk_i32 s9, 0x50
	s_movk_i32 s20, 0x58
	s_movk_i32 s21, 0x60
	s_movk_i32 s22, 0x68
	s_movk_i32 s23, 0x70
	s_movk_i32 s24, 0x78
	s_movk_i32 s25, 0x80
	s_movk_i32 s26, 0x88
	s_movk_i32 s27, 0x90
	s_movk_i32 s28, 0x98
	s_movk_i32 s29, 0xa0
	s_movk_i32 s30, 0xa8
	s_movk_i32 s31, 0xb0
	s_movk_i32 s33, 0xb8
	s_movk_i32 s34, 0xc0
	s_movk_i32 s35, 0xc8
	s_movk_i32 s36, 0xd0
	s_movk_i32 s37, 0xd8
	v_cmp_eq_u32_e64 s[0:1], 29, v0
	s_waitcnt vmcnt(0)
	ds_write_b64 v1, v[64:65]
	s_waitcnt lgkmcnt(0)
	; wave barrier
	s_and_saveexec_b64 s[2:3], s[0:1]
	s_cbranch_execz .LBB93_10
; %bb.5:
	s_and_b64 vcc, exec, s[6:7]
	s_cbranch_vccz .LBB93_7
; %bb.6:
	scratch_load_dwordx2 v[64:65], v19, off
	ds_read_b64 v[66:67], v1
	s_waitcnt vmcnt(0) lgkmcnt(0)
	v_mul_f64 v[64:65], v[64:65], v[66:67]
	s_cbranch_execz .LBB93_8
	s_branch .LBB93_9
.LBB93_7:
                                        ; implicit-def: $vgpr64_vgpr65
.LBB93_8:
	ds_read_b64 v[64:65], v1
.LBB93_9:
	v_mov_b32_e32 v66, 0
	ds_read_b64 v[66:67], v66 offset:224
	s_waitcnt lgkmcnt(0)
	v_mul_f64 v[64:65], v[64:65], v[66:67]
	scratch_store_dwordx2 off, v[64:65], off offset:224
.LBB93_10:
	s_or_b64 exec, exec, s[2:3]
	scratch_load_dwordx2 v[64:65], off, off offset:216
	s_or_b32 s10, 0, 8
	s_mov_b32 s11, 16
	s_mov_b32 s12, 24
	;; [unrolled: 1-line block ×9, first 2 shown]
	v_cmp_lt_u32_e64 s[2:3], 27, v0
	s_waitcnt vmcnt(0)
	ds_write_b64 v1, v[64:65]
	s_waitcnt lgkmcnt(0)
	; wave barrier
	s_and_saveexec_b64 s[4:5], s[2:3]
	s_cbranch_execz .LBB93_16
; %bb.11:
	s_andn2_b64 vcc, exec, s[6:7]
	s_cbranch_vccnz .LBB93_13
; %bb.12:
	scratch_load_dwordx2 v[64:65], v19, off
	ds_read_b64 v[66:67], v1
	s_waitcnt vmcnt(0) lgkmcnt(0)
	v_mul_f64 v[64:65], v[64:65], v[66:67]
	s_cbranch_execz .LBB93_14
	s_branch .LBB93_15
.LBB93_13:
                                        ; implicit-def: $vgpr64_vgpr65
.LBB93_14:
	ds_read_b64 v[64:65], v1
.LBB93_15:
	scratch_load_dwordx2 v[70:71], off, off offset:224
	v_mov_b32_e32 v66, 0
	ds_read2_b64 v[66:69], v66 offset0:27 offset1:58
	s_waitcnt vmcnt(0) lgkmcnt(0)
	v_fma_f64 v[68:69], v[70:71], v[68:69], v[64:65]
	v_cndmask_b32_e64 v65, v65, v69, s[0:1]
	v_cndmask_b32_e64 v64, v64, v68, s[0:1]
	v_mul_f64 v[64:65], v[64:65], v[66:67]
	scratch_store_dwordx2 off, v[64:65], off offset:216
.LBB93_16:
	s_or_b64 exec, exec, s[4:5]
	scratch_load_dwordx2 v[64:65], off, off offset:208
	v_cmp_lt_u32_e64 s[0:1], 26, v0
	s_waitcnt vmcnt(0)
	ds_write_b64 v1, v[64:65]
	s_waitcnt lgkmcnt(0)
	; wave barrier
	s_and_saveexec_b64 s[4:5], s[0:1]
	s_cbranch_execz .LBB93_26
; %bb.17:
	s_andn2_b64 vcc, exec, s[6:7]
	s_cbranch_vccnz .LBB93_19
; %bb.18:
	scratch_load_dwordx2 v[64:65], v19, off
	ds_read_b64 v[66:67], v1
	s_waitcnt vmcnt(0) lgkmcnt(0)
	v_mul_f64 v[64:65], v[64:65], v[66:67]
	s_cbranch_execz .LBB93_20
	s_branch .LBB93_21
.LBB93_19:
                                        ; implicit-def: $vgpr64_vgpr65
.LBB93_20:
	ds_read_b64 v[64:65], v1
.LBB93_21:
	s_and_saveexec_b64 s[8:9], s[2:3]
	s_cbranch_execz .LBB93_25
; %bb.22:
	v_subrev_u32_e32 v66, 27, v0
	s_movk_i32 s38, 0x1c8
	s_mov_b64 s[2:3], 0
.LBB93_23:                              ; =>This Inner Loop Header: Depth=1
	scratch_load_dwordx2 v[68:69], off, s37
	v_mov_b32_e32 v67, s38
	ds_read_b64 v[70:71], v67
	v_add_u32_e32 v66, -1, v66
	s_add_i32 s38, s38, 8
	s_add_i32 s37, s37, 8
	v_cmp_eq_u32_e32 vcc, 0, v66
	s_or_b64 s[2:3], vcc, s[2:3]
	s_waitcnt vmcnt(0) lgkmcnt(0)
	v_fmac_f64_e32 v[64:65], v[68:69], v[70:71]
	s_andn2_b64 exec, exec, s[2:3]
	s_cbranch_execnz .LBB93_23
; %bb.24:
	s_or_b64 exec, exec, s[2:3]
.LBB93_25:
	s_or_b64 exec, exec, s[8:9]
	v_mov_b32_e32 v66, 0
	ds_read_b64 v[66:67], v66 offset:208
	s_waitcnt lgkmcnt(0)
	v_mul_f64 v[64:65], v[64:65], v[66:67]
	scratch_store_dwordx2 off, v[64:65], off offset:208
.LBB93_26:
	s_or_b64 exec, exec, s[4:5]
	scratch_load_dwordx2 v[64:65], off, off offset:200
	v_cmp_lt_u32_e64 s[2:3], 25, v0
	s_waitcnt vmcnt(0)
	ds_write_b64 v1, v[64:65]
	s_waitcnt lgkmcnt(0)
	; wave barrier
	s_and_saveexec_b64 s[4:5], s[2:3]
	s_cbranch_execz .LBB93_36
; %bb.27:
	s_andn2_b64 vcc, exec, s[6:7]
	s_cbranch_vccnz .LBB93_29
; %bb.28:
	scratch_load_dwordx2 v[64:65], v19, off
	ds_read_b64 v[66:67], v1
	s_waitcnt vmcnt(0) lgkmcnt(0)
	v_mul_f64 v[64:65], v[64:65], v[66:67]
	s_cbranch_execz .LBB93_30
	s_branch .LBB93_31
.LBB93_29:
                                        ; implicit-def: $vgpr64_vgpr65
.LBB93_30:
	ds_read_b64 v[64:65], v1
.LBB93_31:
	s_and_saveexec_b64 s[8:9], s[0:1]
	s_cbranch_execz .LBB93_35
; %bb.32:
	v_subrev_u32_e32 v66, 26, v0
	s_movk_i32 s37, 0x1c0
	s_mov_b64 s[0:1], 0
.LBB93_33:                              ; =>This Inner Loop Header: Depth=1
	scratch_load_dwordx2 v[68:69], off, s36
	v_mov_b32_e32 v67, s37
	ds_read_b64 v[70:71], v67
	v_add_u32_e32 v66, -1, v66
	s_add_i32 s37, s37, 8
	s_add_i32 s36, s36, 8
	v_cmp_eq_u32_e32 vcc, 0, v66
	s_or_b64 s[0:1], vcc, s[0:1]
	s_waitcnt vmcnt(0) lgkmcnt(0)
	v_fmac_f64_e32 v[64:65], v[68:69], v[70:71]
	s_andn2_b64 exec, exec, s[0:1]
	s_cbranch_execnz .LBB93_33
; %bb.34:
	s_or_b64 exec, exec, s[0:1]
.LBB93_35:
	s_or_b64 exec, exec, s[8:9]
	v_mov_b32_e32 v66, 0
	ds_read_b64 v[66:67], v66 offset:200
	s_waitcnt lgkmcnt(0)
	v_mul_f64 v[64:65], v[64:65], v[66:67]
	scratch_store_dwordx2 off, v[64:65], off offset:200
.LBB93_36:
	;; [unrolled: 53-line block ×8, first 2 shown]
	s_or_b64 exec, exec, s[4:5]
	scratch_load_dwordx2 v[64:65], off, off offset:144
	v_cmp_lt_u32_e64 s[0:1], 18, v0
	s_waitcnt vmcnt(0)
	ds_write_b64 v1, v[64:65]
	s_waitcnt lgkmcnt(0)
	; wave barrier
	s_and_saveexec_b64 s[4:5], s[0:1]
	s_cbranch_execz .LBB93_106
; %bb.97:
	s_andn2_b64 vcc, exec, s[6:7]
	s_cbranch_vccnz .LBB93_99
; %bb.98:
	scratch_load_dwordx2 v[64:65], v19, off
	ds_read_b64 v[66:67], v1
	s_waitcnt vmcnt(0) lgkmcnt(0)
	v_mul_f64 v[64:65], v[64:65], v[66:67]
	s_cbranch_execz .LBB93_100
	s_branch .LBB93_101
.LBB93_99:
                                        ; implicit-def: $vgpr64_vgpr65
.LBB93_100:
	ds_read_b64 v[64:65], v1
.LBB93_101:
	s_and_saveexec_b64 s[8:9], s[2:3]
	s_cbranch_execz .LBB93_105
; %bb.102:
	v_subrev_u32_e32 v66, 19, v0
	s_movk_i32 s29, 0x188
	s_mov_b64 s[2:3], 0
.LBB93_103:                             ; =>This Inner Loop Header: Depth=1
	scratch_load_dwordx2 v[68:69], off, s28
	v_mov_b32_e32 v67, s29
	ds_read_b64 v[70:71], v67
	v_add_u32_e32 v66, -1, v66
	s_add_i32 s29, s29, 8
	s_add_i32 s28, s28, 8
	v_cmp_eq_u32_e32 vcc, 0, v66
	s_or_b64 s[2:3], vcc, s[2:3]
	s_waitcnt vmcnt(0) lgkmcnt(0)
	v_fmac_f64_e32 v[64:65], v[68:69], v[70:71]
	s_andn2_b64 exec, exec, s[2:3]
	s_cbranch_execnz .LBB93_103
; %bb.104:
	s_or_b64 exec, exec, s[2:3]
.LBB93_105:
	s_or_b64 exec, exec, s[8:9]
	v_mov_b32_e32 v66, 0
	ds_read_b64 v[66:67], v66 offset:144
	s_waitcnt lgkmcnt(0)
	v_mul_f64 v[64:65], v[64:65], v[66:67]
	scratch_store_dwordx2 off, v[64:65], off offset:144
.LBB93_106:
	s_or_b64 exec, exec, s[4:5]
	scratch_load_dwordx2 v[64:65], off, off offset:136
	v_cmp_lt_u32_e64 s[2:3], 17, v0
	s_waitcnt vmcnt(0)
	ds_write_b64 v1, v[64:65]
	s_waitcnt lgkmcnt(0)
	; wave barrier
	s_and_saveexec_b64 s[4:5], s[2:3]
	s_cbranch_execz .LBB93_116
; %bb.107:
	s_andn2_b64 vcc, exec, s[6:7]
	s_cbranch_vccnz .LBB93_109
; %bb.108:
	scratch_load_dwordx2 v[64:65], v19, off
	ds_read_b64 v[66:67], v1
	s_waitcnt vmcnt(0) lgkmcnt(0)
	v_mul_f64 v[64:65], v[64:65], v[66:67]
	s_cbranch_execz .LBB93_110
	s_branch .LBB93_111
.LBB93_109:
                                        ; implicit-def: $vgpr64_vgpr65
.LBB93_110:
	ds_read_b64 v[64:65], v1
.LBB93_111:
	s_and_saveexec_b64 s[8:9], s[0:1]
	s_cbranch_execz .LBB93_115
; %bb.112:
	v_subrev_u32_e32 v66, 18, v0
	s_movk_i32 s28, 0x180
	s_mov_b64 s[0:1], 0
.LBB93_113:                             ; =>This Inner Loop Header: Depth=1
	scratch_load_dwordx2 v[68:69], off, s27
	v_mov_b32_e32 v67, s28
	ds_read_b64 v[70:71], v67
	v_add_u32_e32 v66, -1, v66
	s_add_i32 s28, s28, 8
	s_add_i32 s27, s27, 8
	v_cmp_eq_u32_e32 vcc, 0, v66
	s_or_b64 s[0:1], vcc, s[0:1]
	s_waitcnt vmcnt(0) lgkmcnt(0)
	v_fmac_f64_e32 v[64:65], v[68:69], v[70:71]
	s_andn2_b64 exec, exec, s[0:1]
	s_cbranch_execnz .LBB93_113
; %bb.114:
	s_or_b64 exec, exec, s[0:1]
.LBB93_115:
	s_or_b64 exec, exec, s[8:9]
	v_mov_b32_e32 v66, 0
	ds_read_b64 v[66:67], v66 offset:136
	s_waitcnt lgkmcnt(0)
	v_mul_f64 v[64:65], v[64:65], v[66:67]
	scratch_store_dwordx2 off, v[64:65], off offset:136
.LBB93_116:
	;; [unrolled: 53-line block ×3, first 2 shown]
	s_or_b64 exec, exec, s[4:5]
	scratch_load_dwordx2 v[64:65], off, off offset:120
	v_cmp_lt_u32_e64 s[2:3], 15, v0
	s_waitcnt vmcnt(0)
	ds_write_b64 v1, v[64:65]
	s_waitcnt lgkmcnt(0)
	; wave barrier
	s_and_saveexec_b64 s[4:5], s[2:3]
	s_cbranch_execz .LBB93_136
; %bb.127:
	s_andn2_b64 vcc, exec, s[6:7]
	s_cbranch_vccnz .LBB93_129
; %bb.128:
	scratch_load_dwordx2 v[64:65], v19, off
	ds_read_b64 v[66:67], v1
	s_waitcnt vmcnt(0) lgkmcnt(0)
	v_mul_f64 v[64:65], v[64:65], v[66:67]
	s_cbranch_execz .LBB93_130
	s_branch .LBB93_131
.LBB93_129:
                                        ; implicit-def: $vgpr64_vgpr65
.LBB93_130:
	ds_read_b64 v[64:65], v1
.LBB93_131:
	s_and_saveexec_b64 s[8:9], s[0:1]
	s_cbranch_execz .LBB93_135
; %bb.132:
	v_add_u32_e32 v66, -16, v0
	s_movk_i32 s26, 0x170
	s_mov_b64 s[0:1], 0
.LBB93_133:                             ; =>This Inner Loop Header: Depth=1
	scratch_load_dwordx2 v[68:69], off, s25
	v_mov_b32_e32 v67, s26
	ds_read_b64 v[70:71], v67
	v_add_u32_e32 v66, -1, v66
	s_add_i32 s26, s26, 8
	s_add_i32 s25, s25, 8
	v_cmp_eq_u32_e32 vcc, 0, v66
	s_or_b64 s[0:1], vcc, s[0:1]
	s_waitcnt vmcnt(0) lgkmcnt(0)
	v_fmac_f64_e32 v[64:65], v[68:69], v[70:71]
	s_andn2_b64 exec, exec, s[0:1]
	s_cbranch_execnz .LBB93_133
; %bb.134:
	s_or_b64 exec, exec, s[0:1]
.LBB93_135:
	s_or_b64 exec, exec, s[8:9]
	v_mov_b32_e32 v66, 0
	ds_read_b64 v[66:67], v66 offset:120
	s_waitcnt lgkmcnt(0)
	v_mul_f64 v[64:65], v[64:65], v[66:67]
	scratch_store_dwordx2 off, v[64:65], off offset:120
.LBB93_136:
	s_or_b64 exec, exec, s[4:5]
	scratch_load_dwordx2 v[64:65], off, off offset:112
	v_cmp_lt_u32_e64 s[0:1], 14, v0
	s_waitcnt vmcnt(0)
	ds_write_b64 v1, v[64:65]
	s_waitcnt lgkmcnt(0)
	; wave barrier
	s_and_saveexec_b64 s[4:5], s[0:1]
	s_cbranch_execz .LBB93_146
; %bb.137:
	s_andn2_b64 vcc, exec, s[6:7]
	s_cbranch_vccnz .LBB93_139
; %bb.138:
	scratch_load_dwordx2 v[64:65], v19, off
	ds_read_b64 v[66:67], v1
	s_waitcnt vmcnt(0) lgkmcnt(0)
	v_mul_f64 v[64:65], v[64:65], v[66:67]
	s_cbranch_execz .LBB93_140
	s_branch .LBB93_141
.LBB93_139:
                                        ; implicit-def: $vgpr64_vgpr65
.LBB93_140:
	ds_read_b64 v[64:65], v1
.LBB93_141:
	s_and_saveexec_b64 s[8:9], s[2:3]
	s_cbranch_execz .LBB93_145
; %bb.142:
	v_add_u32_e32 v66, -15, v0
	s_movk_i32 s25, 0x168
	s_mov_b64 s[2:3], 0
.LBB93_143:                             ; =>This Inner Loop Header: Depth=1
	scratch_load_dwordx2 v[68:69], off, s24
	v_mov_b32_e32 v67, s25
	ds_read_b64 v[70:71], v67
	v_add_u32_e32 v66, -1, v66
	s_add_i32 s25, s25, 8
	s_add_i32 s24, s24, 8
	v_cmp_eq_u32_e32 vcc, 0, v66
	s_or_b64 s[2:3], vcc, s[2:3]
	s_waitcnt vmcnt(0) lgkmcnt(0)
	v_fmac_f64_e32 v[64:65], v[68:69], v[70:71]
	s_andn2_b64 exec, exec, s[2:3]
	s_cbranch_execnz .LBB93_143
; %bb.144:
	s_or_b64 exec, exec, s[2:3]
.LBB93_145:
	s_or_b64 exec, exec, s[8:9]
	v_mov_b32_e32 v66, 0
	ds_read_b64 v[66:67], v66 offset:112
	s_waitcnt lgkmcnt(0)
	v_mul_f64 v[64:65], v[64:65], v[66:67]
	scratch_store_dwordx2 off, v[64:65], off offset:112
.LBB93_146:
	;; [unrolled: 53-line block ×15, first 2 shown]
	s_or_b64 exec, exec, s[4:5]
	scratch_load_dwordx2 v[64:65], off, off
	v_cmp_ne_u32_e32 vcc, 0, v0
	s_waitcnt vmcnt(0)
	ds_write_b64 v1, v[64:65]
	s_waitcnt lgkmcnt(0)
	; wave barrier
	s_and_saveexec_b64 s[0:1], vcc
	s_cbranch_execz .LBB93_286
; %bb.277:
	s_andn2_b64 vcc, exec, s[6:7]
	s_cbranch_vccnz .LBB93_279
; %bb.278:
	scratch_load_dwordx2 v[64:65], v19, off
	ds_read_b64 v[66:67], v1
	s_waitcnt vmcnt(0) lgkmcnt(0)
	v_mul_f64 v[64:65], v[64:65], v[66:67]
	s_cbranch_execz .LBB93_280
	s_branch .LBB93_281
.LBB93_279:
                                        ; implicit-def: $vgpr64_vgpr65
.LBB93_280:
	ds_read_b64 v[64:65], v1
.LBB93_281:
	s_and_saveexec_b64 s[4:5], s[2:3]
	s_cbranch_execz .LBB93_285
; %bb.282:
	v_add_u32_e32 v66, -1, v0
	s_movk_i32 s8, 0xf8
	s_mov_b64 s[2:3], 0
.LBB93_283:                             ; =>This Inner Loop Header: Depth=1
	scratch_load_dwordx2 v[68:69], off, s10
	v_mov_b32_e32 v67, s8
	ds_read_b64 v[70:71], v67
	v_add_u32_e32 v66, -1, v66
	s_add_i32 s8, s8, 8
	s_add_i32 s10, s10, 8
	v_cmp_eq_u32_e32 vcc, 0, v66
	s_or_b64 s[2:3], vcc, s[2:3]
	s_waitcnt vmcnt(0) lgkmcnt(0)
	v_fmac_f64_e32 v[64:65], v[68:69], v[70:71]
	s_andn2_b64 exec, exec, s[2:3]
	s_cbranch_execnz .LBB93_283
; %bb.284:
	s_or_b64 exec, exec, s[2:3]
.LBB93_285:
	s_or_b64 exec, exec, s[4:5]
	v_mov_b32_e32 v66, 0
	ds_read_b64 v[66:67], v66
	s_waitcnt lgkmcnt(0)
	v_mul_f64 v[64:65], v[64:65], v[66:67]
	scratch_store_dwordx2 off, v[64:65], off
.LBB93_286:
	s_or_b64 exec, exec, s[0:1]
	s_mov_b64 s[0:1], 0
.LBB93_287:
	s_and_b64 vcc, exec, s[0:1]
	s_cbranch_vccz .LBB93_569
; %bb.288:
	scratch_load_dwordx2 v[64:65], off, off offset:8
	v_cmp_eq_u32_e64 s[2:3], 0, v0
	s_waitcnt vmcnt(0)
	ds_write_b64 v1, v[64:65]
	s_waitcnt lgkmcnt(0)
	; wave barrier
	s_and_saveexec_b64 s[0:1], s[2:3]
	s_cbranch_execz .LBB93_294
; %bb.289:
	s_and_b64 vcc, exec, s[6:7]
	s_cbranch_vccz .LBB93_291
; %bb.290:
	scratch_load_dwordx2 v[64:65], v19, off
	ds_read_b64 v[66:67], v1
	s_waitcnt vmcnt(0) lgkmcnt(0)
	v_mul_f64 v[64:65], v[64:65], v[66:67]
	s_cbranch_execz .LBB93_292
	s_branch .LBB93_293
.LBB93_291:
                                        ; implicit-def: $vgpr64_vgpr65
.LBB93_292:
	ds_read_b64 v[64:65], v1
.LBB93_293:
	v_mov_b32_e32 v66, 0
	ds_read_b64 v[66:67], v66 offset:8
	s_waitcnt lgkmcnt(0)
	v_mul_f64 v[64:65], v[64:65], v[66:67]
	scratch_store_dwordx2 off, v[64:65], off offset:8
.LBB93_294:
	s_or_b64 exec, exec, s[0:1]
	scratch_load_dwordx2 v[64:65], off, off offset:16
	v_cndmask_b32_e64 v66, 0, 1, s[6:7]
	v_cmp_gt_u32_e32 vcc, 2, v0
	v_cmp_ne_u32_e64 s[0:1], 1, v66
	s_waitcnt vmcnt(0)
	ds_write_b64 v1, v[64:65]
	s_waitcnt lgkmcnt(0)
	; wave barrier
	s_and_saveexec_b64 s[4:5], vcc
	s_cbranch_execz .LBB93_300
; %bb.295:
	s_and_b64 vcc, exec, s[0:1]
	s_cbranch_vccnz .LBB93_297
; %bb.296:
	scratch_load_dwordx2 v[64:65], v19, off
	ds_read_b64 v[66:67], v1
	s_waitcnt vmcnt(0) lgkmcnt(0)
	v_mul_f64 v[64:65], v[64:65], v[66:67]
	s_cbranch_execz .LBB93_298
	s_branch .LBB93_299
.LBB93_297:
                                        ; implicit-def: $vgpr64_vgpr65
.LBB93_298:
	ds_read_b64 v[64:65], v1
.LBB93_299:
	scratch_load_dwordx2 v[70:71], off, off offset:8
	v_mov_b32_e32 v66, 0
	ds_read2_b64 v[66:69], v66 offset0:2 offset1:31
	s_waitcnt vmcnt(0) lgkmcnt(0)
	v_fma_f64 v[68:69], v[70:71], v[68:69], v[64:65]
	v_cndmask_b32_e64 v65, v65, v69, s[2:3]
	v_cndmask_b32_e64 v64, v64, v68, s[2:3]
	v_mul_f64 v[64:65], v[64:65], v[66:67]
	scratch_store_dwordx2 off, v[64:65], off offset:16
.LBB93_300:
	s_or_b64 exec, exec, s[4:5]
	scratch_load_dwordx2 v[64:65], off, off offset:24
	v_cmp_gt_u32_e32 vcc, 3, v0
	s_waitcnt vmcnt(0)
	ds_write_b64 v1, v[64:65]
	s_waitcnt lgkmcnt(0)
	; wave barrier
	s_and_saveexec_b64 s[4:5], vcc
	s_cbranch_execz .LBB93_308
; %bb.301:
	s_and_b64 vcc, exec, s[0:1]
	s_cbranch_vccnz .LBB93_303
; %bb.302:
	scratch_load_dwordx2 v[64:65], v19, off
	ds_read_b64 v[66:67], v1
	s_waitcnt vmcnt(0) lgkmcnt(0)
	v_mul_f64 v[64:65], v[64:65], v[66:67]
	s_cbranch_execz .LBB93_304
	s_branch .LBB93_305
.LBB93_303:
                                        ; implicit-def: $vgpr64_vgpr65
.LBB93_304:
	ds_read_b64 v[64:65], v1
.LBB93_305:
	v_cmp_ne_u32_e32 vcc, 2, v0
	s_and_saveexec_b64 s[6:7], vcc
	s_cbranch_execz .LBB93_307
; %bb.306:
	scratch_load_dwordx2 v[66:67], v19, off offset:8
	scratch_load_dwordx2 v[68:69], off, off offset:16
	ds_read_b64 v[70:71], v1 offset:8
	v_mov_b32_e32 v72, 0
	ds_read_b64 v[72:73], v72 offset:256
	s_waitcnt vmcnt(1) lgkmcnt(1)
	v_fmac_f64_e32 v[64:65], v[66:67], v[70:71]
	s_waitcnt vmcnt(0) lgkmcnt(0)
	v_fma_f64 v[66:67], v[68:69], v[72:73], v[64:65]
	v_cndmask_b32_e64 v65, v65, v67, s[2:3]
	v_cndmask_b32_e64 v64, v64, v66, s[2:3]
.LBB93_307:
	s_or_b64 exec, exec, s[6:7]
	v_mov_b32_e32 v66, 0
	ds_read_b64 v[66:67], v66 offset:24
	s_waitcnt lgkmcnt(0)
	v_mul_f64 v[64:65], v[64:65], v[66:67]
	scratch_store_dwordx2 off, v[64:65], off offset:24
.LBB93_308:
	s_or_b64 exec, exec, s[4:5]
	scratch_load_dwordx2 v[64:65], off, off offset:32
	v_cmp_gt_u32_e32 vcc, 4, v0
	s_waitcnt vmcnt(0)
	ds_write_b64 v1, v[64:65]
	s_waitcnt lgkmcnt(0)
	; wave barrier
	s_and_saveexec_b64 s[2:3], vcc
	s_cbranch_execz .LBB93_318
; %bb.309:
	s_and_b64 vcc, exec, s[0:1]
	s_cbranch_vccnz .LBB93_311
; %bb.310:
	scratch_load_dwordx2 v[64:65], v19, off
	ds_read_b64 v[66:67], v1
	s_waitcnt vmcnt(0) lgkmcnt(0)
	v_mul_f64 v[64:65], v[64:65], v[66:67]
	s_cbranch_execz .LBB93_312
	s_branch .LBB93_313
.LBB93_311:
                                        ; implicit-def: $vgpr64_vgpr65
.LBB93_312:
	ds_read_b64 v[64:65], v1
.LBB93_313:
	v_cmp_ne_u32_e32 vcc, 3, v0
	s_and_saveexec_b64 s[4:5], vcc
	s_cbranch_execz .LBB93_317
; %bb.314:
	s_mov_b32 s6, 0
	v_add_u32_e32 v66, 0xf8, v18
	v_add3_u32 v67, v18, s6, 8
	s_mov_b64 s[6:7], 0
	v_mov_b32_e32 v68, v0
.LBB93_315:                             ; =>This Inner Loop Header: Depth=1
	scratch_load_dwordx2 v[70:71], v67, off
	ds_read_b64 v[72:73], v66
	v_add_u32_e32 v68, 1, v68
	v_cmp_lt_u32_e32 vcc, 2, v68
	v_add_u32_e32 v66, 8, v66
	v_add_u32_e32 v67, 8, v67
	s_or_b64 s[6:7], vcc, s[6:7]
	s_waitcnt vmcnt(0) lgkmcnt(0)
	v_fmac_f64_e32 v[64:65], v[70:71], v[72:73]
	s_andn2_b64 exec, exec, s[6:7]
	s_cbranch_execnz .LBB93_315
; %bb.316:
	s_or_b64 exec, exec, s[6:7]
.LBB93_317:
	s_or_b64 exec, exec, s[4:5]
	v_mov_b32_e32 v66, 0
	ds_read_b64 v[66:67], v66 offset:32
	s_waitcnt lgkmcnt(0)
	v_mul_f64 v[64:65], v[64:65], v[66:67]
	scratch_store_dwordx2 off, v[64:65], off offset:32
.LBB93_318:
	s_or_b64 exec, exec, s[2:3]
	scratch_load_dwordx2 v[64:65], off, off offset:40
	v_cmp_gt_u32_e32 vcc, 5, v0
	s_waitcnt vmcnt(0)
	ds_write_b64 v1, v[64:65]
	s_waitcnt lgkmcnt(0)
	; wave barrier
	s_and_saveexec_b64 s[2:3], vcc
	s_cbranch_execz .LBB93_328
; %bb.319:
	s_and_b64 vcc, exec, s[0:1]
	s_cbranch_vccnz .LBB93_321
; %bb.320:
	scratch_load_dwordx2 v[64:65], v19, off
	ds_read_b64 v[66:67], v1
	s_waitcnt vmcnt(0) lgkmcnt(0)
	v_mul_f64 v[64:65], v[64:65], v[66:67]
	s_cbranch_execz .LBB93_322
	s_branch .LBB93_323
.LBB93_321:
                                        ; implicit-def: $vgpr64_vgpr65
.LBB93_322:
	ds_read_b64 v[64:65], v1
.LBB93_323:
	v_cmp_ne_u32_e32 vcc, 4, v0
	s_and_saveexec_b64 s[4:5], vcc
	s_cbranch_execz .LBB93_327
; %bb.324:
	s_mov_b32 s6, 0
	v_add_u32_e32 v66, 0xf8, v18
	v_add3_u32 v67, v18, s6, 8
	s_mov_b64 s[6:7], 0
	v_mov_b32_e32 v68, v0
.LBB93_325:                             ; =>This Inner Loop Header: Depth=1
	scratch_load_dwordx2 v[70:71], v67, off
	ds_read_b64 v[72:73], v66
	v_add_u32_e32 v68, 1, v68
	v_cmp_lt_u32_e32 vcc, 3, v68
	v_add_u32_e32 v66, 8, v66
	v_add_u32_e32 v67, 8, v67
	s_or_b64 s[6:7], vcc, s[6:7]
	s_waitcnt vmcnt(0) lgkmcnt(0)
	v_fmac_f64_e32 v[64:65], v[70:71], v[72:73]
	s_andn2_b64 exec, exec, s[6:7]
	s_cbranch_execnz .LBB93_325
; %bb.326:
	s_or_b64 exec, exec, s[6:7]
.LBB93_327:
	s_or_b64 exec, exec, s[4:5]
	v_mov_b32_e32 v66, 0
	ds_read_b64 v[66:67], v66 offset:40
	s_waitcnt lgkmcnt(0)
	v_mul_f64 v[64:65], v[64:65], v[66:67]
	scratch_store_dwordx2 off, v[64:65], off offset:40
.LBB93_328:
	;; [unrolled: 55-line block ×24, first 2 shown]
	s_or_b64 exec, exec, s[2:3]
	scratch_load_dwordx2 v[64:65], off, off offset:224
	v_cmp_gt_u32_e64 s[2:3], 28, v0
	s_waitcnt vmcnt(0)
	ds_write_b64 v1, v[64:65]
	s_waitcnt lgkmcnt(0)
	; wave barrier
	s_and_saveexec_b64 s[4:5], s[2:3]
	s_cbranch_execz .LBB93_558
; %bb.549:
	s_and_b64 vcc, exec, s[0:1]
	s_cbranch_vccnz .LBB93_551
; %bb.550:
	scratch_load_dwordx2 v[64:65], v19, off
	ds_read_b64 v[66:67], v1
	s_waitcnt vmcnt(0) lgkmcnt(0)
	v_mul_f64 v[64:65], v[64:65], v[66:67]
	s_cbranch_execz .LBB93_552
	s_branch .LBB93_553
.LBB93_551:
                                        ; implicit-def: $vgpr64_vgpr65
.LBB93_552:
	ds_read_b64 v[64:65], v1
.LBB93_553:
	v_cmp_ne_u32_e32 vcc, 27, v0
	s_and_saveexec_b64 s[6:7], vcc
	s_cbranch_execz .LBB93_557
; %bb.554:
	s_mov_b32 s8, 0
	v_add_u32_e32 v66, 0xf8, v18
	v_add3_u32 v67, v18, s8, 8
	s_mov_b64 s[8:9], 0
	v_mov_b32_e32 v68, v0
.LBB93_555:                             ; =>This Inner Loop Header: Depth=1
	scratch_load_dwordx2 v[70:71], v67, off
	ds_read_b64 v[72:73], v66
	v_add_u32_e32 v68, 1, v68
	v_cmp_lt_u32_e32 vcc, 26, v68
	v_add_u32_e32 v66, 8, v66
	v_add_u32_e32 v67, 8, v67
	s_or_b64 s[8:9], vcc, s[8:9]
	s_waitcnt vmcnt(0) lgkmcnt(0)
	v_fmac_f64_e32 v[64:65], v[70:71], v[72:73]
	s_andn2_b64 exec, exec, s[8:9]
	s_cbranch_execnz .LBB93_555
; %bb.556:
	s_or_b64 exec, exec, s[8:9]
.LBB93_557:
	s_or_b64 exec, exec, s[6:7]
	v_mov_b32_e32 v66, 0
	ds_read_b64 v[66:67], v66 offset:224
	s_waitcnt lgkmcnt(0)
	v_mul_f64 v[64:65], v[64:65], v[66:67]
	scratch_store_dwordx2 off, v[64:65], off offset:224
.LBB93_558:
	s_or_b64 exec, exec, s[4:5]
	scratch_load_dwordx2 v[64:65], off, off offset:232
	v_cmp_ne_u32_e32 vcc, 29, v0
	s_waitcnt vmcnt(0)
	ds_write_b64 v1, v[64:65]
	s_waitcnt lgkmcnt(0)
	; wave barrier
	s_and_saveexec_b64 s[4:5], vcc
	s_cbranch_execz .LBB93_568
; %bb.559:
	s_and_b64 vcc, exec, s[0:1]
	s_cbranch_vccnz .LBB93_561
; %bb.560:
	scratch_load_dwordx2 v[64:65], v19, off
	ds_read_b64 v[66:67], v1
	s_waitcnt vmcnt(0) lgkmcnt(0)
	v_mul_f64 v[64:65], v[64:65], v[66:67]
	s_cbranch_execz .LBB93_562
	s_branch .LBB93_563
.LBB93_561:
                                        ; implicit-def: $vgpr64_vgpr65
.LBB93_562:
	ds_read_b64 v[64:65], v1
.LBB93_563:
	s_and_saveexec_b64 s[0:1], s[2:3]
	s_cbranch_execz .LBB93_567
; %bb.564:
	s_mov_b32 s2, 0
	v_add_u32_e32 v1, 0xf8, v18
	v_add3_u32 v18, v18, s2, 8
	s_mov_b64 s[2:3], 0
.LBB93_565:                             ; =>This Inner Loop Header: Depth=1
	scratch_load_dwordx2 v[66:67], v18, off
	ds_read_b64 v[68:69], v1
	v_add_u32_e32 v0, 1, v0
	v_cmp_lt_u32_e32 vcc, 27, v0
	v_add_u32_e32 v1, 8, v1
	v_add_u32_e32 v18, 8, v18
	s_or_b64 s[2:3], vcc, s[2:3]
	s_waitcnt vmcnt(0) lgkmcnt(0)
	v_fmac_f64_e32 v[64:65], v[66:67], v[68:69]
	s_andn2_b64 exec, exec, s[2:3]
	s_cbranch_execnz .LBB93_565
; %bb.566:
	s_or_b64 exec, exec, s[2:3]
.LBB93_567:
	s_or_b64 exec, exec, s[0:1]
	v_mov_b32_e32 v0, 0
	ds_read_b64 v[0:1], v0 offset:232
	s_waitcnt lgkmcnt(0)
	v_mul_f64 v[0:1], v[64:65], v[0:1]
	scratch_store_dwordx2 off, v[0:1], off offset:232
.LBB93_568:
	s_or_b64 exec, exec, s[4:5]
.LBB93_569:
	scratch_load_dwordx2 v[0:1], off, off
	s_waitcnt vmcnt(0)
	flat_store_dwordx2 v[2:3], v[0:1]
	scratch_load_dwordx2 v[0:1], off, off offset:8
	s_waitcnt vmcnt(0)
	flat_store_dwordx2 v[4:5], v[0:1]
	scratch_load_dwordx2 v[0:1], off, off offset:16
	;; [unrolled: 3-line block ×29, first 2 shown]
	s_waitcnt vmcnt(0)
	flat_store_dwordx2 v[62:63], v[0:1]
.LBB93_570:
	s_endpgm
	.section	.rodata,"a",@progbits
	.p2align	6, 0x0
	.amdhsa_kernel _ZN9rocsolver6v33100L18trti2_kernel_smallILi30EdPKPdEEv13rocblas_fill_17rocblas_diagonal_T1_iil
		.amdhsa_group_segment_fixed_size 480
		.amdhsa_private_segment_fixed_size 256
		.amdhsa_kernarg_size 32
		.amdhsa_user_sgpr_count 2
		.amdhsa_user_sgpr_dispatch_ptr 0
		.amdhsa_user_sgpr_queue_ptr 0
		.amdhsa_user_sgpr_kernarg_segment_ptr 1
		.amdhsa_user_sgpr_dispatch_id 0
		.amdhsa_user_sgpr_kernarg_preload_length 0
		.amdhsa_user_sgpr_kernarg_preload_offset 0
		.amdhsa_user_sgpr_private_segment_size 0
		.amdhsa_uses_dynamic_stack 0
		.amdhsa_enable_private_segment 1
		.amdhsa_system_sgpr_workgroup_id_x 1
		.amdhsa_system_sgpr_workgroup_id_y 0
		.amdhsa_system_sgpr_workgroup_id_z 0
		.amdhsa_system_sgpr_workgroup_info 0
		.amdhsa_system_vgpr_workitem_id 0
		.amdhsa_next_free_vgpr 74
		.amdhsa_next_free_sgpr 39
		.amdhsa_accum_offset 76
		.amdhsa_reserve_vcc 1
		.amdhsa_float_round_mode_32 0
		.amdhsa_float_round_mode_16_64 0
		.amdhsa_float_denorm_mode_32 3
		.amdhsa_float_denorm_mode_16_64 3
		.amdhsa_dx10_clamp 1
		.amdhsa_ieee_mode 1
		.amdhsa_fp16_overflow 0
		.amdhsa_tg_split 0
		.amdhsa_exception_fp_ieee_invalid_op 0
		.amdhsa_exception_fp_denorm_src 0
		.amdhsa_exception_fp_ieee_div_zero 0
		.amdhsa_exception_fp_ieee_overflow 0
		.amdhsa_exception_fp_ieee_underflow 0
		.amdhsa_exception_fp_ieee_inexact 0
		.amdhsa_exception_int_div_zero 0
	.end_amdhsa_kernel
	.section	.text._ZN9rocsolver6v33100L18trti2_kernel_smallILi30EdPKPdEEv13rocblas_fill_17rocblas_diagonal_T1_iil,"axG",@progbits,_ZN9rocsolver6v33100L18trti2_kernel_smallILi30EdPKPdEEv13rocblas_fill_17rocblas_diagonal_T1_iil,comdat
.Lfunc_end93:
	.size	_ZN9rocsolver6v33100L18trti2_kernel_smallILi30EdPKPdEEv13rocblas_fill_17rocblas_diagonal_T1_iil, .Lfunc_end93-_ZN9rocsolver6v33100L18trti2_kernel_smallILi30EdPKPdEEv13rocblas_fill_17rocblas_diagonal_T1_iil
                                        ; -- End function
	.set _ZN9rocsolver6v33100L18trti2_kernel_smallILi30EdPKPdEEv13rocblas_fill_17rocblas_diagonal_T1_iil.num_vgpr, 74
	.set _ZN9rocsolver6v33100L18trti2_kernel_smallILi30EdPKPdEEv13rocblas_fill_17rocblas_diagonal_T1_iil.num_agpr, 0
	.set _ZN9rocsolver6v33100L18trti2_kernel_smallILi30EdPKPdEEv13rocblas_fill_17rocblas_diagonal_T1_iil.numbered_sgpr, 39
	.set _ZN9rocsolver6v33100L18trti2_kernel_smallILi30EdPKPdEEv13rocblas_fill_17rocblas_diagonal_T1_iil.num_named_barrier, 0
	.set _ZN9rocsolver6v33100L18trti2_kernel_smallILi30EdPKPdEEv13rocblas_fill_17rocblas_diagonal_T1_iil.private_seg_size, 256
	.set _ZN9rocsolver6v33100L18trti2_kernel_smallILi30EdPKPdEEv13rocblas_fill_17rocblas_diagonal_T1_iil.uses_vcc, 1
	.set _ZN9rocsolver6v33100L18trti2_kernel_smallILi30EdPKPdEEv13rocblas_fill_17rocblas_diagonal_T1_iil.uses_flat_scratch, 0
	.set _ZN9rocsolver6v33100L18trti2_kernel_smallILi30EdPKPdEEv13rocblas_fill_17rocblas_diagonal_T1_iil.has_dyn_sized_stack, 0
	.set _ZN9rocsolver6v33100L18trti2_kernel_smallILi30EdPKPdEEv13rocblas_fill_17rocblas_diagonal_T1_iil.has_recursion, 0
	.set _ZN9rocsolver6v33100L18trti2_kernel_smallILi30EdPKPdEEv13rocblas_fill_17rocblas_diagonal_T1_iil.has_indirect_call, 0
	.section	.AMDGPU.csdata,"",@progbits
; Kernel info:
; codeLenInByte = 14392
; TotalNumSgprs: 45
; NumVgprs: 74
; NumAgprs: 0
; TotalNumVgprs: 74
; ScratchSize: 256
; MemoryBound: 0
; FloatMode: 240
; IeeeMode: 1
; LDSByteSize: 480 bytes/workgroup (compile time only)
; SGPRBlocks: 5
; VGPRBlocks: 9
; NumSGPRsForWavesPerEU: 45
; NumVGPRsForWavesPerEU: 74
; AccumOffset: 76
; Occupancy: 6
; WaveLimiterHint : 1
; COMPUTE_PGM_RSRC2:SCRATCH_EN: 1
; COMPUTE_PGM_RSRC2:USER_SGPR: 2
; COMPUTE_PGM_RSRC2:TRAP_HANDLER: 0
; COMPUTE_PGM_RSRC2:TGID_X_EN: 1
; COMPUTE_PGM_RSRC2:TGID_Y_EN: 0
; COMPUTE_PGM_RSRC2:TGID_Z_EN: 0
; COMPUTE_PGM_RSRC2:TIDIG_COMP_CNT: 0
; COMPUTE_PGM_RSRC3_GFX90A:ACCUM_OFFSET: 18
; COMPUTE_PGM_RSRC3_GFX90A:TG_SPLIT: 0
	.section	.text._ZN9rocsolver6v33100L18trti2_kernel_smallILi31EdPKPdEEv13rocblas_fill_17rocblas_diagonal_T1_iil,"axG",@progbits,_ZN9rocsolver6v33100L18trti2_kernel_smallILi31EdPKPdEEv13rocblas_fill_17rocblas_diagonal_T1_iil,comdat
	.globl	_ZN9rocsolver6v33100L18trti2_kernel_smallILi31EdPKPdEEv13rocblas_fill_17rocblas_diagonal_T1_iil ; -- Begin function _ZN9rocsolver6v33100L18trti2_kernel_smallILi31EdPKPdEEv13rocblas_fill_17rocblas_diagonal_T1_iil
	.p2align	8
	.type	_ZN9rocsolver6v33100L18trti2_kernel_smallILi31EdPKPdEEv13rocblas_fill_17rocblas_diagonal_T1_iil,@function
_ZN9rocsolver6v33100L18trti2_kernel_smallILi31EdPKPdEEv13rocblas_fill_17rocblas_diagonal_T1_iil: ; @_ZN9rocsolver6v33100L18trti2_kernel_smallILi31EdPKPdEEv13rocblas_fill_17rocblas_diagonal_T1_iil
; %bb.0:
	v_cmp_gt_u32_e32 vcc, 31, v0
	s_and_saveexec_b64 s[4:5], vcc
	s_cbranch_execz .LBB94_590
; %bb.1:
	s_load_dwordx2 s[8:9], s[0:1], 0x10
	s_load_dwordx4 s[4:7], s[0:1], 0x0
	s_ashr_i32 s3, s2, 31
	s_lshl_b64 s[0:1], s[2:3], 3
	v_lshlrev_b32_e32 v18, 3, v0
	s_waitcnt lgkmcnt(0)
	s_ashr_i32 s3, s8, 31
	s_add_u32 s0, s6, s0
	s_addc_u32 s1, s7, s1
	s_load_dwordx2 s[0:1], s[0:1], 0x0
	s_mov_b32 s2, s8
	s_lshl_b64 s[2:3], s[2:3], 3
	v_mov_b32_e32 v19, 0
	s_waitcnt lgkmcnt(0)
	s_add_u32 s0, s0, s2
	s_addc_u32 s1, s1, s3
	v_lshl_add_u64 v[2:3], s[0:1], 0, v[18:19]
	flat_load_dwordx2 v[6:7], v[2:3]
	s_mov_b32 s2, s9
	s_ashr_i32 s3, s9, 31
	v_lshl_add_u64 v[4:5], s[2:3], 3, v[2:3]
	s_add_i32 s2, s9, s9
	v_add_u32_e32 v10, s2, v0
	v_ashrrev_i32_e32 v11, 31, v10
	s_cmpk_lg_i32 s5, 0x84
	s_cselect_b64 s[6:7], -1, 0
	s_cmpk_eq_i32 s5, 0x84
	s_waitcnt vmcnt(0) lgkmcnt(0)
	scratch_store_dwordx2 off, v[6:7], off
	flat_load_dwordx2 v[8:9], v[4:5]
	v_lshl_add_u64 v[6:7], v[10:11], 3, s[0:1]
	v_add_u32_e32 v10, s9, v10
	v_ashrrev_i32_e32 v11, 31, v10
	v_add_u32_e32 v14, s9, v10
	v_ashrrev_i32_e32 v15, 31, v14
	s_waitcnt vmcnt(0) lgkmcnt(0)
	scratch_store_dwordx2 off, v[8:9], off offset:8
	flat_load_dwordx2 v[12:13], v[6:7]
	v_lshl_add_u64 v[8:9], v[10:11], 3, s[0:1]
	v_lshl_add_u64 v[10:11], v[14:15], 3, s[0:1]
	v_add_u32_e32 v14, s9, v14
	v_ashrrev_i32_e32 v15, 31, v14
	v_add_u32_e32 v20, s9, v14
	v_ashrrev_i32_e32 v21, 31, v20
	s_waitcnt vmcnt(0) lgkmcnt(0)
	scratch_store_dwordx2 off, v[12:13], off offset:16
	flat_load_dwordx2 v[12:13], v[8:9]
	s_waitcnt vmcnt(0) lgkmcnt(0)
	scratch_store_dwordx2 off, v[12:13], off offset:24
	flat_load_dwordx2 v[16:17], v[10:11]
	v_lshl_add_u64 v[12:13], v[14:15], 3, s[0:1]
	v_lshl_add_u64 v[14:15], v[20:21], 3, s[0:1]
	v_add_u32_e32 v20, s9, v20
	v_ashrrev_i32_e32 v21, 31, v20
	v_add_u32_e32 v24, s9, v20
	v_ashrrev_i32_e32 v25, 31, v24
	s_waitcnt vmcnt(0) lgkmcnt(0)
	scratch_store_dwordx2 off, v[16:17], off offset:32
	flat_load_dwordx2 v[16:17], v[12:13]
	s_waitcnt vmcnt(0) lgkmcnt(0)
	scratch_store_dwordx2 off, v[16:17], off offset:40
	flat_load_dwordx2 v[22:23], v[14:15]
	v_lshl_add_u64 v[16:17], v[20:21], 3, s[0:1]
	v_lshl_add_u64 v[20:21], v[24:25], 3, s[0:1]
	v_add_u32_e32 v24, s9, v24
	v_ashrrev_i32_e32 v25, 31, v24
	v_add_u32_e32 v28, s9, v24
	v_ashrrev_i32_e32 v29, 31, v28
	s_waitcnt vmcnt(0) lgkmcnt(0)
	scratch_store_dwordx2 off, v[22:23], off offset:48
	flat_load_dwordx2 v[22:23], v[16:17]
	s_waitcnt vmcnt(0) lgkmcnt(0)
	scratch_store_dwordx2 off, v[22:23], off offset:56
	flat_load_dwordx2 v[26:27], v[20:21]
	v_lshl_add_u64 v[22:23], v[24:25], 3, s[0:1]
	v_lshl_add_u64 v[24:25], v[28:29], 3, s[0:1]
	v_add_u32_e32 v28, s9, v28
	v_ashrrev_i32_e32 v29, 31, v28
	v_add_u32_e32 v32, s9, v28
	v_ashrrev_i32_e32 v33, 31, v32
	s_waitcnt vmcnt(0) lgkmcnt(0)
	scratch_store_dwordx2 off, v[26:27], off offset:64
	flat_load_dwordx2 v[26:27], v[22:23]
	s_waitcnt vmcnt(0) lgkmcnt(0)
	scratch_store_dwordx2 off, v[26:27], off offset:72
	flat_load_dwordx2 v[30:31], v[24:25]
	v_lshl_add_u64 v[26:27], v[28:29], 3, s[0:1]
	v_lshl_add_u64 v[28:29], v[32:33], 3, s[0:1]
	v_add_u32_e32 v32, s9, v32
	v_ashrrev_i32_e32 v33, 31, v32
	v_add_u32_e32 v36, s9, v32
	v_ashrrev_i32_e32 v37, 31, v36
	s_waitcnt vmcnt(0) lgkmcnt(0)
	scratch_store_dwordx2 off, v[30:31], off offset:80
	flat_load_dwordx2 v[30:31], v[26:27]
	s_waitcnt vmcnt(0) lgkmcnt(0)
	scratch_store_dwordx2 off, v[30:31], off offset:88
	flat_load_dwordx2 v[34:35], v[28:29]
	v_lshl_add_u64 v[30:31], v[32:33], 3, s[0:1]
	v_lshl_add_u64 v[32:33], v[36:37], 3, s[0:1]
	v_add_u32_e32 v36, s9, v36
	v_ashrrev_i32_e32 v37, 31, v36
	v_add_u32_e32 v40, s9, v36
	v_ashrrev_i32_e32 v41, 31, v40
	s_waitcnt vmcnt(0) lgkmcnt(0)
	scratch_store_dwordx2 off, v[34:35], off offset:96
	flat_load_dwordx2 v[34:35], v[30:31]
	s_waitcnt vmcnt(0) lgkmcnt(0)
	scratch_store_dwordx2 off, v[34:35], off offset:104
	flat_load_dwordx2 v[38:39], v[32:33]
	v_lshl_add_u64 v[34:35], v[36:37], 3, s[0:1]
	v_lshl_add_u64 v[36:37], v[40:41], 3, s[0:1]
	v_add_u32_e32 v40, s9, v40
	v_ashrrev_i32_e32 v41, 31, v40
	v_add_u32_e32 v44, s9, v40
	v_ashrrev_i32_e32 v45, 31, v44
	s_waitcnt vmcnt(0) lgkmcnt(0)
	scratch_store_dwordx2 off, v[38:39], off offset:112
	flat_load_dwordx2 v[38:39], v[34:35]
	s_waitcnt vmcnt(0) lgkmcnt(0)
	scratch_store_dwordx2 off, v[38:39], off offset:120
	flat_load_dwordx2 v[42:43], v[36:37]
	v_lshl_add_u64 v[38:39], v[40:41], 3, s[0:1]
	v_lshl_add_u64 v[40:41], v[44:45], 3, s[0:1]
	v_add_u32_e32 v44, s9, v44
	v_ashrrev_i32_e32 v45, 31, v44
	v_add_u32_e32 v48, s9, v44
	v_ashrrev_i32_e32 v49, 31, v48
	s_waitcnt vmcnt(0) lgkmcnt(0)
	scratch_store_dwordx2 off, v[42:43], off offset:128
	flat_load_dwordx2 v[42:43], v[38:39]
	s_waitcnt vmcnt(0) lgkmcnt(0)
	scratch_store_dwordx2 off, v[42:43], off offset:136
	flat_load_dwordx2 v[46:47], v[40:41]
	v_lshl_add_u64 v[42:43], v[44:45], 3, s[0:1]
	v_lshl_add_u64 v[44:45], v[48:49], 3, s[0:1]
	v_add_u32_e32 v48, s9, v48
	v_ashrrev_i32_e32 v49, 31, v48
	v_add_u32_e32 v52, s9, v48
	v_ashrrev_i32_e32 v53, 31, v52
	s_waitcnt vmcnt(0) lgkmcnt(0)
	scratch_store_dwordx2 off, v[46:47], off offset:144
	flat_load_dwordx2 v[46:47], v[42:43]
	s_waitcnt vmcnt(0) lgkmcnt(0)
	scratch_store_dwordx2 off, v[46:47], off offset:152
	flat_load_dwordx2 v[50:51], v[44:45]
	v_lshl_add_u64 v[46:47], v[48:49], 3, s[0:1]
	v_lshl_add_u64 v[48:49], v[52:53], 3, s[0:1]
	v_add_u32_e32 v52, s9, v52
	v_ashrrev_i32_e32 v53, 31, v52
	v_add_u32_e32 v56, s9, v52
	v_ashrrev_i32_e32 v57, 31, v56
	s_waitcnt vmcnt(0) lgkmcnt(0)
	scratch_store_dwordx2 off, v[50:51], off offset:160
	flat_load_dwordx2 v[50:51], v[46:47]
	s_waitcnt vmcnt(0) lgkmcnt(0)
	scratch_store_dwordx2 off, v[50:51], off offset:168
	flat_load_dwordx2 v[54:55], v[48:49]
	v_lshl_add_u64 v[50:51], v[52:53], 3, s[0:1]
	v_lshl_add_u64 v[52:53], v[56:57], 3, s[0:1]
	v_add_u32_e32 v56, s9, v56
	v_ashrrev_i32_e32 v57, 31, v56
	v_add_u32_e32 v60, s9, v56
	v_ashrrev_i32_e32 v61, 31, v60
	s_waitcnt vmcnt(0) lgkmcnt(0)
	scratch_store_dwordx2 off, v[54:55], off offset:176
	flat_load_dwordx2 v[54:55], v[50:51]
	s_waitcnt vmcnt(0) lgkmcnt(0)
	scratch_store_dwordx2 off, v[54:55], off offset:184
	flat_load_dwordx2 v[58:59], v[52:53]
	v_lshl_add_u64 v[54:55], v[56:57], 3, s[0:1]
	v_lshl_add_u64 v[56:57], v[60:61], 3, s[0:1]
	v_add_u32_e32 v60, s9, v60
	v_ashrrev_i32_e32 v61, 31, v60
	v_add_u32_e32 v64, s9, v60
	v_ashrrev_i32_e32 v65, 31, v64
	s_waitcnt vmcnt(0) lgkmcnt(0)
	scratch_store_dwordx2 off, v[58:59], off offset:192
	flat_load_dwordx2 v[58:59], v[54:55]
	s_waitcnt vmcnt(0) lgkmcnt(0)
	scratch_store_dwordx2 off, v[58:59], off offset:200
	flat_load_dwordx2 v[62:63], v[56:57]
	v_lshl_add_u64 v[58:59], v[60:61], 3, s[0:1]
	v_lshl_add_u64 v[60:61], v[64:65], 3, s[0:1]
	v_add_u32_e32 v64, s9, v64
	v_ashrrev_i32_e32 v65, 31, v64
	s_waitcnt vmcnt(0) lgkmcnt(0)
	scratch_store_dwordx2 off, v[62:63], off offset:208
	flat_load_dwordx2 v[62:63], v[58:59]
	s_waitcnt vmcnt(0) lgkmcnt(0)
	scratch_store_dwordx2 off, v[62:63], off offset:216
	flat_load_dwordx2 v[66:67], v[60:61]
	v_lshl_add_u64 v[62:63], v[64:65], 3, s[0:1]
	v_add_u32_e32 v64, s9, v64
	v_ashrrev_i32_e32 v65, 31, v64
	v_lshl_add_u64 v[64:65], v[64:65], 3, s[0:1]
	s_waitcnt vmcnt(0) lgkmcnt(0)
	scratch_store_dwordx2 off, v[66:67], off offset:224
	flat_load_dwordx2 v[66:67], v[62:63]
	s_waitcnt vmcnt(0) lgkmcnt(0)
	scratch_store_dwordx2 off, v[66:67], off offset:232
	flat_load_dwordx2 v[66:67], v[64:65]
	s_waitcnt vmcnt(0) lgkmcnt(0)
	scratch_store_dwordx2 off, v[66:67], off offset:240
	v_mov_b64_e32 v[66:67], -1.0
	s_cbranch_scc1 .LBB94_3
; %bb.2:
	scratch_load_dwordx2 v[66:67], v18, off
	s_waitcnt vmcnt(0)
	v_div_scale_f64 v[68:69], s[0:1], v[66:67], v[66:67], 1.0
	v_rcp_f64_e32 v[70:71], v[68:69]
	v_div_scale_f64 v[72:73], vcc, 1.0, v[66:67], 1.0
	v_fma_f64 v[74:75], -v[68:69], v[70:71], 1.0
	v_fmac_f64_e32 v[70:71], v[70:71], v[74:75]
	v_fma_f64 v[74:75], -v[68:69], v[70:71], 1.0
	v_fmac_f64_e32 v[70:71], v[70:71], v[74:75]
	v_mul_f64 v[74:75], v[72:73], v[70:71]
	v_fma_f64 v[68:69], -v[68:69], v[74:75], v[72:73]
	v_div_fmas_f64 v[68:69], v[68:69], v[70:71], v[74:75]
	v_div_fixup_f64 v[66:67], v[68:69], v[66:67], 1.0
	scratch_store_dwordx2 v18, v[66:67], off
	v_xor_b32_e32 v67, 0x80000000, v67
.LBB94_3:
	s_cmpk_eq_i32 s4, 0x79
	v_add_u32_e32 v1, 0x100, v18
	v_mov_b32_e32 v19, v18
	s_mov_b64 s[0:1], -1
	ds_write_b64 v18, v[66:67]
	s_cbranch_scc1 .LBB94_297
; %bb.4:
	scratch_load_dwordx2 v[66:67], off, off offset:232
	s_movk_i32 s8, 0x48
	s_movk_i32 s9, 0x50
	s_movk_i32 s20, 0x58
	s_movk_i32 s21, 0x60
	s_movk_i32 s22, 0x68
	s_movk_i32 s23, 0x70
	s_movk_i32 s24, 0x78
	s_movk_i32 s25, 0x80
	s_movk_i32 s26, 0x88
	s_movk_i32 s27, 0x90
	s_movk_i32 s28, 0x98
	s_movk_i32 s29, 0xa0
	s_movk_i32 s30, 0xa8
	s_movk_i32 s31, 0xb0
	s_movk_i32 s33, 0xb8
	s_movk_i32 s34, 0xc0
	s_movk_i32 s35, 0xc8
	s_movk_i32 s36, 0xd0
	s_movk_i32 s37, 0xd8
	s_movk_i32 s38, 0xe0
	v_cmp_eq_u32_e64 s[0:1], 30, v0
	s_waitcnt vmcnt(0)
	ds_write_b64 v1, v[66:67]
	s_waitcnt lgkmcnt(0)
	; wave barrier
	s_and_saveexec_b64 s[2:3], s[0:1]
	s_cbranch_execz .LBB94_10
; %bb.5:
	s_and_b64 vcc, exec, s[6:7]
	s_cbranch_vccz .LBB94_7
; %bb.6:
	scratch_load_dwordx2 v[66:67], v19, off
	ds_read_b64 v[68:69], v1
	s_waitcnt vmcnt(0) lgkmcnt(0)
	v_mul_f64 v[66:67], v[66:67], v[68:69]
	s_cbranch_execz .LBB94_8
	s_branch .LBB94_9
.LBB94_7:
                                        ; implicit-def: $vgpr66_vgpr67
.LBB94_8:
	ds_read_b64 v[66:67], v1
.LBB94_9:
	v_mov_b32_e32 v68, 0
	ds_read_b64 v[68:69], v68 offset:232
	s_waitcnt lgkmcnt(0)
	v_mul_f64 v[66:67], v[66:67], v[68:69]
	scratch_store_dwordx2 off, v[66:67], off offset:232
.LBB94_10:
	s_or_b64 exec, exec, s[2:3]
	scratch_load_dwordx2 v[66:67], off, off offset:224
	s_or_b32 s10, 0, 8
	s_mov_b32 s11, 16
	s_mov_b32 s12, 24
	;; [unrolled: 1-line block ×9, first 2 shown]
	v_cmp_lt_u32_e64 s[2:3], 28, v0
	s_waitcnt vmcnt(0)
	ds_write_b64 v1, v[66:67]
	s_waitcnt lgkmcnt(0)
	; wave barrier
	s_and_saveexec_b64 s[4:5], s[2:3]
	s_cbranch_execz .LBB94_16
; %bb.11:
	s_andn2_b64 vcc, exec, s[6:7]
	s_cbranch_vccnz .LBB94_13
; %bb.12:
	scratch_load_dwordx2 v[66:67], v19, off
	ds_read_b64 v[68:69], v1
	s_waitcnt vmcnt(0) lgkmcnt(0)
	v_mul_f64 v[66:67], v[66:67], v[68:69]
	s_cbranch_execz .LBB94_14
	s_branch .LBB94_15
.LBB94_13:
                                        ; implicit-def: $vgpr66_vgpr67
.LBB94_14:
	ds_read_b64 v[66:67], v1
.LBB94_15:
	scratch_load_dwordx2 v[72:73], off, off offset:232
	v_mov_b32_e32 v68, 0
	ds_read2_b64 v[68:71], v68 offset0:28 offset1:61
	s_waitcnt vmcnt(0) lgkmcnt(0)
	v_fma_f64 v[70:71], v[72:73], v[70:71], v[66:67]
	v_cndmask_b32_e64 v67, v67, v71, s[0:1]
	v_cndmask_b32_e64 v66, v66, v70, s[0:1]
	v_mul_f64 v[66:67], v[66:67], v[68:69]
	scratch_store_dwordx2 off, v[66:67], off offset:224
.LBB94_16:
	s_or_b64 exec, exec, s[4:5]
	scratch_load_dwordx2 v[66:67], off, off offset:216
	v_cmp_lt_u32_e64 s[0:1], 27, v0
	s_waitcnt vmcnt(0)
	ds_write_b64 v1, v[66:67]
	s_waitcnt lgkmcnt(0)
	; wave barrier
	s_and_saveexec_b64 s[4:5], s[0:1]
	s_cbranch_execz .LBB94_26
; %bb.17:
	s_andn2_b64 vcc, exec, s[6:7]
	s_cbranch_vccnz .LBB94_19
; %bb.18:
	scratch_load_dwordx2 v[66:67], v19, off
	ds_read_b64 v[68:69], v1
	s_waitcnt vmcnt(0) lgkmcnt(0)
	v_mul_f64 v[66:67], v[66:67], v[68:69]
	s_cbranch_execz .LBB94_20
	s_branch .LBB94_21
.LBB94_19:
                                        ; implicit-def: $vgpr66_vgpr67
.LBB94_20:
	ds_read_b64 v[66:67], v1
.LBB94_21:
	s_and_saveexec_b64 s[8:9], s[2:3]
	s_cbranch_execz .LBB94_25
; %bb.22:
	v_subrev_u32_e32 v68, 28, v0
	s_movk_i32 s39, 0x1e0
	s_mov_b64 s[2:3], 0
.LBB94_23:                              ; =>This Inner Loop Header: Depth=1
	scratch_load_dwordx2 v[70:71], off, s38
	v_mov_b32_e32 v69, s39
	ds_read_b64 v[72:73], v69
	v_add_u32_e32 v68, -1, v68
	s_add_i32 s39, s39, 8
	s_add_i32 s38, s38, 8
	v_cmp_eq_u32_e32 vcc, 0, v68
	s_or_b64 s[2:3], vcc, s[2:3]
	s_waitcnt vmcnt(0) lgkmcnt(0)
	v_fmac_f64_e32 v[66:67], v[70:71], v[72:73]
	s_andn2_b64 exec, exec, s[2:3]
	s_cbranch_execnz .LBB94_23
; %bb.24:
	s_or_b64 exec, exec, s[2:3]
.LBB94_25:
	s_or_b64 exec, exec, s[8:9]
	v_mov_b32_e32 v68, 0
	ds_read_b64 v[68:69], v68 offset:216
	s_waitcnt lgkmcnt(0)
	v_mul_f64 v[66:67], v[66:67], v[68:69]
	scratch_store_dwordx2 off, v[66:67], off offset:216
.LBB94_26:
	s_or_b64 exec, exec, s[4:5]
	scratch_load_dwordx2 v[66:67], off, off offset:208
	v_cmp_lt_u32_e64 s[2:3], 26, v0
	s_waitcnt vmcnt(0)
	ds_write_b64 v1, v[66:67]
	s_waitcnt lgkmcnt(0)
	; wave barrier
	s_and_saveexec_b64 s[4:5], s[2:3]
	s_cbranch_execz .LBB94_36
; %bb.27:
	s_andn2_b64 vcc, exec, s[6:7]
	s_cbranch_vccnz .LBB94_29
; %bb.28:
	scratch_load_dwordx2 v[66:67], v19, off
	ds_read_b64 v[68:69], v1
	s_waitcnt vmcnt(0) lgkmcnt(0)
	v_mul_f64 v[66:67], v[66:67], v[68:69]
	s_cbranch_execz .LBB94_30
	s_branch .LBB94_31
.LBB94_29:
                                        ; implicit-def: $vgpr66_vgpr67
.LBB94_30:
	ds_read_b64 v[66:67], v1
.LBB94_31:
	s_and_saveexec_b64 s[8:9], s[0:1]
	s_cbranch_execz .LBB94_35
; %bb.32:
	v_subrev_u32_e32 v68, 27, v0
	s_movk_i32 s38, 0x1d8
	s_mov_b64 s[0:1], 0
.LBB94_33:                              ; =>This Inner Loop Header: Depth=1
	scratch_load_dwordx2 v[70:71], off, s37
	v_mov_b32_e32 v69, s38
	ds_read_b64 v[72:73], v69
	v_add_u32_e32 v68, -1, v68
	s_add_i32 s38, s38, 8
	s_add_i32 s37, s37, 8
	v_cmp_eq_u32_e32 vcc, 0, v68
	s_or_b64 s[0:1], vcc, s[0:1]
	s_waitcnt vmcnt(0) lgkmcnt(0)
	v_fmac_f64_e32 v[66:67], v[70:71], v[72:73]
	s_andn2_b64 exec, exec, s[0:1]
	s_cbranch_execnz .LBB94_33
; %bb.34:
	s_or_b64 exec, exec, s[0:1]
.LBB94_35:
	s_or_b64 exec, exec, s[8:9]
	v_mov_b32_e32 v68, 0
	ds_read_b64 v[68:69], v68 offset:208
	s_waitcnt lgkmcnt(0)
	v_mul_f64 v[66:67], v[66:67], v[68:69]
	scratch_store_dwordx2 off, v[66:67], off offset:208
.LBB94_36:
	;; [unrolled: 53-line block ×8, first 2 shown]
	s_or_b64 exec, exec, s[4:5]
	scratch_load_dwordx2 v[66:67], off, off offset:152
	v_cmp_lt_u32_e64 s[0:1], 19, v0
	s_waitcnt vmcnt(0)
	ds_write_b64 v1, v[66:67]
	s_waitcnt lgkmcnt(0)
	; wave barrier
	s_and_saveexec_b64 s[4:5], s[0:1]
	s_cbranch_execz .LBB94_106
; %bb.97:
	s_andn2_b64 vcc, exec, s[6:7]
	s_cbranch_vccnz .LBB94_99
; %bb.98:
	scratch_load_dwordx2 v[66:67], v19, off
	ds_read_b64 v[68:69], v1
	s_waitcnt vmcnt(0) lgkmcnt(0)
	v_mul_f64 v[66:67], v[66:67], v[68:69]
	s_cbranch_execz .LBB94_100
	s_branch .LBB94_101
.LBB94_99:
                                        ; implicit-def: $vgpr66_vgpr67
.LBB94_100:
	ds_read_b64 v[66:67], v1
.LBB94_101:
	s_and_saveexec_b64 s[8:9], s[2:3]
	s_cbranch_execz .LBB94_105
; %bb.102:
	v_subrev_u32_e32 v68, 20, v0
	s_movk_i32 s30, 0x1a0
	s_mov_b64 s[2:3], 0
.LBB94_103:                             ; =>This Inner Loop Header: Depth=1
	scratch_load_dwordx2 v[70:71], off, s29
	v_mov_b32_e32 v69, s30
	ds_read_b64 v[72:73], v69
	v_add_u32_e32 v68, -1, v68
	s_add_i32 s30, s30, 8
	s_add_i32 s29, s29, 8
	v_cmp_eq_u32_e32 vcc, 0, v68
	s_or_b64 s[2:3], vcc, s[2:3]
	s_waitcnt vmcnt(0) lgkmcnt(0)
	v_fmac_f64_e32 v[66:67], v[70:71], v[72:73]
	s_andn2_b64 exec, exec, s[2:3]
	s_cbranch_execnz .LBB94_103
; %bb.104:
	s_or_b64 exec, exec, s[2:3]
.LBB94_105:
	s_or_b64 exec, exec, s[8:9]
	v_mov_b32_e32 v68, 0
	ds_read_b64 v[68:69], v68 offset:152
	s_waitcnt lgkmcnt(0)
	v_mul_f64 v[66:67], v[66:67], v[68:69]
	scratch_store_dwordx2 off, v[66:67], off offset:152
.LBB94_106:
	s_or_b64 exec, exec, s[4:5]
	scratch_load_dwordx2 v[66:67], off, off offset:144
	v_cmp_lt_u32_e64 s[2:3], 18, v0
	s_waitcnt vmcnt(0)
	ds_write_b64 v1, v[66:67]
	s_waitcnt lgkmcnt(0)
	; wave barrier
	s_and_saveexec_b64 s[4:5], s[2:3]
	s_cbranch_execz .LBB94_116
; %bb.107:
	s_andn2_b64 vcc, exec, s[6:7]
	s_cbranch_vccnz .LBB94_109
; %bb.108:
	scratch_load_dwordx2 v[66:67], v19, off
	ds_read_b64 v[68:69], v1
	s_waitcnt vmcnt(0) lgkmcnt(0)
	v_mul_f64 v[66:67], v[66:67], v[68:69]
	s_cbranch_execz .LBB94_110
	s_branch .LBB94_111
.LBB94_109:
                                        ; implicit-def: $vgpr66_vgpr67
.LBB94_110:
	ds_read_b64 v[66:67], v1
.LBB94_111:
	s_and_saveexec_b64 s[8:9], s[0:1]
	s_cbranch_execz .LBB94_115
; %bb.112:
	v_subrev_u32_e32 v68, 19, v0
	s_movk_i32 s29, 0x198
	s_mov_b64 s[0:1], 0
.LBB94_113:                             ; =>This Inner Loop Header: Depth=1
	scratch_load_dwordx2 v[70:71], off, s28
	v_mov_b32_e32 v69, s29
	ds_read_b64 v[72:73], v69
	v_add_u32_e32 v68, -1, v68
	s_add_i32 s29, s29, 8
	s_add_i32 s28, s28, 8
	v_cmp_eq_u32_e32 vcc, 0, v68
	s_or_b64 s[0:1], vcc, s[0:1]
	s_waitcnt vmcnt(0) lgkmcnt(0)
	v_fmac_f64_e32 v[66:67], v[70:71], v[72:73]
	s_andn2_b64 exec, exec, s[0:1]
	s_cbranch_execnz .LBB94_113
; %bb.114:
	s_or_b64 exec, exec, s[0:1]
.LBB94_115:
	s_or_b64 exec, exec, s[8:9]
	v_mov_b32_e32 v68, 0
	ds_read_b64 v[68:69], v68 offset:144
	s_waitcnt lgkmcnt(0)
	v_mul_f64 v[66:67], v[66:67], v[68:69]
	scratch_store_dwordx2 off, v[66:67], off offset:144
.LBB94_116:
	;; [unrolled: 53-line block ×4, first 2 shown]
	s_or_b64 exec, exec, s[4:5]
	scratch_load_dwordx2 v[66:67], off, off offset:120
	v_cmp_lt_u32_e64 s[0:1], 15, v0
	s_waitcnt vmcnt(0)
	ds_write_b64 v1, v[66:67]
	s_waitcnt lgkmcnt(0)
	; wave barrier
	s_and_saveexec_b64 s[4:5], s[0:1]
	s_cbranch_execz .LBB94_146
; %bb.137:
	s_andn2_b64 vcc, exec, s[6:7]
	s_cbranch_vccnz .LBB94_139
; %bb.138:
	scratch_load_dwordx2 v[66:67], v19, off
	ds_read_b64 v[68:69], v1
	s_waitcnt vmcnt(0) lgkmcnt(0)
	v_mul_f64 v[66:67], v[66:67], v[68:69]
	s_cbranch_execz .LBB94_140
	s_branch .LBB94_141
.LBB94_139:
                                        ; implicit-def: $vgpr66_vgpr67
.LBB94_140:
	ds_read_b64 v[66:67], v1
.LBB94_141:
	s_and_saveexec_b64 s[8:9], s[2:3]
	s_cbranch_execz .LBB94_145
; %bb.142:
	v_add_u32_e32 v68, -16, v0
	s_movk_i32 s26, 0x180
	s_mov_b64 s[2:3], 0
.LBB94_143:                             ; =>This Inner Loop Header: Depth=1
	scratch_load_dwordx2 v[70:71], off, s25
	v_mov_b32_e32 v69, s26
	ds_read_b64 v[72:73], v69
	v_add_u32_e32 v68, -1, v68
	s_add_i32 s26, s26, 8
	s_add_i32 s25, s25, 8
	v_cmp_eq_u32_e32 vcc, 0, v68
	s_or_b64 s[2:3], vcc, s[2:3]
	s_waitcnt vmcnt(0) lgkmcnt(0)
	v_fmac_f64_e32 v[66:67], v[70:71], v[72:73]
	s_andn2_b64 exec, exec, s[2:3]
	s_cbranch_execnz .LBB94_143
; %bb.144:
	s_or_b64 exec, exec, s[2:3]
.LBB94_145:
	s_or_b64 exec, exec, s[8:9]
	v_mov_b32_e32 v68, 0
	ds_read_b64 v[68:69], v68 offset:120
	s_waitcnt lgkmcnt(0)
	v_mul_f64 v[66:67], v[66:67], v[68:69]
	scratch_store_dwordx2 off, v[66:67], off offset:120
.LBB94_146:
	s_or_b64 exec, exec, s[4:5]
	scratch_load_dwordx2 v[66:67], off, off offset:112
	v_cmp_lt_u32_e64 s[2:3], 14, v0
	s_waitcnt vmcnt(0)
	ds_write_b64 v1, v[66:67]
	s_waitcnt lgkmcnt(0)
	; wave barrier
	s_and_saveexec_b64 s[4:5], s[2:3]
	s_cbranch_execz .LBB94_156
; %bb.147:
	s_andn2_b64 vcc, exec, s[6:7]
	s_cbranch_vccnz .LBB94_149
; %bb.148:
	scratch_load_dwordx2 v[66:67], v19, off
	ds_read_b64 v[68:69], v1
	s_waitcnt vmcnt(0) lgkmcnt(0)
	v_mul_f64 v[66:67], v[66:67], v[68:69]
	s_cbranch_execz .LBB94_150
	s_branch .LBB94_151
.LBB94_149:
                                        ; implicit-def: $vgpr66_vgpr67
.LBB94_150:
	ds_read_b64 v[66:67], v1
.LBB94_151:
	s_and_saveexec_b64 s[8:9], s[0:1]
	s_cbranch_execz .LBB94_155
; %bb.152:
	v_add_u32_e32 v68, -15, v0
	s_movk_i32 s25, 0x178
	s_mov_b64 s[0:1], 0
.LBB94_153:                             ; =>This Inner Loop Header: Depth=1
	scratch_load_dwordx2 v[70:71], off, s24
	v_mov_b32_e32 v69, s25
	ds_read_b64 v[72:73], v69
	v_add_u32_e32 v68, -1, v68
	s_add_i32 s25, s25, 8
	s_add_i32 s24, s24, 8
	v_cmp_eq_u32_e32 vcc, 0, v68
	s_or_b64 s[0:1], vcc, s[0:1]
	s_waitcnt vmcnt(0) lgkmcnt(0)
	v_fmac_f64_e32 v[66:67], v[70:71], v[72:73]
	s_andn2_b64 exec, exec, s[0:1]
	s_cbranch_execnz .LBB94_153
; %bb.154:
	s_or_b64 exec, exec, s[0:1]
.LBB94_155:
	s_or_b64 exec, exec, s[8:9]
	v_mov_b32_e32 v68, 0
	ds_read_b64 v[68:69], v68 offset:112
	s_waitcnt lgkmcnt(0)
	v_mul_f64 v[66:67], v[66:67], v[68:69]
	scratch_store_dwordx2 off, v[66:67], off offset:112
.LBB94_156:
	;; [unrolled: 53-line block ×15, first 2 shown]
	s_or_b64 exec, exec, s[4:5]
	scratch_load_dwordx2 v[66:67], off, off
	v_cmp_ne_u32_e32 vcc, 0, v0
	s_waitcnt vmcnt(0)
	ds_write_b64 v1, v[66:67]
	s_waitcnt lgkmcnt(0)
	; wave barrier
	s_and_saveexec_b64 s[2:3], vcc
	s_cbranch_execz .LBB94_296
; %bb.287:
	s_andn2_b64 vcc, exec, s[6:7]
	s_cbranch_vccnz .LBB94_289
; %bb.288:
	scratch_load_dwordx2 v[66:67], v19, off
	ds_read_b64 v[68:69], v1
	s_waitcnt vmcnt(0) lgkmcnt(0)
	v_mul_f64 v[66:67], v[66:67], v[68:69]
	s_cbranch_execz .LBB94_290
	s_branch .LBB94_291
.LBB94_289:
                                        ; implicit-def: $vgpr66_vgpr67
.LBB94_290:
	ds_read_b64 v[66:67], v1
.LBB94_291:
	s_and_saveexec_b64 s[4:5], s[0:1]
	s_cbranch_execz .LBB94_295
; %bb.292:
	v_add_u32_e32 v68, -1, v0
	s_movk_i32 s8, 0x108
	s_mov_b64 s[0:1], 0
.LBB94_293:                             ; =>This Inner Loop Header: Depth=1
	scratch_load_dwordx2 v[70:71], off, s10
	v_mov_b32_e32 v69, s8
	ds_read_b64 v[72:73], v69
	v_add_u32_e32 v68, -1, v68
	s_add_i32 s8, s8, 8
	s_add_i32 s10, s10, 8
	v_cmp_eq_u32_e32 vcc, 0, v68
	s_or_b64 s[0:1], vcc, s[0:1]
	s_waitcnt vmcnt(0) lgkmcnt(0)
	v_fmac_f64_e32 v[66:67], v[70:71], v[72:73]
	s_andn2_b64 exec, exec, s[0:1]
	s_cbranch_execnz .LBB94_293
; %bb.294:
	s_or_b64 exec, exec, s[0:1]
.LBB94_295:
	s_or_b64 exec, exec, s[4:5]
	v_mov_b32_e32 v68, 0
	ds_read_b64 v[68:69], v68
	s_waitcnt lgkmcnt(0)
	v_mul_f64 v[66:67], v[66:67], v[68:69]
	scratch_store_dwordx2 off, v[66:67], off
.LBB94_296:
	s_or_b64 exec, exec, s[2:3]
	s_mov_b64 s[0:1], 0
.LBB94_297:
	s_and_b64 vcc, exec, s[0:1]
	s_cbranch_vccz .LBB94_589
; %bb.298:
	scratch_load_dwordx2 v[66:67], off, off offset:8
	v_cmp_eq_u32_e64 s[2:3], 0, v0
	s_waitcnt vmcnt(0)
	ds_write_b64 v1, v[66:67]
	s_waitcnt lgkmcnt(0)
	; wave barrier
	s_and_saveexec_b64 s[0:1], s[2:3]
	s_cbranch_execz .LBB94_304
; %bb.299:
	s_and_b64 vcc, exec, s[6:7]
	s_cbranch_vccz .LBB94_301
; %bb.300:
	scratch_load_dwordx2 v[66:67], v19, off
	ds_read_b64 v[68:69], v1
	s_waitcnt vmcnt(0) lgkmcnt(0)
	v_mul_f64 v[66:67], v[66:67], v[68:69]
	s_cbranch_execz .LBB94_302
	s_branch .LBB94_303
.LBB94_301:
                                        ; implicit-def: $vgpr66_vgpr67
.LBB94_302:
	ds_read_b64 v[66:67], v1
.LBB94_303:
	v_mov_b32_e32 v68, 0
	ds_read_b64 v[68:69], v68 offset:8
	s_waitcnt lgkmcnt(0)
	v_mul_f64 v[66:67], v[66:67], v[68:69]
	scratch_store_dwordx2 off, v[66:67], off offset:8
.LBB94_304:
	s_or_b64 exec, exec, s[0:1]
	scratch_load_dwordx2 v[66:67], off, off offset:16
	v_cndmask_b32_e64 v68, 0, 1, s[6:7]
	v_cmp_gt_u32_e32 vcc, 2, v0
	v_cmp_ne_u32_e64 s[0:1], 1, v68
	s_waitcnt vmcnt(0)
	ds_write_b64 v1, v[66:67]
	s_waitcnt lgkmcnt(0)
	; wave barrier
	s_and_saveexec_b64 s[4:5], vcc
	s_cbranch_execz .LBB94_310
; %bb.305:
	s_and_b64 vcc, exec, s[0:1]
	s_cbranch_vccnz .LBB94_307
; %bb.306:
	scratch_load_dwordx2 v[66:67], v19, off
	ds_read_b64 v[68:69], v1
	s_waitcnt vmcnt(0) lgkmcnt(0)
	v_mul_f64 v[66:67], v[66:67], v[68:69]
	s_cbranch_execz .LBB94_308
	s_branch .LBB94_309
.LBB94_307:
                                        ; implicit-def: $vgpr66_vgpr67
.LBB94_308:
	ds_read_b64 v[66:67], v1
.LBB94_309:
	scratch_load_dwordx2 v[72:73], off, off offset:8
	v_mov_b32_e32 v68, 0
	ds_read2_b64 v[68:71], v68 offset0:2 offset1:33
	s_waitcnt vmcnt(0) lgkmcnt(0)
	v_fma_f64 v[70:71], v[72:73], v[70:71], v[66:67]
	v_cndmask_b32_e64 v67, v67, v71, s[2:3]
	v_cndmask_b32_e64 v66, v66, v70, s[2:3]
	v_mul_f64 v[66:67], v[66:67], v[68:69]
	scratch_store_dwordx2 off, v[66:67], off offset:16
.LBB94_310:
	s_or_b64 exec, exec, s[4:5]
	scratch_load_dwordx2 v[66:67], off, off offset:24
	v_cmp_gt_u32_e32 vcc, 3, v0
	s_waitcnt vmcnt(0)
	ds_write_b64 v1, v[66:67]
	s_waitcnt lgkmcnt(0)
	; wave barrier
	s_and_saveexec_b64 s[4:5], vcc
	s_cbranch_execz .LBB94_318
; %bb.311:
	s_and_b64 vcc, exec, s[0:1]
	s_cbranch_vccnz .LBB94_313
; %bb.312:
	scratch_load_dwordx2 v[66:67], v19, off
	ds_read_b64 v[68:69], v1
	s_waitcnt vmcnt(0) lgkmcnt(0)
	v_mul_f64 v[66:67], v[66:67], v[68:69]
	s_cbranch_execz .LBB94_314
	s_branch .LBB94_315
.LBB94_313:
                                        ; implicit-def: $vgpr66_vgpr67
.LBB94_314:
	ds_read_b64 v[66:67], v1
.LBB94_315:
	v_cmp_ne_u32_e32 vcc, 2, v0
	s_and_saveexec_b64 s[6:7], vcc
	s_cbranch_execz .LBB94_317
; %bb.316:
	scratch_load_dwordx2 v[68:69], v19, off offset:8
	scratch_load_dwordx2 v[70:71], off, off offset:16
	ds_read_b64 v[72:73], v1 offset:8
	v_mov_b32_e32 v74, 0
	ds_read_b64 v[74:75], v74 offset:272
	s_waitcnt vmcnt(1) lgkmcnt(1)
	v_fmac_f64_e32 v[66:67], v[68:69], v[72:73]
	s_waitcnt vmcnt(0) lgkmcnt(0)
	v_fma_f64 v[68:69], v[70:71], v[74:75], v[66:67]
	v_cndmask_b32_e64 v67, v67, v69, s[2:3]
	v_cndmask_b32_e64 v66, v66, v68, s[2:3]
.LBB94_317:
	s_or_b64 exec, exec, s[6:7]
	v_mov_b32_e32 v68, 0
	ds_read_b64 v[68:69], v68 offset:24
	s_waitcnt lgkmcnt(0)
	v_mul_f64 v[66:67], v[66:67], v[68:69]
	scratch_store_dwordx2 off, v[66:67], off offset:24
.LBB94_318:
	s_or_b64 exec, exec, s[4:5]
	scratch_load_dwordx2 v[66:67], off, off offset:32
	v_cmp_gt_u32_e32 vcc, 4, v0
	s_waitcnt vmcnt(0)
	ds_write_b64 v1, v[66:67]
	s_waitcnt lgkmcnt(0)
	; wave barrier
	s_and_saveexec_b64 s[2:3], vcc
	s_cbranch_execz .LBB94_328
; %bb.319:
	s_and_b64 vcc, exec, s[0:1]
	s_cbranch_vccnz .LBB94_321
; %bb.320:
	scratch_load_dwordx2 v[66:67], v19, off
	ds_read_b64 v[68:69], v1
	s_waitcnt vmcnt(0) lgkmcnt(0)
	v_mul_f64 v[66:67], v[66:67], v[68:69]
	s_cbranch_execz .LBB94_322
	s_branch .LBB94_323
.LBB94_321:
                                        ; implicit-def: $vgpr66_vgpr67
.LBB94_322:
	ds_read_b64 v[66:67], v1
.LBB94_323:
	v_cmp_ne_u32_e32 vcc, 3, v0
	s_and_saveexec_b64 s[4:5], vcc
	s_cbranch_execz .LBB94_327
; %bb.324:
	s_mov_b32 s6, 0
	v_add_u32_e32 v68, 0x108, v18
	v_add3_u32 v69, v18, s6, 8
	s_mov_b64 s[6:7], 0
	v_mov_b32_e32 v70, v0
.LBB94_325:                             ; =>This Inner Loop Header: Depth=1
	scratch_load_dwordx2 v[72:73], v69, off
	ds_read_b64 v[74:75], v68
	v_add_u32_e32 v70, 1, v70
	v_cmp_lt_u32_e32 vcc, 2, v70
	v_add_u32_e32 v68, 8, v68
	v_add_u32_e32 v69, 8, v69
	s_or_b64 s[6:7], vcc, s[6:7]
	s_waitcnt vmcnt(0) lgkmcnt(0)
	v_fmac_f64_e32 v[66:67], v[72:73], v[74:75]
	s_andn2_b64 exec, exec, s[6:7]
	s_cbranch_execnz .LBB94_325
; %bb.326:
	s_or_b64 exec, exec, s[6:7]
.LBB94_327:
	s_or_b64 exec, exec, s[4:5]
	v_mov_b32_e32 v68, 0
	ds_read_b64 v[68:69], v68 offset:32
	s_waitcnt lgkmcnt(0)
	v_mul_f64 v[66:67], v[66:67], v[68:69]
	scratch_store_dwordx2 off, v[66:67], off offset:32
.LBB94_328:
	s_or_b64 exec, exec, s[2:3]
	scratch_load_dwordx2 v[66:67], off, off offset:40
	v_cmp_gt_u32_e32 vcc, 5, v0
	s_waitcnt vmcnt(0)
	ds_write_b64 v1, v[66:67]
	s_waitcnt lgkmcnt(0)
	; wave barrier
	s_and_saveexec_b64 s[2:3], vcc
	s_cbranch_execz .LBB94_338
; %bb.329:
	s_and_b64 vcc, exec, s[0:1]
	s_cbranch_vccnz .LBB94_331
; %bb.330:
	scratch_load_dwordx2 v[66:67], v19, off
	ds_read_b64 v[68:69], v1
	s_waitcnt vmcnt(0) lgkmcnt(0)
	v_mul_f64 v[66:67], v[66:67], v[68:69]
	s_cbranch_execz .LBB94_332
	s_branch .LBB94_333
.LBB94_331:
                                        ; implicit-def: $vgpr66_vgpr67
.LBB94_332:
	ds_read_b64 v[66:67], v1
.LBB94_333:
	v_cmp_ne_u32_e32 vcc, 4, v0
	s_and_saveexec_b64 s[4:5], vcc
	s_cbranch_execz .LBB94_337
; %bb.334:
	s_mov_b32 s6, 0
	v_add_u32_e32 v68, 0x108, v18
	v_add3_u32 v69, v18, s6, 8
	s_mov_b64 s[6:7], 0
	v_mov_b32_e32 v70, v0
.LBB94_335:                             ; =>This Inner Loop Header: Depth=1
	scratch_load_dwordx2 v[72:73], v69, off
	ds_read_b64 v[74:75], v68
	v_add_u32_e32 v70, 1, v70
	v_cmp_lt_u32_e32 vcc, 3, v70
	v_add_u32_e32 v68, 8, v68
	v_add_u32_e32 v69, 8, v69
	s_or_b64 s[6:7], vcc, s[6:7]
	s_waitcnt vmcnt(0) lgkmcnt(0)
	v_fmac_f64_e32 v[66:67], v[72:73], v[74:75]
	s_andn2_b64 exec, exec, s[6:7]
	s_cbranch_execnz .LBB94_335
; %bb.336:
	s_or_b64 exec, exec, s[6:7]
.LBB94_337:
	s_or_b64 exec, exec, s[4:5]
	v_mov_b32_e32 v68, 0
	ds_read_b64 v[68:69], v68 offset:40
	s_waitcnt lgkmcnt(0)
	v_mul_f64 v[66:67], v[66:67], v[68:69]
	scratch_store_dwordx2 off, v[66:67], off offset:40
.LBB94_338:
	;; [unrolled: 55-line block ×25, first 2 shown]
	s_or_b64 exec, exec, s[2:3]
	scratch_load_dwordx2 v[66:67], off, off offset:232
	v_cmp_gt_u32_e64 s[2:3], 29, v0
	s_waitcnt vmcnt(0)
	ds_write_b64 v1, v[66:67]
	s_waitcnt lgkmcnt(0)
	; wave barrier
	s_and_saveexec_b64 s[4:5], s[2:3]
	s_cbranch_execz .LBB94_578
; %bb.569:
	s_and_b64 vcc, exec, s[0:1]
	s_cbranch_vccnz .LBB94_571
; %bb.570:
	scratch_load_dwordx2 v[66:67], v19, off
	ds_read_b64 v[68:69], v1
	s_waitcnt vmcnt(0) lgkmcnt(0)
	v_mul_f64 v[66:67], v[66:67], v[68:69]
	s_cbranch_execz .LBB94_572
	s_branch .LBB94_573
.LBB94_571:
                                        ; implicit-def: $vgpr66_vgpr67
.LBB94_572:
	ds_read_b64 v[66:67], v1
.LBB94_573:
	v_cmp_ne_u32_e32 vcc, 28, v0
	s_and_saveexec_b64 s[6:7], vcc
	s_cbranch_execz .LBB94_577
; %bb.574:
	s_mov_b32 s8, 0
	v_add_u32_e32 v68, 0x108, v18
	v_add3_u32 v69, v18, s8, 8
	s_mov_b64 s[8:9], 0
	v_mov_b32_e32 v70, v0
.LBB94_575:                             ; =>This Inner Loop Header: Depth=1
	scratch_load_dwordx2 v[72:73], v69, off
	ds_read_b64 v[74:75], v68
	v_add_u32_e32 v70, 1, v70
	v_cmp_lt_u32_e32 vcc, 27, v70
	v_add_u32_e32 v68, 8, v68
	v_add_u32_e32 v69, 8, v69
	s_or_b64 s[8:9], vcc, s[8:9]
	s_waitcnt vmcnt(0) lgkmcnt(0)
	v_fmac_f64_e32 v[66:67], v[72:73], v[74:75]
	s_andn2_b64 exec, exec, s[8:9]
	s_cbranch_execnz .LBB94_575
; %bb.576:
	s_or_b64 exec, exec, s[8:9]
.LBB94_577:
	s_or_b64 exec, exec, s[6:7]
	v_mov_b32_e32 v68, 0
	ds_read_b64 v[68:69], v68 offset:232
	s_waitcnt lgkmcnt(0)
	v_mul_f64 v[66:67], v[66:67], v[68:69]
	scratch_store_dwordx2 off, v[66:67], off offset:232
.LBB94_578:
	s_or_b64 exec, exec, s[4:5]
	scratch_load_dwordx2 v[66:67], off, off offset:240
	v_cmp_ne_u32_e32 vcc, 30, v0
	s_waitcnt vmcnt(0)
	ds_write_b64 v1, v[66:67]
	s_waitcnt lgkmcnt(0)
	; wave barrier
	s_and_saveexec_b64 s[4:5], vcc
	s_cbranch_execz .LBB94_588
; %bb.579:
	s_and_b64 vcc, exec, s[0:1]
	s_cbranch_vccnz .LBB94_581
; %bb.580:
	scratch_load_dwordx2 v[66:67], v19, off
	ds_read_b64 v[68:69], v1
	s_waitcnt vmcnt(0) lgkmcnt(0)
	v_mul_f64 v[66:67], v[66:67], v[68:69]
	s_cbranch_execz .LBB94_582
	s_branch .LBB94_583
.LBB94_581:
                                        ; implicit-def: $vgpr66_vgpr67
.LBB94_582:
	ds_read_b64 v[66:67], v1
.LBB94_583:
	s_and_saveexec_b64 s[0:1], s[2:3]
	s_cbranch_execz .LBB94_587
; %bb.584:
	s_mov_b32 s2, 0
	v_add_u32_e32 v1, 0x108, v18
	v_add3_u32 v18, v18, s2, 8
	s_mov_b64 s[2:3], 0
.LBB94_585:                             ; =>This Inner Loop Header: Depth=1
	scratch_load_dwordx2 v[68:69], v18, off
	ds_read_b64 v[70:71], v1
	v_add_u32_e32 v0, 1, v0
	v_cmp_lt_u32_e32 vcc, 28, v0
	v_add_u32_e32 v1, 8, v1
	v_add_u32_e32 v18, 8, v18
	s_or_b64 s[2:3], vcc, s[2:3]
	s_waitcnt vmcnt(0) lgkmcnt(0)
	v_fmac_f64_e32 v[66:67], v[68:69], v[70:71]
	s_andn2_b64 exec, exec, s[2:3]
	s_cbranch_execnz .LBB94_585
; %bb.586:
	s_or_b64 exec, exec, s[2:3]
.LBB94_587:
	s_or_b64 exec, exec, s[0:1]
	v_mov_b32_e32 v0, 0
	ds_read_b64 v[0:1], v0 offset:240
	s_waitcnt lgkmcnt(0)
	v_mul_f64 v[0:1], v[66:67], v[0:1]
	scratch_store_dwordx2 off, v[0:1], off offset:240
.LBB94_588:
	s_or_b64 exec, exec, s[4:5]
.LBB94_589:
	scratch_load_dwordx2 v[0:1], off, off
	s_waitcnt vmcnt(0)
	flat_store_dwordx2 v[2:3], v[0:1]
	scratch_load_dwordx2 v[0:1], off, off offset:8
	s_waitcnt vmcnt(0)
	flat_store_dwordx2 v[4:5], v[0:1]
	scratch_load_dwordx2 v[0:1], off, off offset:16
	;; [unrolled: 3-line block ×30, first 2 shown]
	s_waitcnt vmcnt(0)
	flat_store_dwordx2 v[64:65], v[0:1]
.LBB94_590:
	s_endpgm
	.section	.rodata,"a",@progbits
	.p2align	6, 0x0
	.amdhsa_kernel _ZN9rocsolver6v33100L18trti2_kernel_smallILi31EdPKPdEEv13rocblas_fill_17rocblas_diagonal_T1_iil
		.amdhsa_group_segment_fixed_size 504
		.amdhsa_private_segment_fixed_size 256
		.amdhsa_kernarg_size 32
		.amdhsa_user_sgpr_count 2
		.amdhsa_user_sgpr_dispatch_ptr 0
		.amdhsa_user_sgpr_queue_ptr 0
		.amdhsa_user_sgpr_kernarg_segment_ptr 1
		.amdhsa_user_sgpr_dispatch_id 0
		.amdhsa_user_sgpr_kernarg_preload_length 0
		.amdhsa_user_sgpr_kernarg_preload_offset 0
		.amdhsa_user_sgpr_private_segment_size 0
		.amdhsa_uses_dynamic_stack 0
		.amdhsa_enable_private_segment 1
		.amdhsa_system_sgpr_workgroup_id_x 1
		.amdhsa_system_sgpr_workgroup_id_y 0
		.amdhsa_system_sgpr_workgroup_id_z 0
		.amdhsa_system_sgpr_workgroup_info 0
		.amdhsa_system_vgpr_workitem_id 0
		.amdhsa_next_free_vgpr 76
		.amdhsa_next_free_sgpr 40
		.amdhsa_accum_offset 76
		.amdhsa_reserve_vcc 1
		.amdhsa_float_round_mode_32 0
		.amdhsa_float_round_mode_16_64 0
		.amdhsa_float_denorm_mode_32 3
		.amdhsa_float_denorm_mode_16_64 3
		.amdhsa_dx10_clamp 1
		.amdhsa_ieee_mode 1
		.amdhsa_fp16_overflow 0
		.amdhsa_tg_split 0
		.amdhsa_exception_fp_ieee_invalid_op 0
		.amdhsa_exception_fp_denorm_src 0
		.amdhsa_exception_fp_ieee_div_zero 0
		.amdhsa_exception_fp_ieee_overflow 0
		.amdhsa_exception_fp_ieee_underflow 0
		.amdhsa_exception_fp_ieee_inexact 0
		.amdhsa_exception_int_div_zero 0
	.end_amdhsa_kernel
	.section	.text._ZN9rocsolver6v33100L18trti2_kernel_smallILi31EdPKPdEEv13rocblas_fill_17rocblas_diagonal_T1_iil,"axG",@progbits,_ZN9rocsolver6v33100L18trti2_kernel_smallILi31EdPKPdEEv13rocblas_fill_17rocblas_diagonal_T1_iil,comdat
.Lfunc_end94:
	.size	_ZN9rocsolver6v33100L18trti2_kernel_smallILi31EdPKPdEEv13rocblas_fill_17rocblas_diagonal_T1_iil, .Lfunc_end94-_ZN9rocsolver6v33100L18trti2_kernel_smallILi31EdPKPdEEv13rocblas_fill_17rocblas_diagonal_T1_iil
                                        ; -- End function
	.set _ZN9rocsolver6v33100L18trti2_kernel_smallILi31EdPKPdEEv13rocblas_fill_17rocblas_diagonal_T1_iil.num_vgpr, 76
	.set _ZN9rocsolver6v33100L18trti2_kernel_smallILi31EdPKPdEEv13rocblas_fill_17rocblas_diagonal_T1_iil.num_agpr, 0
	.set _ZN9rocsolver6v33100L18trti2_kernel_smallILi31EdPKPdEEv13rocblas_fill_17rocblas_diagonal_T1_iil.numbered_sgpr, 40
	.set _ZN9rocsolver6v33100L18trti2_kernel_smallILi31EdPKPdEEv13rocblas_fill_17rocblas_diagonal_T1_iil.num_named_barrier, 0
	.set _ZN9rocsolver6v33100L18trti2_kernel_smallILi31EdPKPdEEv13rocblas_fill_17rocblas_diagonal_T1_iil.private_seg_size, 256
	.set _ZN9rocsolver6v33100L18trti2_kernel_smallILi31EdPKPdEEv13rocblas_fill_17rocblas_diagonal_T1_iil.uses_vcc, 1
	.set _ZN9rocsolver6v33100L18trti2_kernel_smallILi31EdPKPdEEv13rocblas_fill_17rocblas_diagonal_T1_iil.uses_flat_scratch, 0
	.set _ZN9rocsolver6v33100L18trti2_kernel_smallILi31EdPKPdEEv13rocblas_fill_17rocblas_diagonal_T1_iil.has_dyn_sized_stack, 0
	.set _ZN9rocsolver6v33100L18trti2_kernel_smallILi31EdPKPdEEv13rocblas_fill_17rocblas_diagonal_T1_iil.has_recursion, 0
	.set _ZN9rocsolver6v33100L18trti2_kernel_smallILi31EdPKPdEEv13rocblas_fill_17rocblas_diagonal_T1_iil.has_indirect_call, 0
	.section	.AMDGPU.csdata,"",@progbits
; Kernel info:
; codeLenInByte = 14888
; TotalNumSgprs: 46
; NumVgprs: 76
; NumAgprs: 0
; TotalNumVgprs: 76
; ScratchSize: 256
; MemoryBound: 0
; FloatMode: 240
; IeeeMode: 1
; LDSByteSize: 504 bytes/workgroup (compile time only)
; SGPRBlocks: 5
; VGPRBlocks: 9
; NumSGPRsForWavesPerEU: 46
; NumVGPRsForWavesPerEU: 76
; AccumOffset: 76
; Occupancy: 6
; WaveLimiterHint : 1
; COMPUTE_PGM_RSRC2:SCRATCH_EN: 1
; COMPUTE_PGM_RSRC2:USER_SGPR: 2
; COMPUTE_PGM_RSRC2:TRAP_HANDLER: 0
; COMPUTE_PGM_RSRC2:TGID_X_EN: 1
; COMPUTE_PGM_RSRC2:TGID_Y_EN: 0
; COMPUTE_PGM_RSRC2:TGID_Z_EN: 0
; COMPUTE_PGM_RSRC2:TIDIG_COMP_CNT: 0
; COMPUTE_PGM_RSRC3_GFX90A:ACCUM_OFFSET: 18
; COMPUTE_PGM_RSRC3_GFX90A:TG_SPLIT: 0
	.section	.text._ZN9rocsolver6v33100L18trti2_kernel_smallILi32EdPKPdEEv13rocblas_fill_17rocblas_diagonal_T1_iil,"axG",@progbits,_ZN9rocsolver6v33100L18trti2_kernel_smallILi32EdPKPdEEv13rocblas_fill_17rocblas_diagonal_T1_iil,comdat
	.globl	_ZN9rocsolver6v33100L18trti2_kernel_smallILi32EdPKPdEEv13rocblas_fill_17rocblas_diagonal_T1_iil ; -- Begin function _ZN9rocsolver6v33100L18trti2_kernel_smallILi32EdPKPdEEv13rocblas_fill_17rocblas_diagonal_T1_iil
	.p2align	8
	.type	_ZN9rocsolver6v33100L18trti2_kernel_smallILi32EdPKPdEEv13rocblas_fill_17rocblas_diagonal_T1_iil,@function
_ZN9rocsolver6v33100L18trti2_kernel_smallILi32EdPKPdEEv13rocblas_fill_17rocblas_diagonal_T1_iil: ; @_ZN9rocsolver6v33100L18trti2_kernel_smallILi32EdPKPdEEv13rocblas_fill_17rocblas_diagonal_T1_iil
; %bb.0:
	v_cmp_gt_u32_e32 vcc, 32, v0
	s_and_saveexec_b64 s[4:5], vcc
	s_cbranch_execz .LBB95_610
; %bb.1:
	s_load_dwordx2 s[8:9], s[0:1], 0x10
	s_load_dwordx4 s[4:7], s[0:1], 0x0
	s_ashr_i32 s3, s2, 31
	s_lshl_b64 s[0:1], s[2:3], 3
	v_lshlrev_b32_e32 v18, 3, v0
	s_waitcnt lgkmcnt(0)
	s_ashr_i32 s3, s8, 31
	s_add_u32 s0, s6, s0
	s_addc_u32 s1, s7, s1
	s_load_dwordx2 s[0:1], s[0:1], 0x0
	s_mov_b32 s2, s8
	s_lshl_b64 s[2:3], s[2:3], 3
	v_mov_b32_e32 v19, 0
	s_waitcnt lgkmcnt(0)
	s_add_u32 s0, s0, s2
	s_addc_u32 s1, s1, s3
	v_lshl_add_u64 v[2:3], s[0:1], 0, v[18:19]
	flat_load_dwordx2 v[6:7], v[2:3]
	s_mov_b32 s2, s9
	s_ashr_i32 s3, s9, 31
	v_lshl_add_u64 v[4:5], s[2:3], 3, v[2:3]
	s_add_i32 s2, s9, s9
	v_add_u32_e32 v10, s2, v0
	v_ashrrev_i32_e32 v11, 31, v10
	s_cmpk_lg_i32 s5, 0x84
	s_cselect_b64 s[6:7], -1, 0
	s_cmpk_eq_i32 s5, 0x84
	s_waitcnt vmcnt(0) lgkmcnt(0)
	scratch_store_dwordx2 off, v[6:7], off
	flat_load_dwordx2 v[8:9], v[4:5]
	v_lshl_add_u64 v[6:7], v[10:11], 3, s[0:1]
	v_add_u32_e32 v10, s9, v10
	v_ashrrev_i32_e32 v11, 31, v10
	v_add_u32_e32 v14, s9, v10
	v_ashrrev_i32_e32 v15, 31, v14
	s_waitcnt vmcnt(0) lgkmcnt(0)
	scratch_store_dwordx2 off, v[8:9], off offset:8
	flat_load_dwordx2 v[12:13], v[6:7]
	v_lshl_add_u64 v[8:9], v[10:11], 3, s[0:1]
	v_lshl_add_u64 v[10:11], v[14:15], 3, s[0:1]
	v_add_u32_e32 v14, s9, v14
	v_ashrrev_i32_e32 v15, 31, v14
	v_add_u32_e32 v20, s9, v14
	v_ashrrev_i32_e32 v21, 31, v20
	s_waitcnt vmcnt(0) lgkmcnt(0)
	scratch_store_dwordx2 off, v[12:13], off offset:16
	flat_load_dwordx2 v[12:13], v[8:9]
	s_waitcnt vmcnt(0) lgkmcnt(0)
	scratch_store_dwordx2 off, v[12:13], off offset:24
	flat_load_dwordx2 v[16:17], v[10:11]
	v_lshl_add_u64 v[12:13], v[14:15], 3, s[0:1]
	v_lshl_add_u64 v[14:15], v[20:21], 3, s[0:1]
	v_add_u32_e32 v20, s9, v20
	v_ashrrev_i32_e32 v21, 31, v20
	v_add_u32_e32 v24, s9, v20
	v_ashrrev_i32_e32 v25, 31, v24
	s_waitcnt vmcnt(0) lgkmcnt(0)
	scratch_store_dwordx2 off, v[16:17], off offset:32
	flat_load_dwordx2 v[16:17], v[12:13]
	;; [unrolled: 12-line block ×13, first 2 shown]
	s_waitcnt vmcnt(0) lgkmcnt(0)
	scratch_store_dwordx2 off, v[62:63], off offset:216
	flat_load_dwordx2 v[66:67], v[60:61]
	v_lshl_add_u64 v[62:63], v[64:65], 3, s[0:1]
	v_lshl_add_u64 v[64:65], v[68:69], 3, s[0:1]
	s_waitcnt vmcnt(0) lgkmcnt(0)
	scratch_store_dwordx2 off, v[66:67], off offset:224
	flat_load_dwordx2 v[66:67], v[62:63]
	s_waitcnt vmcnt(0) lgkmcnt(0)
	scratch_store_dwordx2 off, v[66:67], off offset:232
	flat_load_dwordx2 v[70:71], v[64:65]
	v_add_u32_e32 v66, s9, v68
	v_ashrrev_i32_e32 v67, 31, v66
	v_lshl_add_u64 v[66:67], v[66:67], 3, s[0:1]
	s_waitcnt vmcnt(0) lgkmcnt(0)
	scratch_store_dwordx2 off, v[70:71], off offset:240
	flat_load_dwordx2 v[68:69], v[66:67]
	s_waitcnt vmcnt(0) lgkmcnt(0)
	scratch_store_dwordx2 off, v[68:69], off offset:248
	v_mov_b64_e32 v[68:69], -1.0
	s_cbranch_scc1 .LBB95_3
; %bb.2:
	scratch_load_dwordx2 v[68:69], v18, off
	s_waitcnt vmcnt(0)
	v_div_scale_f64 v[70:71], s[0:1], v[68:69], v[68:69], 1.0
	v_rcp_f64_e32 v[72:73], v[70:71]
	v_div_scale_f64 v[74:75], vcc, 1.0, v[68:69], 1.0
	v_fma_f64 v[76:77], -v[70:71], v[72:73], 1.0
	v_fmac_f64_e32 v[72:73], v[72:73], v[76:77]
	v_fma_f64 v[76:77], -v[70:71], v[72:73], 1.0
	v_fmac_f64_e32 v[72:73], v[72:73], v[76:77]
	v_mul_f64 v[76:77], v[74:75], v[72:73]
	v_fma_f64 v[70:71], -v[70:71], v[76:77], v[74:75]
	v_div_fmas_f64 v[70:71], v[70:71], v[72:73], v[76:77]
	v_div_fixup_f64 v[68:69], v[70:71], v[68:69], 1.0
	scratch_store_dwordx2 v18, v[68:69], off
	v_xor_b32_e32 v69, 0x80000000, v69
.LBB95_3:
	s_cmpk_eq_i32 s4, 0x79
	v_add_u32_e32 v1, 0x100, v18
	v_mov_b32_e32 v19, v18
	s_mov_b64 s[0:1], -1
	ds_write_b64 v18, v[68:69]
	s_cbranch_scc1 .LBB95_307
; %bb.4:
	scratch_load_dwordx2 v[68:69], off, off offset:240
	s_movk_i32 s8, 0x48
	s_movk_i32 s9, 0x50
	;; [unrolled: 1-line block ×21, first 2 shown]
	v_cmp_eq_u32_e64 s[0:1], 31, v0
	s_waitcnt vmcnt(0)
	ds_write_b64 v1, v[68:69]
	s_waitcnt lgkmcnt(0)
	; wave barrier
	s_and_saveexec_b64 s[2:3], s[0:1]
	s_cbranch_execz .LBB95_10
; %bb.5:
	s_and_b64 vcc, exec, s[6:7]
	s_cbranch_vccz .LBB95_7
; %bb.6:
	scratch_load_dwordx2 v[68:69], v19, off
	ds_read_b64 v[70:71], v1
	s_waitcnt vmcnt(0) lgkmcnt(0)
	v_mul_f64 v[68:69], v[68:69], v[70:71]
	s_cbranch_execz .LBB95_8
	s_branch .LBB95_9
.LBB95_7:
                                        ; implicit-def: $vgpr68_vgpr69
.LBB95_8:
	ds_read_b64 v[68:69], v1
.LBB95_9:
	v_mov_b32_e32 v70, 0
	ds_read_b64 v[70:71], v70 offset:240
	s_waitcnt lgkmcnt(0)
	v_mul_f64 v[68:69], v[68:69], v[70:71]
	scratch_store_dwordx2 off, v[68:69], off offset:240
.LBB95_10:
	s_or_b64 exec, exec, s[2:3]
	scratch_load_dwordx2 v[68:69], off, off offset:232
	s_or_b32 s10, 0, 8
	s_mov_b32 s11, 16
	s_mov_b32 s12, 24
	;; [unrolled: 1-line block ×9, first 2 shown]
	v_cmp_lt_u32_e64 s[2:3], 29, v0
	s_waitcnt vmcnt(0)
	ds_write_b64 v1, v[68:69]
	s_waitcnt lgkmcnt(0)
	; wave barrier
	s_and_saveexec_b64 s[4:5], s[2:3]
	s_cbranch_execz .LBB95_16
; %bb.11:
	s_andn2_b64 vcc, exec, s[6:7]
	s_cbranch_vccnz .LBB95_13
; %bb.12:
	scratch_load_dwordx2 v[68:69], v19, off
	ds_read_b64 v[70:71], v1
	s_waitcnt vmcnt(0) lgkmcnt(0)
	v_mul_f64 v[68:69], v[68:69], v[70:71]
	s_cbranch_execz .LBB95_14
	s_branch .LBB95_15
.LBB95_13:
                                        ; implicit-def: $vgpr68_vgpr69
.LBB95_14:
	ds_read_b64 v[68:69], v1
.LBB95_15:
	scratch_load_dwordx2 v[74:75], off, off offset:240
	v_mov_b32_e32 v70, 0
	ds_read2_b64 v[70:73], v70 offset0:29 offset1:62
	s_waitcnt vmcnt(0) lgkmcnt(0)
	v_fma_f64 v[72:73], v[74:75], v[72:73], v[68:69]
	v_cndmask_b32_e64 v69, v69, v73, s[0:1]
	v_cndmask_b32_e64 v68, v68, v72, s[0:1]
	v_mul_f64 v[68:69], v[68:69], v[70:71]
	scratch_store_dwordx2 off, v[68:69], off offset:232
.LBB95_16:
	s_or_b64 exec, exec, s[4:5]
	scratch_load_dwordx2 v[68:69], off, off offset:224
	v_cmp_lt_u32_e64 s[0:1], 28, v0
	s_waitcnt vmcnt(0)
	ds_write_b64 v1, v[68:69]
	s_waitcnt lgkmcnt(0)
	; wave barrier
	s_and_saveexec_b64 s[4:5], s[0:1]
	s_cbranch_execz .LBB95_26
; %bb.17:
	s_andn2_b64 vcc, exec, s[6:7]
	s_cbranch_vccnz .LBB95_19
; %bb.18:
	scratch_load_dwordx2 v[68:69], v19, off
	ds_read_b64 v[70:71], v1
	s_waitcnt vmcnt(0) lgkmcnt(0)
	v_mul_f64 v[68:69], v[68:69], v[70:71]
	s_cbranch_execz .LBB95_20
	s_branch .LBB95_21
.LBB95_19:
                                        ; implicit-def: $vgpr68_vgpr69
.LBB95_20:
	ds_read_b64 v[68:69], v1
.LBB95_21:
	s_and_saveexec_b64 s[8:9], s[2:3]
	s_cbranch_execz .LBB95_25
; %bb.22:
	v_subrev_u32_e32 v70, 29, v0
	s_movk_i32 s40, 0x1e8
	s_mov_b64 s[2:3], 0
.LBB95_23:                              ; =>This Inner Loop Header: Depth=1
	scratch_load_dwordx2 v[72:73], off, s39
	v_mov_b32_e32 v71, s40
	ds_read_b64 v[74:75], v71
	v_add_u32_e32 v70, -1, v70
	s_add_i32 s40, s40, 8
	s_add_i32 s39, s39, 8
	v_cmp_eq_u32_e32 vcc, 0, v70
	s_or_b64 s[2:3], vcc, s[2:3]
	s_waitcnt vmcnt(0) lgkmcnt(0)
	v_fmac_f64_e32 v[68:69], v[72:73], v[74:75]
	s_andn2_b64 exec, exec, s[2:3]
	s_cbranch_execnz .LBB95_23
; %bb.24:
	s_or_b64 exec, exec, s[2:3]
.LBB95_25:
	s_or_b64 exec, exec, s[8:9]
	v_mov_b32_e32 v70, 0
	ds_read_b64 v[70:71], v70 offset:224
	s_waitcnt lgkmcnt(0)
	v_mul_f64 v[68:69], v[68:69], v[70:71]
	scratch_store_dwordx2 off, v[68:69], off offset:224
.LBB95_26:
	s_or_b64 exec, exec, s[4:5]
	scratch_load_dwordx2 v[68:69], off, off offset:216
	v_cmp_lt_u32_e64 s[2:3], 27, v0
	s_waitcnt vmcnt(0)
	ds_write_b64 v1, v[68:69]
	s_waitcnt lgkmcnt(0)
	; wave barrier
	s_and_saveexec_b64 s[4:5], s[2:3]
	s_cbranch_execz .LBB95_36
; %bb.27:
	s_andn2_b64 vcc, exec, s[6:7]
	s_cbranch_vccnz .LBB95_29
; %bb.28:
	scratch_load_dwordx2 v[68:69], v19, off
	ds_read_b64 v[70:71], v1
	s_waitcnt vmcnt(0) lgkmcnt(0)
	v_mul_f64 v[68:69], v[68:69], v[70:71]
	s_cbranch_execz .LBB95_30
	s_branch .LBB95_31
.LBB95_29:
                                        ; implicit-def: $vgpr68_vgpr69
.LBB95_30:
	ds_read_b64 v[68:69], v1
.LBB95_31:
	s_and_saveexec_b64 s[8:9], s[0:1]
	s_cbranch_execz .LBB95_35
; %bb.32:
	v_subrev_u32_e32 v70, 28, v0
	s_movk_i32 s39, 0x1e0
	s_mov_b64 s[0:1], 0
.LBB95_33:                              ; =>This Inner Loop Header: Depth=1
	scratch_load_dwordx2 v[72:73], off, s38
	v_mov_b32_e32 v71, s39
	ds_read_b64 v[74:75], v71
	v_add_u32_e32 v70, -1, v70
	s_add_i32 s39, s39, 8
	s_add_i32 s38, s38, 8
	v_cmp_eq_u32_e32 vcc, 0, v70
	s_or_b64 s[0:1], vcc, s[0:1]
	s_waitcnt vmcnt(0) lgkmcnt(0)
	v_fmac_f64_e32 v[68:69], v[72:73], v[74:75]
	s_andn2_b64 exec, exec, s[0:1]
	s_cbranch_execnz .LBB95_33
; %bb.34:
	s_or_b64 exec, exec, s[0:1]
.LBB95_35:
	s_or_b64 exec, exec, s[8:9]
	v_mov_b32_e32 v70, 0
	ds_read_b64 v[70:71], v70 offset:216
	s_waitcnt lgkmcnt(0)
	v_mul_f64 v[68:69], v[68:69], v[70:71]
	scratch_store_dwordx2 off, v[68:69], off offset:216
.LBB95_36:
	;; [unrolled: 53-line block ×8, first 2 shown]
	s_or_b64 exec, exec, s[4:5]
	scratch_load_dwordx2 v[68:69], off, off offset:160
	v_cmp_lt_u32_e64 s[0:1], 20, v0
	s_waitcnt vmcnt(0)
	ds_write_b64 v1, v[68:69]
	s_waitcnt lgkmcnt(0)
	; wave barrier
	s_and_saveexec_b64 s[4:5], s[0:1]
	s_cbranch_execz .LBB95_106
; %bb.97:
	s_andn2_b64 vcc, exec, s[6:7]
	s_cbranch_vccnz .LBB95_99
; %bb.98:
	scratch_load_dwordx2 v[68:69], v19, off
	ds_read_b64 v[70:71], v1
	s_waitcnt vmcnt(0) lgkmcnt(0)
	v_mul_f64 v[68:69], v[68:69], v[70:71]
	s_cbranch_execz .LBB95_100
	s_branch .LBB95_101
.LBB95_99:
                                        ; implicit-def: $vgpr68_vgpr69
.LBB95_100:
	ds_read_b64 v[68:69], v1
.LBB95_101:
	s_and_saveexec_b64 s[8:9], s[2:3]
	s_cbranch_execz .LBB95_105
; %bb.102:
	v_subrev_u32_e32 v70, 21, v0
	s_movk_i32 s31, 0x1a8
	s_mov_b64 s[2:3], 0
.LBB95_103:                             ; =>This Inner Loop Header: Depth=1
	scratch_load_dwordx2 v[72:73], off, s30
	v_mov_b32_e32 v71, s31
	ds_read_b64 v[74:75], v71
	v_add_u32_e32 v70, -1, v70
	s_add_i32 s31, s31, 8
	s_add_i32 s30, s30, 8
	v_cmp_eq_u32_e32 vcc, 0, v70
	s_or_b64 s[2:3], vcc, s[2:3]
	s_waitcnt vmcnt(0) lgkmcnt(0)
	v_fmac_f64_e32 v[68:69], v[72:73], v[74:75]
	s_andn2_b64 exec, exec, s[2:3]
	s_cbranch_execnz .LBB95_103
; %bb.104:
	s_or_b64 exec, exec, s[2:3]
.LBB95_105:
	s_or_b64 exec, exec, s[8:9]
	v_mov_b32_e32 v70, 0
	ds_read_b64 v[70:71], v70 offset:160
	s_waitcnt lgkmcnt(0)
	v_mul_f64 v[68:69], v[68:69], v[70:71]
	scratch_store_dwordx2 off, v[68:69], off offset:160
.LBB95_106:
	s_or_b64 exec, exec, s[4:5]
	scratch_load_dwordx2 v[68:69], off, off offset:152
	v_cmp_lt_u32_e64 s[2:3], 19, v0
	s_waitcnt vmcnt(0)
	ds_write_b64 v1, v[68:69]
	s_waitcnt lgkmcnt(0)
	; wave barrier
	s_and_saveexec_b64 s[4:5], s[2:3]
	s_cbranch_execz .LBB95_116
; %bb.107:
	s_andn2_b64 vcc, exec, s[6:7]
	s_cbranch_vccnz .LBB95_109
; %bb.108:
	scratch_load_dwordx2 v[68:69], v19, off
	ds_read_b64 v[70:71], v1
	s_waitcnt vmcnt(0) lgkmcnt(0)
	v_mul_f64 v[68:69], v[68:69], v[70:71]
	s_cbranch_execz .LBB95_110
	s_branch .LBB95_111
.LBB95_109:
                                        ; implicit-def: $vgpr68_vgpr69
.LBB95_110:
	ds_read_b64 v[68:69], v1
.LBB95_111:
	s_and_saveexec_b64 s[8:9], s[0:1]
	s_cbranch_execz .LBB95_115
; %bb.112:
	v_subrev_u32_e32 v70, 20, v0
	s_movk_i32 s30, 0x1a0
	s_mov_b64 s[0:1], 0
.LBB95_113:                             ; =>This Inner Loop Header: Depth=1
	scratch_load_dwordx2 v[72:73], off, s29
	v_mov_b32_e32 v71, s30
	ds_read_b64 v[74:75], v71
	v_add_u32_e32 v70, -1, v70
	s_add_i32 s30, s30, 8
	s_add_i32 s29, s29, 8
	v_cmp_eq_u32_e32 vcc, 0, v70
	s_or_b64 s[0:1], vcc, s[0:1]
	s_waitcnt vmcnt(0) lgkmcnt(0)
	v_fmac_f64_e32 v[68:69], v[72:73], v[74:75]
	s_andn2_b64 exec, exec, s[0:1]
	s_cbranch_execnz .LBB95_113
; %bb.114:
	s_or_b64 exec, exec, s[0:1]
.LBB95_115:
	s_or_b64 exec, exec, s[8:9]
	v_mov_b32_e32 v70, 0
	ds_read_b64 v[70:71], v70 offset:152
	s_waitcnt lgkmcnt(0)
	v_mul_f64 v[68:69], v[68:69], v[70:71]
	scratch_store_dwordx2 off, v[68:69], off offset:152
.LBB95_116:
	s_or_b64 exec, exec, s[4:5]
	scratch_load_dwordx2 v[68:69], off, off offset:144
	v_cmp_lt_u32_e64 s[0:1], 18, v0
	s_waitcnt vmcnt(0)
	ds_write_b64 v1, v[68:69]
	s_waitcnt lgkmcnt(0)
	; wave barrier
	s_and_saveexec_b64 s[4:5], s[0:1]
	s_cbranch_execz .LBB95_126
; %bb.117:
	s_andn2_b64 vcc, exec, s[6:7]
	s_cbranch_vccnz .LBB95_119
; %bb.118:
	scratch_load_dwordx2 v[68:69], v19, off
	ds_read_b64 v[70:71], v1
	s_waitcnt vmcnt(0) lgkmcnt(0)
	v_mul_f64 v[68:69], v[68:69], v[70:71]
	s_cbranch_execz .LBB95_120
	s_branch .LBB95_121
.LBB95_119:
                                        ; implicit-def: $vgpr68_vgpr69
.LBB95_120:
	ds_read_b64 v[68:69], v1
.LBB95_121:
	s_and_saveexec_b64 s[8:9], s[2:3]
	s_cbranch_execz .LBB95_125
; %bb.122:
	v_subrev_u32_e32 v70, 19, v0
	s_movk_i32 s29, 0x198
	s_mov_b64 s[2:3], 0
.LBB95_123:                             ; =>This Inner Loop Header: Depth=1
	scratch_load_dwordx2 v[72:73], off, s28
	v_mov_b32_e32 v71, s29
	ds_read_b64 v[74:75], v71
	v_add_u32_e32 v70, -1, v70
	s_add_i32 s29, s29, 8
	s_add_i32 s28, s28, 8
	v_cmp_eq_u32_e32 vcc, 0, v70
	s_or_b64 s[2:3], vcc, s[2:3]
	s_waitcnt vmcnt(0) lgkmcnt(0)
	v_fmac_f64_e32 v[68:69], v[72:73], v[74:75]
	s_andn2_b64 exec, exec, s[2:3]
	s_cbranch_execnz .LBB95_123
; %bb.124:
	s_or_b64 exec, exec, s[2:3]
.LBB95_125:
	s_or_b64 exec, exec, s[8:9]
	v_mov_b32_e32 v70, 0
	ds_read_b64 v[70:71], v70 offset:144
	s_waitcnt lgkmcnt(0)
	v_mul_f64 v[68:69], v[68:69], v[70:71]
	scratch_store_dwordx2 off, v[68:69], off offset:144
.LBB95_126:
	s_or_b64 exec, exec, s[4:5]
	scratch_load_dwordx2 v[68:69], off, off offset:136
	v_cmp_lt_u32_e64 s[2:3], 17, v0
	s_waitcnt vmcnt(0)
	ds_write_b64 v1, v[68:69]
	s_waitcnt lgkmcnt(0)
	; wave barrier
	s_and_saveexec_b64 s[4:5], s[2:3]
	s_cbranch_execz .LBB95_136
; %bb.127:
	s_andn2_b64 vcc, exec, s[6:7]
	s_cbranch_vccnz .LBB95_129
; %bb.128:
	scratch_load_dwordx2 v[68:69], v19, off
	ds_read_b64 v[70:71], v1
	s_waitcnt vmcnt(0) lgkmcnt(0)
	v_mul_f64 v[68:69], v[68:69], v[70:71]
	s_cbranch_execz .LBB95_130
	s_branch .LBB95_131
.LBB95_129:
                                        ; implicit-def: $vgpr68_vgpr69
.LBB95_130:
	ds_read_b64 v[68:69], v1
.LBB95_131:
	s_and_saveexec_b64 s[8:9], s[0:1]
	s_cbranch_execz .LBB95_135
; %bb.132:
	v_subrev_u32_e32 v70, 18, v0
	s_movk_i32 s28, 0x190
	s_mov_b64 s[0:1], 0
.LBB95_133:                             ; =>This Inner Loop Header: Depth=1
	scratch_load_dwordx2 v[72:73], off, s27
	v_mov_b32_e32 v71, s28
	ds_read_b64 v[74:75], v71
	v_add_u32_e32 v70, -1, v70
	s_add_i32 s28, s28, 8
	s_add_i32 s27, s27, 8
	v_cmp_eq_u32_e32 vcc, 0, v70
	s_or_b64 s[0:1], vcc, s[0:1]
	s_waitcnt vmcnt(0) lgkmcnt(0)
	v_fmac_f64_e32 v[68:69], v[72:73], v[74:75]
	s_andn2_b64 exec, exec, s[0:1]
	s_cbranch_execnz .LBB95_133
; %bb.134:
	s_or_b64 exec, exec, s[0:1]
.LBB95_135:
	s_or_b64 exec, exec, s[8:9]
	v_mov_b32_e32 v70, 0
	ds_read_b64 v[70:71], v70 offset:136
	s_waitcnt lgkmcnt(0)
	v_mul_f64 v[68:69], v[68:69], v[70:71]
	scratch_store_dwordx2 off, v[68:69], off offset:136
.LBB95_136:
	s_or_b64 exec, exec, s[4:5]
	scratch_load_dwordx2 v[68:69], off, off offset:128
	v_cmp_lt_u32_e64 s[0:1], 16, v0
	s_waitcnt vmcnt(0)
	ds_write_b64 v1, v[68:69]
	s_waitcnt lgkmcnt(0)
	; wave barrier
	s_and_saveexec_b64 s[4:5], s[0:1]
	s_cbranch_execz .LBB95_146
; %bb.137:
	s_andn2_b64 vcc, exec, s[6:7]
	s_cbranch_vccnz .LBB95_139
; %bb.138:
	scratch_load_dwordx2 v[68:69], v19, off
	ds_read_b64 v[70:71], v1
	s_waitcnt vmcnt(0) lgkmcnt(0)
	v_mul_f64 v[68:69], v[68:69], v[70:71]
	s_cbranch_execz .LBB95_140
	s_branch .LBB95_141
.LBB95_139:
                                        ; implicit-def: $vgpr68_vgpr69
.LBB95_140:
	ds_read_b64 v[68:69], v1
.LBB95_141:
	s_and_saveexec_b64 s[8:9], s[2:3]
	s_cbranch_execz .LBB95_145
; %bb.142:
	v_subrev_u32_e32 v70, 17, v0
	s_movk_i32 s27, 0x188
	s_mov_b64 s[2:3], 0
.LBB95_143:                             ; =>This Inner Loop Header: Depth=1
	scratch_load_dwordx2 v[72:73], off, s26
	v_mov_b32_e32 v71, s27
	ds_read_b64 v[74:75], v71
	v_add_u32_e32 v70, -1, v70
	s_add_i32 s27, s27, 8
	s_add_i32 s26, s26, 8
	v_cmp_eq_u32_e32 vcc, 0, v70
	s_or_b64 s[2:3], vcc, s[2:3]
	s_waitcnt vmcnt(0) lgkmcnt(0)
	v_fmac_f64_e32 v[68:69], v[72:73], v[74:75]
	s_andn2_b64 exec, exec, s[2:3]
	s_cbranch_execnz .LBB95_143
; %bb.144:
	s_or_b64 exec, exec, s[2:3]
.LBB95_145:
	s_or_b64 exec, exec, s[8:9]
	v_mov_b32_e32 v70, 0
	ds_read_b64 v[70:71], v70 offset:128
	s_waitcnt lgkmcnt(0)
	v_mul_f64 v[68:69], v[68:69], v[70:71]
	scratch_store_dwordx2 off, v[68:69], off offset:128
.LBB95_146:
	s_or_b64 exec, exec, s[4:5]
	scratch_load_dwordx2 v[68:69], off, off offset:120
	v_cmp_lt_u32_e64 s[2:3], 15, v0
	s_waitcnt vmcnt(0)
	ds_write_b64 v1, v[68:69]
	s_waitcnt lgkmcnt(0)
	; wave barrier
	s_and_saveexec_b64 s[4:5], s[2:3]
	s_cbranch_execz .LBB95_156
; %bb.147:
	s_andn2_b64 vcc, exec, s[6:7]
	s_cbranch_vccnz .LBB95_149
; %bb.148:
	scratch_load_dwordx2 v[68:69], v19, off
	ds_read_b64 v[70:71], v1
	s_waitcnt vmcnt(0) lgkmcnt(0)
	v_mul_f64 v[68:69], v[68:69], v[70:71]
	s_cbranch_execz .LBB95_150
	s_branch .LBB95_151
.LBB95_149:
                                        ; implicit-def: $vgpr68_vgpr69
.LBB95_150:
	ds_read_b64 v[68:69], v1
.LBB95_151:
	s_and_saveexec_b64 s[8:9], s[0:1]
	s_cbranch_execz .LBB95_155
; %bb.152:
	v_add_u32_e32 v70, -16, v0
	s_movk_i32 s26, 0x180
	s_mov_b64 s[0:1], 0
.LBB95_153:                             ; =>This Inner Loop Header: Depth=1
	scratch_load_dwordx2 v[72:73], off, s25
	v_mov_b32_e32 v71, s26
	ds_read_b64 v[74:75], v71
	v_add_u32_e32 v70, -1, v70
	s_add_i32 s26, s26, 8
	s_add_i32 s25, s25, 8
	v_cmp_eq_u32_e32 vcc, 0, v70
	s_or_b64 s[0:1], vcc, s[0:1]
	s_waitcnt vmcnt(0) lgkmcnt(0)
	v_fmac_f64_e32 v[68:69], v[72:73], v[74:75]
	s_andn2_b64 exec, exec, s[0:1]
	s_cbranch_execnz .LBB95_153
; %bb.154:
	s_or_b64 exec, exec, s[0:1]
.LBB95_155:
	s_or_b64 exec, exec, s[8:9]
	v_mov_b32_e32 v70, 0
	ds_read_b64 v[70:71], v70 offset:120
	s_waitcnt lgkmcnt(0)
	v_mul_f64 v[68:69], v[68:69], v[70:71]
	scratch_store_dwordx2 off, v[68:69], off offset:120
.LBB95_156:
	s_or_b64 exec, exec, s[4:5]
	scratch_load_dwordx2 v[68:69], off, off offset:112
	v_cmp_lt_u32_e64 s[0:1], 14, v0
	s_waitcnt vmcnt(0)
	ds_write_b64 v1, v[68:69]
	s_waitcnt lgkmcnt(0)
	; wave barrier
	s_and_saveexec_b64 s[4:5], s[0:1]
	s_cbranch_execz .LBB95_166
; %bb.157:
	s_andn2_b64 vcc, exec, s[6:7]
	s_cbranch_vccnz .LBB95_159
; %bb.158:
	scratch_load_dwordx2 v[68:69], v19, off
	ds_read_b64 v[70:71], v1
	s_waitcnt vmcnt(0) lgkmcnt(0)
	v_mul_f64 v[68:69], v[68:69], v[70:71]
	s_cbranch_execz .LBB95_160
	s_branch .LBB95_161
.LBB95_159:
                                        ; implicit-def: $vgpr68_vgpr69
.LBB95_160:
	ds_read_b64 v[68:69], v1
.LBB95_161:
	s_and_saveexec_b64 s[8:9], s[2:3]
	s_cbranch_execz .LBB95_165
; %bb.162:
	v_add_u32_e32 v70, -15, v0
	s_movk_i32 s25, 0x178
	s_mov_b64 s[2:3], 0
.LBB95_163:                             ; =>This Inner Loop Header: Depth=1
	scratch_load_dwordx2 v[72:73], off, s24
	v_mov_b32_e32 v71, s25
	ds_read_b64 v[74:75], v71
	v_add_u32_e32 v70, -1, v70
	s_add_i32 s25, s25, 8
	s_add_i32 s24, s24, 8
	v_cmp_eq_u32_e32 vcc, 0, v70
	s_or_b64 s[2:3], vcc, s[2:3]
	s_waitcnt vmcnt(0) lgkmcnt(0)
	v_fmac_f64_e32 v[68:69], v[72:73], v[74:75]
	s_andn2_b64 exec, exec, s[2:3]
	s_cbranch_execnz .LBB95_163
; %bb.164:
	s_or_b64 exec, exec, s[2:3]
.LBB95_165:
	s_or_b64 exec, exec, s[8:9]
	v_mov_b32_e32 v70, 0
	ds_read_b64 v[70:71], v70 offset:112
	s_waitcnt lgkmcnt(0)
	v_mul_f64 v[68:69], v[68:69], v[70:71]
	scratch_store_dwordx2 off, v[68:69], off offset:112
.LBB95_166:
	s_or_b64 exec, exec, s[4:5]
	scratch_load_dwordx2 v[68:69], off, off offset:104
	v_cmp_lt_u32_e64 s[2:3], 13, v0
	s_waitcnt vmcnt(0)
	ds_write_b64 v1, v[68:69]
	s_waitcnt lgkmcnt(0)
	; wave barrier
	s_and_saveexec_b64 s[4:5], s[2:3]
	s_cbranch_execz .LBB95_176
; %bb.167:
	s_andn2_b64 vcc, exec, s[6:7]
	s_cbranch_vccnz .LBB95_169
; %bb.168:
	scratch_load_dwordx2 v[68:69], v19, off
	ds_read_b64 v[70:71], v1
	s_waitcnt vmcnt(0) lgkmcnt(0)
	v_mul_f64 v[68:69], v[68:69], v[70:71]
	s_cbranch_execz .LBB95_170
	s_branch .LBB95_171
.LBB95_169:
                                        ; implicit-def: $vgpr68_vgpr69
.LBB95_170:
	ds_read_b64 v[68:69], v1
.LBB95_171:
	s_and_saveexec_b64 s[8:9], s[0:1]
	s_cbranch_execz .LBB95_175
; %bb.172:
	v_add_u32_e32 v70, -14, v0
	s_movk_i32 s24, 0x170
	s_mov_b64 s[0:1], 0
.LBB95_173:                             ; =>This Inner Loop Header: Depth=1
	scratch_load_dwordx2 v[72:73], off, s23
	v_mov_b32_e32 v71, s24
	ds_read_b64 v[74:75], v71
	v_add_u32_e32 v70, -1, v70
	s_add_i32 s24, s24, 8
	s_add_i32 s23, s23, 8
	v_cmp_eq_u32_e32 vcc, 0, v70
	s_or_b64 s[0:1], vcc, s[0:1]
	s_waitcnt vmcnt(0) lgkmcnt(0)
	v_fmac_f64_e32 v[68:69], v[72:73], v[74:75]
	s_andn2_b64 exec, exec, s[0:1]
	s_cbranch_execnz .LBB95_173
; %bb.174:
	s_or_b64 exec, exec, s[0:1]
.LBB95_175:
	s_or_b64 exec, exec, s[8:9]
	v_mov_b32_e32 v70, 0
	ds_read_b64 v[70:71], v70 offset:104
	s_waitcnt lgkmcnt(0)
	v_mul_f64 v[68:69], v[68:69], v[70:71]
	scratch_store_dwordx2 off, v[68:69], off offset:104
.LBB95_176:
	s_or_b64 exec, exec, s[4:5]
	scratch_load_dwordx2 v[68:69], off, off offset:96
	v_cmp_lt_u32_e64 s[0:1], 12, v0
	s_waitcnt vmcnt(0)
	ds_write_b64 v1, v[68:69]
	s_waitcnt lgkmcnt(0)
	; wave barrier
	s_and_saveexec_b64 s[4:5], s[0:1]
	s_cbranch_execz .LBB95_186
; %bb.177:
	s_andn2_b64 vcc, exec, s[6:7]
	s_cbranch_vccnz .LBB95_179
; %bb.178:
	scratch_load_dwordx2 v[68:69], v19, off
	ds_read_b64 v[70:71], v1
	s_waitcnt vmcnt(0) lgkmcnt(0)
	v_mul_f64 v[68:69], v[68:69], v[70:71]
	s_cbranch_execz .LBB95_180
	s_branch .LBB95_181
.LBB95_179:
                                        ; implicit-def: $vgpr68_vgpr69
.LBB95_180:
	ds_read_b64 v[68:69], v1
.LBB95_181:
	s_and_saveexec_b64 s[8:9], s[2:3]
	s_cbranch_execz .LBB95_185
; %bb.182:
	v_add_u32_e32 v70, -13, v0
	s_movk_i32 s23, 0x168
	s_mov_b64 s[2:3], 0
.LBB95_183:                             ; =>This Inner Loop Header: Depth=1
	scratch_load_dwordx2 v[72:73], off, s22
	v_mov_b32_e32 v71, s23
	ds_read_b64 v[74:75], v71
	v_add_u32_e32 v70, -1, v70
	s_add_i32 s23, s23, 8
	s_add_i32 s22, s22, 8
	v_cmp_eq_u32_e32 vcc, 0, v70
	s_or_b64 s[2:3], vcc, s[2:3]
	s_waitcnt vmcnt(0) lgkmcnt(0)
	v_fmac_f64_e32 v[68:69], v[72:73], v[74:75]
	s_andn2_b64 exec, exec, s[2:3]
	s_cbranch_execnz .LBB95_183
; %bb.184:
	s_or_b64 exec, exec, s[2:3]
.LBB95_185:
	s_or_b64 exec, exec, s[8:9]
	v_mov_b32_e32 v70, 0
	ds_read_b64 v[70:71], v70 offset:96
	s_waitcnt lgkmcnt(0)
	v_mul_f64 v[68:69], v[68:69], v[70:71]
	scratch_store_dwordx2 off, v[68:69], off offset:96
.LBB95_186:
	s_or_b64 exec, exec, s[4:5]
	scratch_load_dwordx2 v[68:69], off, off offset:88
	v_cmp_lt_u32_e64 s[2:3], 11, v0
	s_waitcnt vmcnt(0)
	ds_write_b64 v1, v[68:69]
	s_waitcnt lgkmcnt(0)
	; wave barrier
	s_and_saveexec_b64 s[4:5], s[2:3]
	s_cbranch_execz .LBB95_196
; %bb.187:
	s_andn2_b64 vcc, exec, s[6:7]
	s_cbranch_vccnz .LBB95_189
; %bb.188:
	scratch_load_dwordx2 v[68:69], v19, off
	ds_read_b64 v[70:71], v1
	s_waitcnt vmcnt(0) lgkmcnt(0)
	v_mul_f64 v[68:69], v[68:69], v[70:71]
	s_cbranch_execz .LBB95_190
	s_branch .LBB95_191
.LBB95_189:
                                        ; implicit-def: $vgpr68_vgpr69
.LBB95_190:
	ds_read_b64 v[68:69], v1
.LBB95_191:
	s_and_saveexec_b64 s[8:9], s[0:1]
	s_cbranch_execz .LBB95_195
; %bb.192:
	v_add_u32_e32 v70, -12, v0
	s_movk_i32 s22, 0x160
	s_mov_b64 s[0:1], 0
.LBB95_193:                             ; =>This Inner Loop Header: Depth=1
	scratch_load_dwordx2 v[72:73], off, s21
	v_mov_b32_e32 v71, s22
	ds_read_b64 v[74:75], v71
	v_add_u32_e32 v70, -1, v70
	s_add_i32 s22, s22, 8
	s_add_i32 s21, s21, 8
	v_cmp_eq_u32_e32 vcc, 0, v70
	s_or_b64 s[0:1], vcc, s[0:1]
	s_waitcnt vmcnt(0) lgkmcnt(0)
	v_fmac_f64_e32 v[68:69], v[72:73], v[74:75]
	s_andn2_b64 exec, exec, s[0:1]
	s_cbranch_execnz .LBB95_193
; %bb.194:
	s_or_b64 exec, exec, s[0:1]
.LBB95_195:
	s_or_b64 exec, exec, s[8:9]
	v_mov_b32_e32 v70, 0
	ds_read_b64 v[70:71], v70 offset:88
	s_waitcnt lgkmcnt(0)
	v_mul_f64 v[68:69], v[68:69], v[70:71]
	scratch_store_dwordx2 off, v[68:69], off offset:88
.LBB95_196:
	s_or_b64 exec, exec, s[4:5]
	scratch_load_dwordx2 v[68:69], off, off offset:80
	v_cmp_lt_u32_e64 s[0:1], 10, v0
	s_waitcnt vmcnt(0)
	ds_write_b64 v1, v[68:69]
	s_waitcnt lgkmcnt(0)
	; wave barrier
	s_and_saveexec_b64 s[4:5], s[0:1]
	s_cbranch_execz .LBB95_206
; %bb.197:
	s_andn2_b64 vcc, exec, s[6:7]
	s_cbranch_vccnz .LBB95_199
; %bb.198:
	scratch_load_dwordx2 v[68:69], v19, off
	ds_read_b64 v[70:71], v1
	s_waitcnt vmcnt(0) lgkmcnt(0)
	v_mul_f64 v[68:69], v[68:69], v[70:71]
	s_cbranch_execz .LBB95_200
	s_branch .LBB95_201
.LBB95_199:
                                        ; implicit-def: $vgpr68_vgpr69
.LBB95_200:
	ds_read_b64 v[68:69], v1
.LBB95_201:
	s_and_saveexec_b64 s[8:9], s[2:3]
	s_cbranch_execz .LBB95_205
; %bb.202:
	v_add_u32_e32 v70, -11, v0
	s_movk_i32 s21, 0x158
	s_mov_b64 s[2:3], 0
.LBB95_203:                             ; =>This Inner Loop Header: Depth=1
	scratch_load_dwordx2 v[72:73], off, s20
	v_mov_b32_e32 v71, s21
	ds_read_b64 v[74:75], v71
	v_add_u32_e32 v70, -1, v70
	s_add_i32 s21, s21, 8
	s_add_i32 s20, s20, 8
	v_cmp_eq_u32_e32 vcc, 0, v70
	s_or_b64 s[2:3], vcc, s[2:3]
	s_waitcnt vmcnt(0) lgkmcnt(0)
	v_fmac_f64_e32 v[68:69], v[72:73], v[74:75]
	s_andn2_b64 exec, exec, s[2:3]
	s_cbranch_execnz .LBB95_203
; %bb.204:
	s_or_b64 exec, exec, s[2:3]
.LBB95_205:
	s_or_b64 exec, exec, s[8:9]
	v_mov_b32_e32 v70, 0
	ds_read_b64 v[70:71], v70 offset:80
	s_waitcnt lgkmcnt(0)
	v_mul_f64 v[68:69], v[68:69], v[70:71]
	scratch_store_dwordx2 off, v[68:69], off offset:80
.LBB95_206:
	s_or_b64 exec, exec, s[4:5]
	scratch_load_dwordx2 v[68:69], off, off offset:72
	v_cmp_lt_u32_e64 s[2:3], 9, v0
	s_waitcnt vmcnt(0)
	ds_write_b64 v1, v[68:69]
	s_waitcnt lgkmcnt(0)
	; wave barrier
	s_and_saveexec_b64 s[4:5], s[2:3]
	s_cbranch_execz .LBB95_216
; %bb.207:
	s_andn2_b64 vcc, exec, s[6:7]
	s_cbranch_vccnz .LBB95_209
; %bb.208:
	scratch_load_dwordx2 v[68:69], v19, off
	ds_read_b64 v[70:71], v1
	s_waitcnt vmcnt(0) lgkmcnt(0)
	v_mul_f64 v[68:69], v[68:69], v[70:71]
	s_cbranch_execz .LBB95_210
	s_branch .LBB95_211
.LBB95_209:
                                        ; implicit-def: $vgpr68_vgpr69
.LBB95_210:
	ds_read_b64 v[68:69], v1
.LBB95_211:
	s_and_saveexec_b64 s[8:9], s[0:1]
	s_cbranch_execz .LBB95_215
; %bb.212:
	v_add_u32_e32 v70, -10, v0
	s_movk_i32 s20, 0x150
	s_mov_b64 s[0:1], 0
.LBB95_213:                             ; =>This Inner Loop Header: Depth=1
	scratch_load_dwordx2 v[72:73], off, s19
	v_mov_b32_e32 v71, s20
	ds_read_b64 v[74:75], v71
	v_add_u32_e32 v70, -1, v70
	s_add_i32 s20, s20, 8
	s_add_i32 s19, s19, 8
	v_cmp_eq_u32_e32 vcc, 0, v70
	s_or_b64 s[0:1], vcc, s[0:1]
	s_waitcnt vmcnt(0) lgkmcnt(0)
	v_fmac_f64_e32 v[68:69], v[72:73], v[74:75]
	s_andn2_b64 exec, exec, s[0:1]
	s_cbranch_execnz .LBB95_213
; %bb.214:
	s_or_b64 exec, exec, s[0:1]
.LBB95_215:
	s_or_b64 exec, exec, s[8:9]
	v_mov_b32_e32 v70, 0
	ds_read_b64 v[70:71], v70 offset:72
	s_waitcnt lgkmcnt(0)
	v_mul_f64 v[68:69], v[68:69], v[70:71]
	scratch_store_dwordx2 off, v[68:69], off offset:72
.LBB95_216:
	s_or_b64 exec, exec, s[4:5]
	scratch_load_dwordx2 v[68:69], off, off offset:64
	v_cmp_lt_u32_e64 s[0:1], 8, v0
	s_waitcnt vmcnt(0)
	ds_write_b64 v1, v[68:69]
	s_waitcnt lgkmcnt(0)
	; wave barrier
	s_and_saveexec_b64 s[4:5], s[0:1]
	s_cbranch_execz .LBB95_226
; %bb.217:
	s_andn2_b64 vcc, exec, s[6:7]
	s_cbranch_vccnz .LBB95_219
; %bb.218:
	scratch_load_dwordx2 v[68:69], v19, off
	ds_read_b64 v[70:71], v1
	s_waitcnt vmcnt(0) lgkmcnt(0)
	v_mul_f64 v[68:69], v[68:69], v[70:71]
	s_cbranch_execz .LBB95_220
	s_branch .LBB95_221
.LBB95_219:
                                        ; implicit-def: $vgpr68_vgpr69
.LBB95_220:
	ds_read_b64 v[68:69], v1
.LBB95_221:
	s_and_saveexec_b64 s[8:9], s[2:3]
	s_cbranch_execz .LBB95_225
; %bb.222:
	v_add_u32_e32 v70, -9, v0
	s_movk_i32 s19, 0x148
	s_mov_b64 s[2:3], 0
.LBB95_223:                             ; =>This Inner Loop Header: Depth=1
	scratch_load_dwordx2 v[72:73], off, s18
	v_mov_b32_e32 v71, s19
	ds_read_b64 v[74:75], v71
	v_add_u32_e32 v70, -1, v70
	s_add_i32 s19, s19, 8
	s_add_i32 s18, s18, 8
	v_cmp_eq_u32_e32 vcc, 0, v70
	s_or_b64 s[2:3], vcc, s[2:3]
	s_waitcnt vmcnt(0) lgkmcnt(0)
	v_fmac_f64_e32 v[68:69], v[72:73], v[74:75]
	s_andn2_b64 exec, exec, s[2:3]
	s_cbranch_execnz .LBB95_223
; %bb.224:
	s_or_b64 exec, exec, s[2:3]
.LBB95_225:
	s_or_b64 exec, exec, s[8:9]
	v_mov_b32_e32 v70, 0
	ds_read_b64 v[70:71], v70 offset:64
	s_waitcnt lgkmcnt(0)
	v_mul_f64 v[68:69], v[68:69], v[70:71]
	scratch_store_dwordx2 off, v[68:69], off offset:64
.LBB95_226:
	s_or_b64 exec, exec, s[4:5]
	scratch_load_dwordx2 v[68:69], off, off offset:56
	v_cmp_lt_u32_e64 s[2:3], 7, v0
	s_waitcnt vmcnt(0)
	ds_write_b64 v1, v[68:69]
	s_waitcnt lgkmcnt(0)
	; wave barrier
	s_and_saveexec_b64 s[4:5], s[2:3]
	s_cbranch_execz .LBB95_236
; %bb.227:
	s_andn2_b64 vcc, exec, s[6:7]
	s_cbranch_vccnz .LBB95_229
; %bb.228:
	scratch_load_dwordx2 v[68:69], v19, off
	ds_read_b64 v[70:71], v1
	s_waitcnt vmcnt(0) lgkmcnt(0)
	v_mul_f64 v[68:69], v[68:69], v[70:71]
	s_cbranch_execz .LBB95_230
	s_branch .LBB95_231
.LBB95_229:
                                        ; implicit-def: $vgpr68_vgpr69
.LBB95_230:
	ds_read_b64 v[68:69], v1
.LBB95_231:
	s_and_saveexec_b64 s[8:9], s[0:1]
	s_cbranch_execz .LBB95_235
; %bb.232:
	v_add_u32_e32 v70, -8, v0
	s_movk_i32 s18, 0x140
	s_mov_b64 s[0:1], 0
.LBB95_233:                             ; =>This Inner Loop Header: Depth=1
	scratch_load_dwordx2 v[72:73], off, s17
	v_mov_b32_e32 v71, s18
	ds_read_b64 v[74:75], v71
	v_add_u32_e32 v70, -1, v70
	s_add_i32 s18, s18, 8
	s_add_i32 s17, s17, 8
	v_cmp_eq_u32_e32 vcc, 0, v70
	s_or_b64 s[0:1], vcc, s[0:1]
	s_waitcnt vmcnt(0) lgkmcnt(0)
	v_fmac_f64_e32 v[68:69], v[72:73], v[74:75]
	s_andn2_b64 exec, exec, s[0:1]
	s_cbranch_execnz .LBB95_233
; %bb.234:
	s_or_b64 exec, exec, s[0:1]
.LBB95_235:
	s_or_b64 exec, exec, s[8:9]
	v_mov_b32_e32 v70, 0
	ds_read_b64 v[70:71], v70 offset:56
	s_waitcnt lgkmcnt(0)
	v_mul_f64 v[68:69], v[68:69], v[70:71]
	scratch_store_dwordx2 off, v[68:69], off offset:56
.LBB95_236:
	s_or_b64 exec, exec, s[4:5]
	scratch_load_dwordx2 v[68:69], off, off offset:48
	v_cmp_lt_u32_e64 s[0:1], 6, v0
	s_waitcnt vmcnt(0)
	ds_write_b64 v1, v[68:69]
	s_waitcnt lgkmcnt(0)
	; wave barrier
	s_and_saveexec_b64 s[4:5], s[0:1]
	s_cbranch_execz .LBB95_246
; %bb.237:
	s_andn2_b64 vcc, exec, s[6:7]
	s_cbranch_vccnz .LBB95_239
; %bb.238:
	scratch_load_dwordx2 v[68:69], v19, off
	ds_read_b64 v[70:71], v1
	s_waitcnt vmcnt(0) lgkmcnt(0)
	v_mul_f64 v[68:69], v[68:69], v[70:71]
	s_cbranch_execz .LBB95_240
	s_branch .LBB95_241
.LBB95_239:
                                        ; implicit-def: $vgpr68_vgpr69
.LBB95_240:
	ds_read_b64 v[68:69], v1
.LBB95_241:
	s_and_saveexec_b64 s[8:9], s[2:3]
	s_cbranch_execz .LBB95_245
; %bb.242:
	v_add_u32_e32 v70, -7, v0
	s_movk_i32 s17, 0x138
	s_mov_b64 s[2:3], 0
.LBB95_243:                             ; =>This Inner Loop Header: Depth=1
	scratch_load_dwordx2 v[72:73], off, s16
	v_mov_b32_e32 v71, s17
	ds_read_b64 v[74:75], v71
	v_add_u32_e32 v70, -1, v70
	s_add_i32 s17, s17, 8
	s_add_i32 s16, s16, 8
	v_cmp_eq_u32_e32 vcc, 0, v70
	s_or_b64 s[2:3], vcc, s[2:3]
	s_waitcnt vmcnt(0) lgkmcnt(0)
	v_fmac_f64_e32 v[68:69], v[72:73], v[74:75]
	s_andn2_b64 exec, exec, s[2:3]
	s_cbranch_execnz .LBB95_243
; %bb.244:
	s_or_b64 exec, exec, s[2:3]
.LBB95_245:
	s_or_b64 exec, exec, s[8:9]
	v_mov_b32_e32 v70, 0
	ds_read_b64 v[70:71], v70 offset:48
	s_waitcnt lgkmcnt(0)
	v_mul_f64 v[68:69], v[68:69], v[70:71]
	scratch_store_dwordx2 off, v[68:69], off offset:48
.LBB95_246:
	s_or_b64 exec, exec, s[4:5]
	scratch_load_dwordx2 v[68:69], off, off offset:40
	v_cmp_lt_u32_e64 s[2:3], 5, v0
	s_waitcnt vmcnt(0)
	ds_write_b64 v1, v[68:69]
	s_waitcnt lgkmcnt(0)
	; wave barrier
	s_and_saveexec_b64 s[4:5], s[2:3]
	s_cbranch_execz .LBB95_256
; %bb.247:
	s_andn2_b64 vcc, exec, s[6:7]
	s_cbranch_vccnz .LBB95_249
; %bb.248:
	scratch_load_dwordx2 v[68:69], v19, off
	ds_read_b64 v[70:71], v1
	s_waitcnt vmcnt(0) lgkmcnt(0)
	v_mul_f64 v[68:69], v[68:69], v[70:71]
	s_cbranch_execz .LBB95_250
	s_branch .LBB95_251
.LBB95_249:
                                        ; implicit-def: $vgpr68_vgpr69
.LBB95_250:
	ds_read_b64 v[68:69], v1
.LBB95_251:
	s_and_saveexec_b64 s[8:9], s[0:1]
	s_cbranch_execz .LBB95_255
; %bb.252:
	v_add_u32_e32 v70, -6, v0
	s_movk_i32 s16, 0x130
	s_mov_b64 s[0:1], 0
.LBB95_253:                             ; =>This Inner Loop Header: Depth=1
	scratch_load_dwordx2 v[72:73], off, s15
	v_mov_b32_e32 v71, s16
	ds_read_b64 v[74:75], v71
	v_add_u32_e32 v70, -1, v70
	s_add_i32 s16, s16, 8
	s_add_i32 s15, s15, 8
	v_cmp_eq_u32_e32 vcc, 0, v70
	s_or_b64 s[0:1], vcc, s[0:1]
	s_waitcnt vmcnt(0) lgkmcnt(0)
	v_fmac_f64_e32 v[68:69], v[72:73], v[74:75]
	s_andn2_b64 exec, exec, s[0:1]
	s_cbranch_execnz .LBB95_253
; %bb.254:
	s_or_b64 exec, exec, s[0:1]
.LBB95_255:
	s_or_b64 exec, exec, s[8:9]
	v_mov_b32_e32 v70, 0
	ds_read_b64 v[70:71], v70 offset:40
	s_waitcnt lgkmcnt(0)
	v_mul_f64 v[68:69], v[68:69], v[70:71]
	scratch_store_dwordx2 off, v[68:69], off offset:40
.LBB95_256:
	s_or_b64 exec, exec, s[4:5]
	scratch_load_dwordx2 v[68:69], off, off offset:32
	v_cmp_lt_u32_e64 s[0:1], 4, v0
	s_waitcnt vmcnt(0)
	ds_write_b64 v1, v[68:69]
	s_waitcnt lgkmcnt(0)
	; wave barrier
	s_and_saveexec_b64 s[4:5], s[0:1]
	s_cbranch_execz .LBB95_266
; %bb.257:
	s_andn2_b64 vcc, exec, s[6:7]
	s_cbranch_vccnz .LBB95_259
; %bb.258:
	scratch_load_dwordx2 v[68:69], v19, off
	ds_read_b64 v[70:71], v1
	s_waitcnt vmcnt(0) lgkmcnt(0)
	v_mul_f64 v[68:69], v[68:69], v[70:71]
	s_cbranch_execz .LBB95_260
	s_branch .LBB95_261
.LBB95_259:
                                        ; implicit-def: $vgpr68_vgpr69
.LBB95_260:
	ds_read_b64 v[68:69], v1
.LBB95_261:
	s_and_saveexec_b64 s[8:9], s[2:3]
	s_cbranch_execz .LBB95_265
; %bb.262:
	v_add_u32_e32 v70, -5, v0
	s_movk_i32 s15, 0x128
	s_mov_b64 s[2:3], 0
.LBB95_263:                             ; =>This Inner Loop Header: Depth=1
	scratch_load_dwordx2 v[72:73], off, s14
	v_mov_b32_e32 v71, s15
	ds_read_b64 v[74:75], v71
	v_add_u32_e32 v70, -1, v70
	s_add_i32 s15, s15, 8
	s_add_i32 s14, s14, 8
	v_cmp_eq_u32_e32 vcc, 0, v70
	s_or_b64 s[2:3], vcc, s[2:3]
	s_waitcnt vmcnt(0) lgkmcnt(0)
	v_fmac_f64_e32 v[68:69], v[72:73], v[74:75]
	s_andn2_b64 exec, exec, s[2:3]
	s_cbranch_execnz .LBB95_263
; %bb.264:
	s_or_b64 exec, exec, s[2:3]
.LBB95_265:
	s_or_b64 exec, exec, s[8:9]
	v_mov_b32_e32 v70, 0
	ds_read_b64 v[70:71], v70 offset:32
	s_waitcnt lgkmcnt(0)
	v_mul_f64 v[68:69], v[68:69], v[70:71]
	scratch_store_dwordx2 off, v[68:69], off offset:32
.LBB95_266:
	s_or_b64 exec, exec, s[4:5]
	scratch_load_dwordx2 v[68:69], off, off offset:24
	v_cmp_lt_u32_e64 s[2:3], 3, v0
	s_waitcnt vmcnt(0)
	ds_write_b64 v1, v[68:69]
	s_waitcnt lgkmcnt(0)
	; wave barrier
	s_and_saveexec_b64 s[4:5], s[2:3]
	s_cbranch_execz .LBB95_276
; %bb.267:
	s_andn2_b64 vcc, exec, s[6:7]
	s_cbranch_vccnz .LBB95_269
; %bb.268:
	scratch_load_dwordx2 v[68:69], v19, off
	ds_read_b64 v[70:71], v1
	s_waitcnt vmcnt(0) lgkmcnt(0)
	v_mul_f64 v[68:69], v[68:69], v[70:71]
	s_cbranch_execz .LBB95_270
	s_branch .LBB95_271
.LBB95_269:
                                        ; implicit-def: $vgpr68_vgpr69
.LBB95_270:
	ds_read_b64 v[68:69], v1
.LBB95_271:
	s_and_saveexec_b64 s[8:9], s[0:1]
	s_cbranch_execz .LBB95_275
; %bb.272:
	v_add_u32_e32 v70, -4, v0
	s_movk_i32 s14, 0x120
	s_mov_b64 s[0:1], 0
.LBB95_273:                             ; =>This Inner Loop Header: Depth=1
	scratch_load_dwordx2 v[72:73], off, s13
	v_mov_b32_e32 v71, s14
	ds_read_b64 v[74:75], v71
	v_add_u32_e32 v70, -1, v70
	s_add_i32 s14, s14, 8
	s_add_i32 s13, s13, 8
	v_cmp_eq_u32_e32 vcc, 0, v70
	s_or_b64 s[0:1], vcc, s[0:1]
	s_waitcnt vmcnt(0) lgkmcnt(0)
	v_fmac_f64_e32 v[68:69], v[72:73], v[74:75]
	s_andn2_b64 exec, exec, s[0:1]
	s_cbranch_execnz .LBB95_273
; %bb.274:
	s_or_b64 exec, exec, s[0:1]
.LBB95_275:
	s_or_b64 exec, exec, s[8:9]
	v_mov_b32_e32 v70, 0
	ds_read_b64 v[70:71], v70 offset:24
	s_waitcnt lgkmcnt(0)
	v_mul_f64 v[68:69], v[68:69], v[70:71]
	scratch_store_dwordx2 off, v[68:69], off offset:24
.LBB95_276:
	s_or_b64 exec, exec, s[4:5]
	scratch_load_dwordx2 v[68:69], off, off offset:16
	v_cmp_lt_u32_e64 s[0:1], 2, v0
	s_waitcnt vmcnt(0)
	ds_write_b64 v1, v[68:69]
	s_waitcnt lgkmcnt(0)
	; wave barrier
	s_and_saveexec_b64 s[4:5], s[0:1]
	s_cbranch_execz .LBB95_286
; %bb.277:
	s_andn2_b64 vcc, exec, s[6:7]
	s_cbranch_vccnz .LBB95_279
; %bb.278:
	scratch_load_dwordx2 v[68:69], v19, off
	ds_read_b64 v[70:71], v1
	s_waitcnt vmcnt(0) lgkmcnt(0)
	v_mul_f64 v[68:69], v[68:69], v[70:71]
	s_cbranch_execz .LBB95_280
	s_branch .LBB95_281
.LBB95_279:
                                        ; implicit-def: $vgpr68_vgpr69
.LBB95_280:
	ds_read_b64 v[68:69], v1
.LBB95_281:
	s_and_saveexec_b64 s[8:9], s[2:3]
	s_cbranch_execz .LBB95_285
; %bb.282:
	v_add_u32_e32 v70, -3, v0
	s_movk_i32 s13, 0x118
	s_mov_b64 s[2:3], 0
.LBB95_283:                             ; =>This Inner Loop Header: Depth=1
	scratch_load_dwordx2 v[72:73], off, s12
	v_mov_b32_e32 v71, s13
	ds_read_b64 v[74:75], v71
	v_add_u32_e32 v70, -1, v70
	s_add_i32 s13, s13, 8
	s_add_i32 s12, s12, 8
	v_cmp_eq_u32_e32 vcc, 0, v70
	s_or_b64 s[2:3], vcc, s[2:3]
	s_waitcnt vmcnt(0) lgkmcnt(0)
	v_fmac_f64_e32 v[68:69], v[72:73], v[74:75]
	s_andn2_b64 exec, exec, s[2:3]
	s_cbranch_execnz .LBB95_283
; %bb.284:
	s_or_b64 exec, exec, s[2:3]
.LBB95_285:
	s_or_b64 exec, exec, s[8:9]
	v_mov_b32_e32 v70, 0
	ds_read_b64 v[70:71], v70 offset:16
	s_waitcnt lgkmcnt(0)
	v_mul_f64 v[68:69], v[68:69], v[70:71]
	scratch_store_dwordx2 off, v[68:69], off offset:16
.LBB95_286:
	s_or_b64 exec, exec, s[4:5]
	scratch_load_dwordx2 v[68:69], off, off offset:8
	v_cmp_lt_u32_e64 s[2:3], 1, v0
	s_waitcnt vmcnt(0)
	ds_write_b64 v1, v[68:69]
	s_waitcnt lgkmcnt(0)
	; wave barrier
	s_and_saveexec_b64 s[4:5], s[2:3]
	s_cbranch_execz .LBB95_296
; %bb.287:
	s_andn2_b64 vcc, exec, s[6:7]
	s_cbranch_vccnz .LBB95_289
; %bb.288:
	scratch_load_dwordx2 v[68:69], v19, off
	ds_read_b64 v[70:71], v1
	s_waitcnt vmcnt(0) lgkmcnt(0)
	v_mul_f64 v[68:69], v[68:69], v[70:71]
	s_cbranch_execz .LBB95_290
	s_branch .LBB95_291
.LBB95_289:
                                        ; implicit-def: $vgpr68_vgpr69
.LBB95_290:
	ds_read_b64 v[68:69], v1
.LBB95_291:
	s_and_saveexec_b64 s[8:9], s[0:1]
	s_cbranch_execz .LBB95_295
; %bb.292:
	v_add_u32_e32 v70, -2, v0
	s_movk_i32 s12, 0x110
	s_mov_b64 s[0:1], 0
.LBB95_293:                             ; =>This Inner Loop Header: Depth=1
	scratch_load_dwordx2 v[72:73], off, s11
	v_mov_b32_e32 v71, s12
	ds_read_b64 v[74:75], v71
	v_add_u32_e32 v70, -1, v70
	s_add_i32 s12, s12, 8
	s_add_i32 s11, s11, 8
	v_cmp_eq_u32_e32 vcc, 0, v70
	s_or_b64 s[0:1], vcc, s[0:1]
	s_waitcnt vmcnt(0) lgkmcnt(0)
	v_fmac_f64_e32 v[68:69], v[72:73], v[74:75]
	s_andn2_b64 exec, exec, s[0:1]
	s_cbranch_execnz .LBB95_293
; %bb.294:
	s_or_b64 exec, exec, s[0:1]
.LBB95_295:
	s_or_b64 exec, exec, s[8:9]
	v_mov_b32_e32 v70, 0
	ds_read_b64 v[70:71], v70 offset:8
	s_waitcnt lgkmcnt(0)
	v_mul_f64 v[68:69], v[68:69], v[70:71]
	scratch_store_dwordx2 off, v[68:69], off offset:8
.LBB95_296:
	s_or_b64 exec, exec, s[4:5]
	scratch_load_dwordx2 v[68:69], off, off
	v_cmp_ne_u32_e32 vcc, 0, v0
	s_waitcnt vmcnt(0)
	ds_write_b64 v1, v[68:69]
	s_waitcnt lgkmcnt(0)
	; wave barrier
	s_and_saveexec_b64 s[0:1], vcc
	s_cbranch_execz .LBB95_306
; %bb.297:
	s_andn2_b64 vcc, exec, s[6:7]
	s_cbranch_vccnz .LBB95_299
; %bb.298:
	scratch_load_dwordx2 v[68:69], v19, off
	ds_read_b64 v[70:71], v1
	s_waitcnt vmcnt(0) lgkmcnt(0)
	v_mul_f64 v[68:69], v[68:69], v[70:71]
	s_cbranch_execz .LBB95_300
	s_branch .LBB95_301
.LBB95_299:
                                        ; implicit-def: $vgpr68_vgpr69
.LBB95_300:
	ds_read_b64 v[68:69], v1
.LBB95_301:
	s_and_saveexec_b64 s[4:5], s[2:3]
	s_cbranch_execz .LBB95_305
; %bb.302:
	v_add_u32_e32 v70, -1, v0
	s_movk_i32 s8, 0x108
	s_mov_b64 s[2:3], 0
.LBB95_303:                             ; =>This Inner Loop Header: Depth=1
	scratch_load_dwordx2 v[72:73], off, s10
	v_mov_b32_e32 v71, s8
	ds_read_b64 v[74:75], v71
	v_add_u32_e32 v70, -1, v70
	s_add_i32 s8, s8, 8
	s_add_i32 s10, s10, 8
	v_cmp_eq_u32_e32 vcc, 0, v70
	s_or_b64 s[2:3], vcc, s[2:3]
	s_waitcnt vmcnt(0) lgkmcnt(0)
	v_fmac_f64_e32 v[68:69], v[72:73], v[74:75]
	s_andn2_b64 exec, exec, s[2:3]
	s_cbranch_execnz .LBB95_303
; %bb.304:
	s_or_b64 exec, exec, s[2:3]
.LBB95_305:
	s_or_b64 exec, exec, s[4:5]
	v_mov_b32_e32 v70, 0
	ds_read_b64 v[70:71], v70
	s_waitcnt lgkmcnt(0)
	v_mul_f64 v[68:69], v[68:69], v[70:71]
	scratch_store_dwordx2 off, v[68:69], off
.LBB95_306:
	s_or_b64 exec, exec, s[0:1]
	s_mov_b64 s[0:1], 0
.LBB95_307:
	s_and_b64 vcc, exec, s[0:1]
	s_cbranch_vccz .LBB95_609
; %bb.308:
	scratch_load_dwordx2 v[68:69], off, off offset:8
	v_cmp_eq_u32_e64 s[2:3], 0, v0
	s_waitcnt vmcnt(0)
	ds_write_b64 v1, v[68:69]
	s_waitcnt lgkmcnt(0)
	; wave barrier
	s_and_saveexec_b64 s[0:1], s[2:3]
	s_cbranch_execz .LBB95_314
; %bb.309:
	s_and_b64 vcc, exec, s[6:7]
	s_cbranch_vccz .LBB95_311
; %bb.310:
	scratch_load_dwordx2 v[68:69], v19, off
	ds_read_b64 v[70:71], v1
	s_waitcnt vmcnt(0) lgkmcnt(0)
	v_mul_f64 v[68:69], v[68:69], v[70:71]
	s_cbranch_execz .LBB95_312
	s_branch .LBB95_313
.LBB95_311:
                                        ; implicit-def: $vgpr68_vgpr69
.LBB95_312:
	ds_read_b64 v[68:69], v1
.LBB95_313:
	v_mov_b32_e32 v70, 0
	ds_read_b64 v[70:71], v70 offset:8
	s_waitcnt lgkmcnt(0)
	v_mul_f64 v[68:69], v[68:69], v[70:71]
	scratch_store_dwordx2 off, v[68:69], off offset:8
.LBB95_314:
	s_or_b64 exec, exec, s[0:1]
	scratch_load_dwordx2 v[68:69], off, off offset:16
	v_cndmask_b32_e64 v70, 0, 1, s[6:7]
	v_cmp_gt_u32_e32 vcc, 2, v0
	v_cmp_ne_u32_e64 s[0:1], 1, v70
	s_waitcnt vmcnt(0)
	ds_write_b64 v1, v[68:69]
	s_waitcnt lgkmcnt(0)
	; wave barrier
	s_and_saveexec_b64 s[4:5], vcc
	s_cbranch_execz .LBB95_320
; %bb.315:
	s_and_b64 vcc, exec, s[0:1]
	s_cbranch_vccnz .LBB95_317
; %bb.316:
	scratch_load_dwordx2 v[68:69], v19, off
	ds_read_b64 v[70:71], v1
	s_waitcnt vmcnt(0) lgkmcnt(0)
	v_mul_f64 v[68:69], v[68:69], v[70:71]
	s_cbranch_execz .LBB95_318
	s_branch .LBB95_319
.LBB95_317:
                                        ; implicit-def: $vgpr68_vgpr69
.LBB95_318:
	ds_read_b64 v[68:69], v1
.LBB95_319:
	scratch_load_dwordx2 v[74:75], off, off offset:8
	v_mov_b32_e32 v70, 0
	ds_read2_b64 v[70:73], v70 offset0:2 offset1:33
	s_waitcnt vmcnt(0) lgkmcnt(0)
	v_fma_f64 v[72:73], v[74:75], v[72:73], v[68:69]
	v_cndmask_b32_e64 v69, v69, v73, s[2:3]
	v_cndmask_b32_e64 v68, v68, v72, s[2:3]
	v_mul_f64 v[68:69], v[68:69], v[70:71]
	scratch_store_dwordx2 off, v[68:69], off offset:16
.LBB95_320:
	s_or_b64 exec, exec, s[4:5]
	scratch_load_dwordx2 v[68:69], off, off offset:24
	v_cmp_gt_u32_e32 vcc, 3, v0
	s_waitcnt vmcnt(0)
	ds_write_b64 v1, v[68:69]
	s_waitcnt lgkmcnt(0)
	; wave barrier
	s_and_saveexec_b64 s[4:5], vcc
	s_cbranch_execz .LBB95_328
; %bb.321:
	s_and_b64 vcc, exec, s[0:1]
	s_cbranch_vccnz .LBB95_323
; %bb.322:
	scratch_load_dwordx2 v[68:69], v19, off
	ds_read_b64 v[70:71], v1
	s_waitcnt vmcnt(0) lgkmcnt(0)
	v_mul_f64 v[68:69], v[68:69], v[70:71]
	s_cbranch_execz .LBB95_324
	s_branch .LBB95_325
.LBB95_323:
                                        ; implicit-def: $vgpr68_vgpr69
.LBB95_324:
	ds_read_b64 v[68:69], v1
.LBB95_325:
	v_cmp_ne_u32_e32 vcc, 2, v0
	s_and_saveexec_b64 s[6:7], vcc
	s_cbranch_execz .LBB95_327
; %bb.326:
	scratch_load_dwordx2 v[70:71], v19, off offset:8
	scratch_load_dwordx2 v[72:73], off, off offset:16
	ds_read_b64 v[74:75], v1 offset:8
	v_mov_b32_e32 v76, 0
	ds_read_b64 v[76:77], v76 offset:272
	s_waitcnt vmcnt(1) lgkmcnt(1)
	v_fmac_f64_e32 v[68:69], v[70:71], v[74:75]
	s_waitcnt vmcnt(0) lgkmcnt(0)
	v_fma_f64 v[70:71], v[72:73], v[76:77], v[68:69]
	v_cndmask_b32_e64 v69, v69, v71, s[2:3]
	v_cndmask_b32_e64 v68, v68, v70, s[2:3]
.LBB95_327:
	s_or_b64 exec, exec, s[6:7]
	v_mov_b32_e32 v70, 0
	ds_read_b64 v[70:71], v70 offset:24
	s_waitcnt lgkmcnt(0)
	v_mul_f64 v[68:69], v[68:69], v[70:71]
	scratch_store_dwordx2 off, v[68:69], off offset:24
.LBB95_328:
	s_or_b64 exec, exec, s[4:5]
	scratch_load_dwordx2 v[68:69], off, off offset:32
	v_cmp_gt_u32_e32 vcc, 4, v0
	s_waitcnt vmcnt(0)
	ds_write_b64 v1, v[68:69]
	s_waitcnt lgkmcnt(0)
	; wave barrier
	s_and_saveexec_b64 s[2:3], vcc
	s_cbranch_execz .LBB95_338
; %bb.329:
	s_and_b64 vcc, exec, s[0:1]
	s_cbranch_vccnz .LBB95_331
; %bb.330:
	scratch_load_dwordx2 v[68:69], v19, off
	ds_read_b64 v[70:71], v1
	s_waitcnt vmcnt(0) lgkmcnt(0)
	v_mul_f64 v[68:69], v[68:69], v[70:71]
	s_cbranch_execz .LBB95_332
	s_branch .LBB95_333
.LBB95_331:
                                        ; implicit-def: $vgpr68_vgpr69
.LBB95_332:
	ds_read_b64 v[68:69], v1
.LBB95_333:
	v_cmp_ne_u32_e32 vcc, 3, v0
	s_and_saveexec_b64 s[4:5], vcc
	s_cbranch_execz .LBB95_337
; %bb.334:
	s_mov_b32 s6, 0
	v_add_u32_e32 v70, 0x108, v18
	v_add3_u32 v71, v18, s6, 8
	s_mov_b64 s[6:7], 0
	v_mov_b32_e32 v72, v0
.LBB95_335:                             ; =>This Inner Loop Header: Depth=1
	scratch_load_dwordx2 v[74:75], v71, off
	ds_read_b64 v[76:77], v70
	v_add_u32_e32 v72, 1, v72
	v_cmp_lt_u32_e32 vcc, 2, v72
	v_add_u32_e32 v70, 8, v70
	v_add_u32_e32 v71, 8, v71
	s_or_b64 s[6:7], vcc, s[6:7]
	s_waitcnt vmcnt(0) lgkmcnt(0)
	v_fmac_f64_e32 v[68:69], v[74:75], v[76:77]
	s_andn2_b64 exec, exec, s[6:7]
	s_cbranch_execnz .LBB95_335
; %bb.336:
	s_or_b64 exec, exec, s[6:7]
.LBB95_337:
	s_or_b64 exec, exec, s[4:5]
	v_mov_b32_e32 v70, 0
	ds_read_b64 v[70:71], v70 offset:32
	s_waitcnt lgkmcnt(0)
	v_mul_f64 v[68:69], v[68:69], v[70:71]
	scratch_store_dwordx2 off, v[68:69], off offset:32
.LBB95_338:
	s_or_b64 exec, exec, s[2:3]
	scratch_load_dwordx2 v[68:69], off, off offset:40
	v_cmp_gt_u32_e32 vcc, 5, v0
	s_waitcnt vmcnt(0)
	ds_write_b64 v1, v[68:69]
	s_waitcnt lgkmcnt(0)
	; wave barrier
	s_and_saveexec_b64 s[2:3], vcc
	s_cbranch_execz .LBB95_348
; %bb.339:
	s_and_b64 vcc, exec, s[0:1]
	s_cbranch_vccnz .LBB95_341
; %bb.340:
	scratch_load_dwordx2 v[68:69], v19, off
	ds_read_b64 v[70:71], v1
	s_waitcnt vmcnt(0) lgkmcnt(0)
	v_mul_f64 v[68:69], v[68:69], v[70:71]
	s_cbranch_execz .LBB95_342
	s_branch .LBB95_343
.LBB95_341:
                                        ; implicit-def: $vgpr68_vgpr69
.LBB95_342:
	ds_read_b64 v[68:69], v1
.LBB95_343:
	v_cmp_ne_u32_e32 vcc, 4, v0
	s_and_saveexec_b64 s[4:5], vcc
	s_cbranch_execz .LBB95_347
; %bb.344:
	s_mov_b32 s6, 0
	v_add_u32_e32 v70, 0x108, v18
	v_add3_u32 v71, v18, s6, 8
	s_mov_b64 s[6:7], 0
	v_mov_b32_e32 v72, v0
.LBB95_345:                             ; =>This Inner Loop Header: Depth=1
	scratch_load_dwordx2 v[74:75], v71, off
	ds_read_b64 v[76:77], v70
	v_add_u32_e32 v72, 1, v72
	v_cmp_lt_u32_e32 vcc, 3, v72
	v_add_u32_e32 v70, 8, v70
	v_add_u32_e32 v71, 8, v71
	s_or_b64 s[6:7], vcc, s[6:7]
	s_waitcnt vmcnt(0) lgkmcnt(0)
	v_fmac_f64_e32 v[68:69], v[74:75], v[76:77]
	s_andn2_b64 exec, exec, s[6:7]
	s_cbranch_execnz .LBB95_345
; %bb.346:
	s_or_b64 exec, exec, s[6:7]
.LBB95_347:
	s_or_b64 exec, exec, s[4:5]
	v_mov_b32_e32 v70, 0
	ds_read_b64 v[70:71], v70 offset:40
	s_waitcnt lgkmcnt(0)
	v_mul_f64 v[68:69], v[68:69], v[70:71]
	scratch_store_dwordx2 off, v[68:69], off offset:40
.LBB95_348:
	;; [unrolled: 55-line block ×26, first 2 shown]
	s_or_b64 exec, exec, s[2:3]
	scratch_load_dwordx2 v[68:69], off, off offset:240
	v_cmp_gt_u32_e64 s[2:3], 30, v0
	s_waitcnt vmcnt(0)
	ds_write_b64 v1, v[68:69]
	s_waitcnt lgkmcnt(0)
	; wave barrier
	s_and_saveexec_b64 s[4:5], s[2:3]
	s_cbranch_execz .LBB95_598
; %bb.589:
	s_and_b64 vcc, exec, s[0:1]
	s_cbranch_vccnz .LBB95_591
; %bb.590:
	scratch_load_dwordx2 v[68:69], v19, off
	ds_read_b64 v[70:71], v1
	s_waitcnt vmcnt(0) lgkmcnt(0)
	v_mul_f64 v[68:69], v[68:69], v[70:71]
	s_cbranch_execz .LBB95_592
	s_branch .LBB95_593
.LBB95_591:
                                        ; implicit-def: $vgpr68_vgpr69
.LBB95_592:
	ds_read_b64 v[68:69], v1
.LBB95_593:
	v_cmp_ne_u32_e32 vcc, 29, v0
	s_and_saveexec_b64 s[6:7], vcc
	s_cbranch_execz .LBB95_597
; %bb.594:
	s_mov_b32 s8, 0
	v_add_u32_e32 v70, 0x108, v18
	v_add3_u32 v71, v18, s8, 8
	s_mov_b64 s[8:9], 0
	v_mov_b32_e32 v72, v0
.LBB95_595:                             ; =>This Inner Loop Header: Depth=1
	scratch_load_dwordx2 v[74:75], v71, off
	ds_read_b64 v[76:77], v70
	v_add_u32_e32 v72, 1, v72
	v_cmp_lt_u32_e32 vcc, 28, v72
	v_add_u32_e32 v70, 8, v70
	v_add_u32_e32 v71, 8, v71
	s_or_b64 s[8:9], vcc, s[8:9]
	s_waitcnt vmcnt(0) lgkmcnt(0)
	v_fmac_f64_e32 v[68:69], v[74:75], v[76:77]
	s_andn2_b64 exec, exec, s[8:9]
	s_cbranch_execnz .LBB95_595
; %bb.596:
	s_or_b64 exec, exec, s[8:9]
.LBB95_597:
	s_or_b64 exec, exec, s[6:7]
	v_mov_b32_e32 v70, 0
	ds_read_b64 v[70:71], v70 offset:240
	s_waitcnt lgkmcnt(0)
	v_mul_f64 v[68:69], v[68:69], v[70:71]
	scratch_store_dwordx2 off, v[68:69], off offset:240
.LBB95_598:
	s_or_b64 exec, exec, s[4:5]
	scratch_load_dwordx2 v[68:69], off, off offset:248
	v_cmp_ne_u32_e32 vcc, 31, v0
	s_waitcnt vmcnt(0)
	ds_write_b64 v1, v[68:69]
	s_waitcnt lgkmcnt(0)
	; wave barrier
	s_and_saveexec_b64 s[4:5], vcc
	s_cbranch_execz .LBB95_608
; %bb.599:
	s_and_b64 vcc, exec, s[0:1]
	s_cbranch_vccnz .LBB95_601
; %bb.600:
	scratch_load_dwordx2 v[68:69], v19, off
	ds_read_b64 v[70:71], v1
	s_waitcnt vmcnt(0) lgkmcnt(0)
	v_mul_f64 v[68:69], v[68:69], v[70:71]
	s_cbranch_execz .LBB95_602
	s_branch .LBB95_603
.LBB95_601:
                                        ; implicit-def: $vgpr68_vgpr69
.LBB95_602:
	ds_read_b64 v[68:69], v1
.LBB95_603:
	s_and_saveexec_b64 s[0:1], s[2:3]
	s_cbranch_execz .LBB95_607
; %bb.604:
	s_mov_b32 s2, 0
	v_add_u32_e32 v1, 0x108, v18
	v_add3_u32 v18, v18, s2, 8
	s_mov_b64 s[2:3], 0
.LBB95_605:                             ; =>This Inner Loop Header: Depth=1
	scratch_load_dwordx2 v[70:71], v18, off
	ds_read_b64 v[72:73], v1
	v_add_u32_e32 v0, 1, v0
	v_cmp_lt_u32_e32 vcc, 29, v0
	v_add_u32_e32 v1, 8, v1
	v_add_u32_e32 v18, 8, v18
	s_or_b64 s[2:3], vcc, s[2:3]
	s_waitcnt vmcnt(0) lgkmcnt(0)
	v_fmac_f64_e32 v[68:69], v[70:71], v[72:73]
	s_andn2_b64 exec, exec, s[2:3]
	s_cbranch_execnz .LBB95_605
; %bb.606:
	s_or_b64 exec, exec, s[2:3]
.LBB95_607:
	s_or_b64 exec, exec, s[0:1]
	v_mov_b32_e32 v0, 0
	ds_read_b64 v[0:1], v0 offset:248
	s_waitcnt lgkmcnt(0)
	v_mul_f64 v[0:1], v[68:69], v[0:1]
	scratch_store_dwordx2 off, v[0:1], off offset:248
.LBB95_608:
	s_or_b64 exec, exec, s[4:5]
.LBB95_609:
	scratch_load_dwordx2 v[0:1], off, off
	s_waitcnt vmcnt(0)
	flat_store_dwordx2 v[2:3], v[0:1]
	scratch_load_dwordx2 v[0:1], off, off offset:8
	s_waitcnt vmcnt(0)
	flat_store_dwordx2 v[4:5], v[0:1]
	scratch_load_dwordx2 v[0:1], off, off offset:16
	;; [unrolled: 3-line block ×31, first 2 shown]
	s_waitcnt vmcnt(0)
	flat_store_dwordx2 v[66:67], v[0:1]
.LBB95_610:
	s_endpgm
	.section	.rodata,"a",@progbits
	.p2align	6, 0x0
	.amdhsa_kernel _ZN9rocsolver6v33100L18trti2_kernel_smallILi32EdPKPdEEv13rocblas_fill_17rocblas_diagonal_T1_iil
		.amdhsa_group_segment_fixed_size 512
		.amdhsa_private_segment_fixed_size 272
		.amdhsa_kernarg_size 32
		.amdhsa_user_sgpr_count 2
		.amdhsa_user_sgpr_dispatch_ptr 0
		.amdhsa_user_sgpr_queue_ptr 0
		.amdhsa_user_sgpr_kernarg_segment_ptr 1
		.amdhsa_user_sgpr_dispatch_id 0
		.amdhsa_user_sgpr_kernarg_preload_length 0
		.amdhsa_user_sgpr_kernarg_preload_offset 0
		.amdhsa_user_sgpr_private_segment_size 0
		.amdhsa_uses_dynamic_stack 0
		.amdhsa_enable_private_segment 1
		.amdhsa_system_sgpr_workgroup_id_x 1
		.amdhsa_system_sgpr_workgroup_id_y 0
		.amdhsa_system_sgpr_workgroup_id_z 0
		.amdhsa_system_sgpr_workgroup_info 0
		.amdhsa_system_vgpr_workitem_id 0
		.amdhsa_next_free_vgpr 78
		.amdhsa_next_free_sgpr 41
		.amdhsa_accum_offset 80
		.amdhsa_reserve_vcc 1
		.amdhsa_float_round_mode_32 0
		.amdhsa_float_round_mode_16_64 0
		.amdhsa_float_denorm_mode_32 3
		.amdhsa_float_denorm_mode_16_64 3
		.amdhsa_dx10_clamp 1
		.amdhsa_ieee_mode 1
		.amdhsa_fp16_overflow 0
		.amdhsa_tg_split 0
		.amdhsa_exception_fp_ieee_invalid_op 0
		.amdhsa_exception_fp_denorm_src 0
		.amdhsa_exception_fp_ieee_div_zero 0
		.amdhsa_exception_fp_ieee_overflow 0
		.amdhsa_exception_fp_ieee_underflow 0
		.amdhsa_exception_fp_ieee_inexact 0
		.amdhsa_exception_int_div_zero 0
	.end_amdhsa_kernel
	.section	.text._ZN9rocsolver6v33100L18trti2_kernel_smallILi32EdPKPdEEv13rocblas_fill_17rocblas_diagonal_T1_iil,"axG",@progbits,_ZN9rocsolver6v33100L18trti2_kernel_smallILi32EdPKPdEEv13rocblas_fill_17rocblas_diagonal_T1_iil,comdat
.Lfunc_end95:
	.size	_ZN9rocsolver6v33100L18trti2_kernel_smallILi32EdPKPdEEv13rocblas_fill_17rocblas_diagonal_T1_iil, .Lfunc_end95-_ZN9rocsolver6v33100L18trti2_kernel_smallILi32EdPKPdEEv13rocblas_fill_17rocblas_diagonal_T1_iil
                                        ; -- End function
	.set _ZN9rocsolver6v33100L18trti2_kernel_smallILi32EdPKPdEEv13rocblas_fill_17rocblas_diagonal_T1_iil.num_vgpr, 78
	.set _ZN9rocsolver6v33100L18trti2_kernel_smallILi32EdPKPdEEv13rocblas_fill_17rocblas_diagonal_T1_iil.num_agpr, 0
	.set _ZN9rocsolver6v33100L18trti2_kernel_smallILi32EdPKPdEEv13rocblas_fill_17rocblas_diagonal_T1_iil.numbered_sgpr, 41
	.set _ZN9rocsolver6v33100L18trti2_kernel_smallILi32EdPKPdEEv13rocblas_fill_17rocblas_diagonal_T1_iil.num_named_barrier, 0
	.set _ZN9rocsolver6v33100L18trti2_kernel_smallILi32EdPKPdEEv13rocblas_fill_17rocblas_diagonal_T1_iil.private_seg_size, 272
	.set _ZN9rocsolver6v33100L18trti2_kernel_smallILi32EdPKPdEEv13rocblas_fill_17rocblas_diagonal_T1_iil.uses_vcc, 1
	.set _ZN9rocsolver6v33100L18trti2_kernel_smallILi32EdPKPdEEv13rocblas_fill_17rocblas_diagonal_T1_iil.uses_flat_scratch, 0
	.set _ZN9rocsolver6v33100L18trti2_kernel_smallILi32EdPKPdEEv13rocblas_fill_17rocblas_diagonal_T1_iil.has_dyn_sized_stack, 0
	.set _ZN9rocsolver6v33100L18trti2_kernel_smallILi32EdPKPdEEv13rocblas_fill_17rocblas_diagonal_T1_iil.has_recursion, 0
	.set _ZN9rocsolver6v33100L18trti2_kernel_smallILi32EdPKPdEEv13rocblas_fill_17rocblas_diagonal_T1_iil.has_indirect_call, 0
	.section	.AMDGPU.csdata,"",@progbits
; Kernel info:
; codeLenInByte = 15384
; TotalNumSgprs: 47
; NumVgprs: 78
; NumAgprs: 0
; TotalNumVgprs: 78
; ScratchSize: 272
; MemoryBound: 0
; FloatMode: 240
; IeeeMode: 1
; LDSByteSize: 512 bytes/workgroup (compile time only)
; SGPRBlocks: 5
; VGPRBlocks: 9
; NumSGPRsForWavesPerEU: 47
; NumVGPRsForWavesPerEU: 78
; AccumOffset: 80
; Occupancy: 6
; WaveLimiterHint : 1
; COMPUTE_PGM_RSRC2:SCRATCH_EN: 1
; COMPUTE_PGM_RSRC2:USER_SGPR: 2
; COMPUTE_PGM_RSRC2:TRAP_HANDLER: 0
; COMPUTE_PGM_RSRC2:TGID_X_EN: 1
; COMPUTE_PGM_RSRC2:TGID_Y_EN: 0
; COMPUTE_PGM_RSRC2:TGID_Z_EN: 0
; COMPUTE_PGM_RSRC2:TIDIG_COMP_CNT: 0
; COMPUTE_PGM_RSRC3_GFX90A:ACCUM_OFFSET: 19
; COMPUTE_PGM_RSRC3_GFX90A:TG_SPLIT: 0
	.section	.text._ZN9rocsolver6v33100L18trti2_kernel_smallILi33EdPKPdEEv13rocblas_fill_17rocblas_diagonal_T1_iil,"axG",@progbits,_ZN9rocsolver6v33100L18trti2_kernel_smallILi33EdPKPdEEv13rocblas_fill_17rocblas_diagonal_T1_iil,comdat
	.globl	_ZN9rocsolver6v33100L18trti2_kernel_smallILi33EdPKPdEEv13rocblas_fill_17rocblas_diagonal_T1_iil ; -- Begin function _ZN9rocsolver6v33100L18trti2_kernel_smallILi33EdPKPdEEv13rocblas_fill_17rocblas_diagonal_T1_iil
	.p2align	8
	.type	_ZN9rocsolver6v33100L18trti2_kernel_smallILi33EdPKPdEEv13rocblas_fill_17rocblas_diagonal_T1_iil,@function
_ZN9rocsolver6v33100L18trti2_kernel_smallILi33EdPKPdEEv13rocblas_fill_17rocblas_diagonal_T1_iil: ; @_ZN9rocsolver6v33100L18trti2_kernel_smallILi33EdPKPdEEv13rocblas_fill_17rocblas_diagonal_T1_iil
; %bb.0:
	v_cmp_gt_u32_e32 vcc, 33, v0
	s_and_saveexec_b64 s[4:5], vcc
	s_cbranch_execz .LBB96_630
; %bb.1:
	s_load_dwordx2 s[8:9], s[0:1], 0x10
	s_load_dwordx4 s[4:7], s[0:1], 0x0
	s_ashr_i32 s3, s2, 31
	s_lshl_b64 s[0:1], s[2:3], 3
	v_lshlrev_b32_e32 v18, 3, v0
	s_waitcnt lgkmcnt(0)
	s_ashr_i32 s3, s8, 31
	s_add_u32 s0, s6, s0
	s_addc_u32 s1, s7, s1
	s_load_dwordx2 s[0:1], s[0:1], 0x0
	s_mov_b32 s2, s8
	s_lshl_b64 s[2:3], s[2:3], 3
	v_mov_b32_e32 v19, 0
	s_waitcnt lgkmcnt(0)
	s_add_u32 s0, s0, s2
	s_addc_u32 s1, s1, s3
	v_lshl_add_u64 v[2:3], s[0:1], 0, v[18:19]
	flat_load_dwordx2 v[6:7], v[2:3]
	s_mov_b32 s2, s9
	s_ashr_i32 s3, s9, 31
	v_lshl_add_u64 v[4:5], s[2:3], 3, v[2:3]
	s_add_i32 s2, s9, s9
	v_add_u32_e32 v10, s2, v0
	v_ashrrev_i32_e32 v11, 31, v10
	s_cmpk_lg_i32 s5, 0x84
	s_cselect_b64 s[6:7], -1, 0
	s_cmpk_eq_i32 s5, 0x84
	s_waitcnt vmcnt(0) lgkmcnt(0)
	scratch_store_dwordx2 off, v[6:7], off
	flat_load_dwordx2 v[8:9], v[4:5]
	v_lshl_add_u64 v[6:7], v[10:11], 3, s[0:1]
	v_add_u32_e32 v10, s9, v10
	v_ashrrev_i32_e32 v11, 31, v10
	v_add_u32_e32 v14, s9, v10
	v_ashrrev_i32_e32 v15, 31, v14
	s_waitcnt vmcnt(0) lgkmcnt(0)
	scratch_store_dwordx2 off, v[8:9], off offset:8
	flat_load_dwordx2 v[12:13], v[6:7]
	v_lshl_add_u64 v[8:9], v[10:11], 3, s[0:1]
	v_lshl_add_u64 v[10:11], v[14:15], 3, s[0:1]
	v_add_u32_e32 v14, s9, v14
	v_ashrrev_i32_e32 v15, 31, v14
	v_add_u32_e32 v20, s9, v14
	v_ashrrev_i32_e32 v21, 31, v20
	s_waitcnt vmcnt(0) lgkmcnt(0)
	scratch_store_dwordx2 off, v[12:13], off offset:16
	flat_load_dwordx2 v[12:13], v[8:9]
	s_waitcnt vmcnt(0) lgkmcnt(0)
	scratch_store_dwordx2 off, v[12:13], off offset:24
	flat_load_dwordx2 v[16:17], v[10:11]
	v_lshl_add_u64 v[12:13], v[14:15], 3, s[0:1]
	v_lshl_add_u64 v[14:15], v[20:21], 3, s[0:1]
	v_add_u32_e32 v20, s9, v20
	v_ashrrev_i32_e32 v21, 31, v20
	v_add_u32_e32 v24, s9, v20
	v_ashrrev_i32_e32 v25, 31, v24
	s_waitcnt vmcnt(0) lgkmcnt(0)
	scratch_store_dwordx2 off, v[16:17], off offset:32
	flat_load_dwordx2 v[16:17], v[12:13]
	;; [unrolled: 12-line block ×13, first 2 shown]
	s_waitcnt vmcnt(0) lgkmcnt(0)
	scratch_store_dwordx2 off, v[62:63], off offset:216
	flat_load_dwordx2 v[66:67], v[60:61]
	v_lshl_add_u64 v[62:63], v[64:65], 3, s[0:1]
	v_lshl_add_u64 v[64:65], v[68:69], 3, s[0:1]
	v_add_u32_e32 v68, s9, v68
	v_ashrrev_i32_e32 v69, 31, v68
	s_waitcnt vmcnt(0) lgkmcnt(0)
	scratch_store_dwordx2 off, v[66:67], off offset:224
	flat_load_dwordx2 v[66:67], v[62:63]
	s_waitcnt vmcnt(0) lgkmcnt(0)
	scratch_store_dwordx2 off, v[66:67], off offset:232
	flat_load_dwordx2 v[70:71], v[64:65]
	v_lshl_add_u64 v[66:67], v[68:69], 3, s[0:1]
	v_add_u32_e32 v68, s9, v68
	v_ashrrev_i32_e32 v69, 31, v68
	v_lshl_add_u64 v[68:69], v[68:69], 3, s[0:1]
	s_waitcnt vmcnt(0) lgkmcnt(0)
	scratch_store_dwordx2 off, v[70:71], off offset:240
	flat_load_dwordx2 v[70:71], v[66:67]
	s_waitcnt vmcnt(0) lgkmcnt(0)
	scratch_store_dwordx2 off, v[70:71], off offset:248
	flat_load_dwordx2 v[70:71], v[68:69]
	s_waitcnt vmcnt(0) lgkmcnt(0)
	scratch_store_dwordx2 off, v[70:71], off offset:256
	v_mov_b64_e32 v[70:71], -1.0
	s_cbranch_scc1 .LBB96_3
; %bb.2:
	scratch_load_dwordx2 v[70:71], v18, off
	s_waitcnt vmcnt(0)
	v_div_scale_f64 v[72:73], s[0:1], v[70:71], v[70:71], 1.0
	v_rcp_f64_e32 v[74:75], v[72:73]
	v_div_scale_f64 v[76:77], vcc, 1.0, v[70:71], 1.0
	v_fma_f64 v[78:79], -v[72:73], v[74:75], 1.0
	v_fmac_f64_e32 v[74:75], v[74:75], v[78:79]
	v_fma_f64 v[78:79], -v[72:73], v[74:75], 1.0
	v_fmac_f64_e32 v[74:75], v[74:75], v[78:79]
	v_mul_f64 v[78:79], v[76:77], v[74:75]
	v_fma_f64 v[72:73], -v[72:73], v[78:79], v[76:77]
	v_div_fmas_f64 v[72:73], v[72:73], v[74:75], v[78:79]
	v_div_fixup_f64 v[70:71], v[72:73], v[70:71], 1.0
	scratch_store_dwordx2 v18, v[70:71], off
	v_xor_b32_e32 v71, 0x80000000, v71
.LBB96_3:
	s_cmpk_eq_i32 s4, 0x79
	v_add_u32_e32 v1, 0x110, v18
	v_mov_b32_e32 v19, v18
	s_mov_b64 s[0:1], -1
	ds_write_b64 v18, v[70:71]
	s_cbranch_scc1 .LBB96_317
; %bb.4:
	scratch_load_dwordx2 v[70:71], off, off offset:248
	s_movk_i32 s8, 0x48
	s_movk_i32 s9, 0x50
	;; [unrolled: 1-line block ×22, first 2 shown]
	v_cmp_eq_u32_e64 s[0:1], 32, v0
	s_waitcnt vmcnt(0)
	ds_write_b64 v1, v[70:71]
	s_waitcnt lgkmcnt(0)
	; wave barrier
	s_and_saveexec_b64 s[2:3], s[0:1]
	s_cbranch_execz .LBB96_10
; %bb.5:
	s_and_b64 vcc, exec, s[6:7]
	s_cbranch_vccz .LBB96_7
; %bb.6:
	scratch_load_dwordx2 v[70:71], v19, off
	ds_read_b64 v[72:73], v1
	s_waitcnt vmcnt(0) lgkmcnt(0)
	v_mul_f64 v[70:71], v[70:71], v[72:73]
	s_cbranch_execz .LBB96_8
	s_branch .LBB96_9
.LBB96_7:
                                        ; implicit-def: $vgpr70_vgpr71
.LBB96_8:
	ds_read_b64 v[70:71], v1
.LBB96_9:
	v_mov_b32_e32 v72, 0
	ds_read_b64 v[72:73], v72 offset:248
	s_waitcnt lgkmcnt(0)
	v_mul_f64 v[70:71], v[70:71], v[72:73]
	scratch_store_dwordx2 off, v[70:71], off offset:248
.LBB96_10:
	s_or_b64 exec, exec, s[2:3]
	scratch_load_dwordx2 v[70:71], off, off offset:240
	s_or_b32 s10, 0, 8
	s_mov_b32 s11, 16
	s_mov_b32 s12, 24
	;; [unrolled: 1-line block ×9, first 2 shown]
	v_cmp_lt_u32_e64 s[2:3], 30, v0
	s_waitcnt vmcnt(0)
	ds_write_b64 v1, v[70:71]
	s_waitcnt lgkmcnt(0)
	; wave barrier
	s_and_saveexec_b64 s[4:5], s[2:3]
	s_cbranch_execz .LBB96_16
; %bb.11:
	s_andn2_b64 vcc, exec, s[6:7]
	s_cbranch_vccnz .LBB96_13
; %bb.12:
	scratch_load_dwordx2 v[70:71], v19, off
	ds_read_b64 v[72:73], v1
	s_waitcnt vmcnt(0) lgkmcnt(0)
	v_mul_f64 v[70:71], v[70:71], v[72:73]
	s_cbranch_execz .LBB96_14
	s_branch .LBB96_15
.LBB96_13:
                                        ; implicit-def: $vgpr70_vgpr71
.LBB96_14:
	ds_read_b64 v[70:71], v1
.LBB96_15:
	scratch_load_dwordx2 v[76:77], off, off offset:248
	v_mov_b32_e32 v72, 0
	ds_read2_b64 v[72:75], v72 offset0:30 offset1:65
	s_waitcnt vmcnt(0) lgkmcnt(0)
	v_fma_f64 v[74:75], v[76:77], v[74:75], v[70:71]
	v_cndmask_b32_e64 v71, v71, v75, s[0:1]
	v_cndmask_b32_e64 v70, v70, v74, s[0:1]
	v_mul_f64 v[70:71], v[70:71], v[72:73]
	scratch_store_dwordx2 off, v[70:71], off offset:240
.LBB96_16:
	s_or_b64 exec, exec, s[4:5]
	scratch_load_dwordx2 v[70:71], off, off offset:232
	v_cmp_lt_u32_e64 s[0:1], 29, v0
	s_waitcnt vmcnt(0)
	ds_write_b64 v1, v[70:71]
	s_waitcnt lgkmcnt(0)
	; wave barrier
	s_and_saveexec_b64 s[4:5], s[0:1]
	s_cbranch_execz .LBB96_26
; %bb.17:
	s_andn2_b64 vcc, exec, s[6:7]
	s_cbranch_vccnz .LBB96_19
; %bb.18:
	scratch_load_dwordx2 v[70:71], v19, off
	ds_read_b64 v[72:73], v1
	s_waitcnt vmcnt(0) lgkmcnt(0)
	v_mul_f64 v[70:71], v[70:71], v[72:73]
	s_cbranch_execz .LBB96_20
	s_branch .LBB96_21
.LBB96_19:
                                        ; implicit-def: $vgpr70_vgpr71
.LBB96_20:
	ds_read_b64 v[70:71], v1
.LBB96_21:
	s_and_saveexec_b64 s[8:9], s[2:3]
	s_cbranch_execz .LBB96_25
; %bb.22:
	v_subrev_u32_e32 v72, 30, v0
	s_movk_i32 s41, 0x200
	s_mov_b64 s[2:3], 0
.LBB96_23:                              ; =>This Inner Loop Header: Depth=1
	scratch_load_dwordx2 v[74:75], off, s40
	v_mov_b32_e32 v73, s41
	ds_read_b64 v[76:77], v73
	v_add_u32_e32 v72, -1, v72
	s_add_i32 s41, s41, 8
	s_add_i32 s40, s40, 8
	v_cmp_eq_u32_e32 vcc, 0, v72
	s_or_b64 s[2:3], vcc, s[2:3]
	s_waitcnt vmcnt(0) lgkmcnt(0)
	v_fmac_f64_e32 v[70:71], v[74:75], v[76:77]
	s_andn2_b64 exec, exec, s[2:3]
	s_cbranch_execnz .LBB96_23
; %bb.24:
	s_or_b64 exec, exec, s[2:3]
.LBB96_25:
	s_or_b64 exec, exec, s[8:9]
	v_mov_b32_e32 v72, 0
	ds_read_b64 v[72:73], v72 offset:232
	s_waitcnt lgkmcnt(0)
	v_mul_f64 v[70:71], v[70:71], v[72:73]
	scratch_store_dwordx2 off, v[70:71], off offset:232
.LBB96_26:
	s_or_b64 exec, exec, s[4:5]
	scratch_load_dwordx2 v[70:71], off, off offset:224
	v_cmp_lt_u32_e64 s[2:3], 28, v0
	s_waitcnt vmcnt(0)
	ds_write_b64 v1, v[70:71]
	s_waitcnt lgkmcnt(0)
	; wave barrier
	s_and_saveexec_b64 s[4:5], s[2:3]
	s_cbranch_execz .LBB96_36
; %bb.27:
	s_andn2_b64 vcc, exec, s[6:7]
	s_cbranch_vccnz .LBB96_29
; %bb.28:
	scratch_load_dwordx2 v[70:71], v19, off
	ds_read_b64 v[72:73], v1
	s_waitcnt vmcnt(0) lgkmcnt(0)
	v_mul_f64 v[70:71], v[70:71], v[72:73]
	s_cbranch_execz .LBB96_30
	s_branch .LBB96_31
.LBB96_29:
                                        ; implicit-def: $vgpr70_vgpr71
.LBB96_30:
	ds_read_b64 v[70:71], v1
.LBB96_31:
	s_and_saveexec_b64 s[8:9], s[0:1]
	s_cbranch_execz .LBB96_35
; %bb.32:
	v_subrev_u32_e32 v72, 29, v0
	s_movk_i32 s40, 0x1f8
	s_mov_b64 s[0:1], 0
.LBB96_33:                              ; =>This Inner Loop Header: Depth=1
	scratch_load_dwordx2 v[74:75], off, s39
	v_mov_b32_e32 v73, s40
	ds_read_b64 v[76:77], v73
	v_add_u32_e32 v72, -1, v72
	s_add_i32 s40, s40, 8
	s_add_i32 s39, s39, 8
	v_cmp_eq_u32_e32 vcc, 0, v72
	s_or_b64 s[0:1], vcc, s[0:1]
	s_waitcnt vmcnt(0) lgkmcnt(0)
	v_fmac_f64_e32 v[70:71], v[74:75], v[76:77]
	s_andn2_b64 exec, exec, s[0:1]
	s_cbranch_execnz .LBB96_33
; %bb.34:
	s_or_b64 exec, exec, s[0:1]
.LBB96_35:
	s_or_b64 exec, exec, s[8:9]
	v_mov_b32_e32 v72, 0
	ds_read_b64 v[72:73], v72 offset:224
	s_waitcnt lgkmcnt(0)
	v_mul_f64 v[70:71], v[70:71], v[72:73]
	scratch_store_dwordx2 off, v[70:71], off offset:224
.LBB96_36:
	;; [unrolled: 53-line block ×8, first 2 shown]
	s_or_b64 exec, exec, s[4:5]
	scratch_load_dwordx2 v[70:71], off, off offset:168
	v_cmp_lt_u32_e64 s[0:1], 21, v0
	s_waitcnt vmcnt(0)
	ds_write_b64 v1, v[70:71]
	s_waitcnt lgkmcnt(0)
	; wave barrier
	s_and_saveexec_b64 s[4:5], s[0:1]
	s_cbranch_execz .LBB96_106
; %bb.97:
	s_andn2_b64 vcc, exec, s[6:7]
	s_cbranch_vccnz .LBB96_99
; %bb.98:
	scratch_load_dwordx2 v[70:71], v19, off
	ds_read_b64 v[72:73], v1
	s_waitcnt vmcnt(0) lgkmcnt(0)
	v_mul_f64 v[70:71], v[70:71], v[72:73]
	s_cbranch_execz .LBB96_100
	s_branch .LBB96_101
.LBB96_99:
                                        ; implicit-def: $vgpr70_vgpr71
.LBB96_100:
	ds_read_b64 v[70:71], v1
.LBB96_101:
	s_and_saveexec_b64 s[8:9], s[2:3]
	s_cbranch_execz .LBB96_105
; %bb.102:
	v_subrev_u32_e32 v72, 22, v0
	s_movk_i32 s33, 0x1c0
	s_mov_b64 s[2:3], 0
.LBB96_103:                             ; =>This Inner Loop Header: Depth=1
	scratch_load_dwordx2 v[74:75], off, s31
	v_mov_b32_e32 v73, s33
	ds_read_b64 v[76:77], v73
	v_add_u32_e32 v72, -1, v72
	s_add_i32 s33, s33, 8
	s_add_i32 s31, s31, 8
	v_cmp_eq_u32_e32 vcc, 0, v72
	s_or_b64 s[2:3], vcc, s[2:3]
	s_waitcnt vmcnt(0) lgkmcnt(0)
	v_fmac_f64_e32 v[70:71], v[74:75], v[76:77]
	s_andn2_b64 exec, exec, s[2:3]
	s_cbranch_execnz .LBB96_103
; %bb.104:
	s_or_b64 exec, exec, s[2:3]
.LBB96_105:
	s_or_b64 exec, exec, s[8:9]
	v_mov_b32_e32 v72, 0
	ds_read_b64 v[72:73], v72 offset:168
	s_waitcnt lgkmcnt(0)
	v_mul_f64 v[70:71], v[70:71], v[72:73]
	scratch_store_dwordx2 off, v[70:71], off offset:168
.LBB96_106:
	s_or_b64 exec, exec, s[4:5]
	scratch_load_dwordx2 v[70:71], off, off offset:160
	v_cmp_lt_u32_e64 s[2:3], 20, v0
	s_waitcnt vmcnt(0)
	ds_write_b64 v1, v[70:71]
	s_waitcnt lgkmcnt(0)
	; wave barrier
	s_and_saveexec_b64 s[4:5], s[2:3]
	s_cbranch_execz .LBB96_116
; %bb.107:
	s_andn2_b64 vcc, exec, s[6:7]
	s_cbranch_vccnz .LBB96_109
; %bb.108:
	scratch_load_dwordx2 v[70:71], v19, off
	ds_read_b64 v[72:73], v1
	s_waitcnt vmcnt(0) lgkmcnt(0)
	v_mul_f64 v[70:71], v[70:71], v[72:73]
	s_cbranch_execz .LBB96_110
	s_branch .LBB96_111
.LBB96_109:
                                        ; implicit-def: $vgpr70_vgpr71
.LBB96_110:
	ds_read_b64 v[70:71], v1
.LBB96_111:
	s_and_saveexec_b64 s[8:9], s[0:1]
	s_cbranch_execz .LBB96_115
; %bb.112:
	v_subrev_u32_e32 v72, 21, v0
	s_movk_i32 s31, 0x1b8
	s_mov_b64 s[0:1], 0
.LBB96_113:                             ; =>This Inner Loop Header: Depth=1
	scratch_load_dwordx2 v[74:75], off, s30
	v_mov_b32_e32 v73, s31
	ds_read_b64 v[76:77], v73
	v_add_u32_e32 v72, -1, v72
	s_add_i32 s31, s31, 8
	s_add_i32 s30, s30, 8
	v_cmp_eq_u32_e32 vcc, 0, v72
	s_or_b64 s[0:1], vcc, s[0:1]
	s_waitcnt vmcnt(0) lgkmcnt(0)
	v_fmac_f64_e32 v[70:71], v[74:75], v[76:77]
	s_andn2_b64 exec, exec, s[0:1]
	s_cbranch_execnz .LBB96_113
; %bb.114:
	s_or_b64 exec, exec, s[0:1]
.LBB96_115:
	s_or_b64 exec, exec, s[8:9]
	v_mov_b32_e32 v72, 0
	ds_read_b64 v[72:73], v72 offset:160
	s_waitcnt lgkmcnt(0)
	v_mul_f64 v[70:71], v[70:71], v[72:73]
	scratch_store_dwordx2 off, v[70:71], off offset:160
.LBB96_116:
	;; [unrolled: 53-line block ×6, first 2 shown]
	s_or_b64 exec, exec, s[4:5]
	scratch_load_dwordx2 v[70:71], off, off offset:120
	v_cmp_lt_u32_e64 s[0:1], 15, v0
	s_waitcnt vmcnt(0)
	ds_write_b64 v1, v[70:71]
	s_waitcnt lgkmcnt(0)
	; wave barrier
	s_and_saveexec_b64 s[4:5], s[0:1]
	s_cbranch_execz .LBB96_166
; %bb.157:
	s_andn2_b64 vcc, exec, s[6:7]
	s_cbranch_vccnz .LBB96_159
; %bb.158:
	scratch_load_dwordx2 v[70:71], v19, off
	ds_read_b64 v[72:73], v1
	s_waitcnt vmcnt(0) lgkmcnt(0)
	v_mul_f64 v[70:71], v[70:71], v[72:73]
	s_cbranch_execz .LBB96_160
	s_branch .LBB96_161
.LBB96_159:
                                        ; implicit-def: $vgpr70_vgpr71
.LBB96_160:
	ds_read_b64 v[70:71], v1
.LBB96_161:
	s_and_saveexec_b64 s[8:9], s[2:3]
	s_cbranch_execz .LBB96_165
; %bb.162:
	v_add_u32_e32 v72, -16, v0
	s_movk_i32 s26, 0x190
	s_mov_b64 s[2:3], 0
.LBB96_163:                             ; =>This Inner Loop Header: Depth=1
	scratch_load_dwordx2 v[74:75], off, s25
	v_mov_b32_e32 v73, s26
	ds_read_b64 v[76:77], v73
	v_add_u32_e32 v72, -1, v72
	s_add_i32 s26, s26, 8
	s_add_i32 s25, s25, 8
	v_cmp_eq_u32_e32 vcc, 0, v72
	s_or_b64 s[2:3], vcc, s[2:3]
	s_waitcnt vmcnt(0) lgkmcnt(0)
	v_fmac_f64_e32 v[70:71], v[74:75], v[76:77]
	s_andn2_b64 exec, exec, s[2:3]
	s_cbranch_execnz .LBB96_163
; %bb.164:
	s_or_b64 exec, exec, s[2:3]
.LBB96_165:
	s_or_b64 exec, exec, s[8:9]
	v_mov_b32_e32 v72, 0
	ds_read_b64 v[72:73], v72 offset:120
	s_waitcnt lgkmcnt(0)
	v_mul_f64 v[70:71], v[70:71], v[72:73]
	scratch_store_dwordx2 off, v[70:71], off offset:120
.LBB96_166:
	s_or_b64 exec, exec, s[4:5]
	scratch_load_dwordx2 v[70:71], off, off offset:112
	v_cmp_lt_u32_e64 s[2:3], 14, v0
	s_waitcnt vmcnt(0)
	ds_write_b64 v1, v[70:71]
	s_waitcnt lgkmcnt(0)
	; wave barrier
	s_and_saveexec_b64 s[4:5], s[2:3]
	s_cbranch_execz .LBB96_176
; %bb.167:
	s_andn2_b64 vcc, exec, s[6:7]
	s_cbranch_vccnz .LBB96_169
; %bb.168:
	scratch_load_dwordx2 v[70:71], v19, off
	ds_read_b64 v[72:73], v1
	s_waitcnt vmcnt(0) lgkmcnt(0)
	v_mul_f64 v[70:71], v[70:71], v[72:73]
	s_cbranch_execz .LBB96_170
	s_branch .LBB96_171
.LBB96_169:
                                        ; implicit-def: $vgpr70_vgpr71
.LBB96_170:
	ds_read_b64 v[70:71], v1
.LBB96_171:
	s_and_saveexec_b64 s[8:9], s[0:1]
	s_cbranch_execz .LBB96_175
; %bb.172:
	v_add_u32_e32 v72, -15, v0
	s_movk_i32 s25, 0x188
	s_mov_b64 s[0:1], 0
.LBB96_173:                             ; =>This Inner Loop Header: Depth=1
	scratch_load_dwordx2 v[74:75], off, s24
	v_mov_b32_e32 v73, s25
	ds_read_b64 v[76:77], v73
	v_add_u32_e32 v72, -1, v72
	s_add_i32 s25, s25, 8
	s_add_i32 s24, s24, 8
	v_cmp_eq_u32_e32 vcc, 0, v72
	s_or_b64 s[0:1], vcc, s[0:1]
	s_waitcnt vmcnt(0) lgkmcnt(0)
	v_fmac_f64_e32 v[70:71], v[74:75], v[76:77]
	s_andn2_b64 exec, exec, s[0:1]
	s_cbranch_execnz .LBB96_173
; %bb.174:
	s_or_b64 exec, exec, s[0:1]
.LBB96_175:
	s_or_b64 exec, exec, s[8:9]
	v_mov_b32_e32 v72, 0
	ds_read_b64 v[72:73], v72 offset:112
	s_waitcnt lgkmcnt(0)
	v_mul_f64 v[70:71], v[70:71], v[72:73]
	scratch_store_dwordx2 off, v[70:71], off offset:112
.LBB96_176:
	;; [unrolled: 53-line block ×15, first 2 shown]
	s_or_b64 exec, exec, s[4:5]
	scratch_load_dwordx2 v[70:71], off, off
	v_cmp_ne_u32_e32 vcc, 0, v0
	s_waitcnt vmcnt(0)
	ds_write_b64 v1, v[70:71]
	s_waitcnt lgkmcnt(0)
	; wave barrier
	s_and_saveexec_b64 s[2:3], vcc
	s_cbranch_execz .LBB96_316
; %bb.307:
	s_andn2_b64 vcc, exec, s[6:7]
	s_cbranch_vccnz .LBB96_309
; %bb.308:
	scratch_load_dwordx2 v[70:71], v19, off
	ds_read_b64 v[72:73], v1
	s_waitcnt vmcnt(0) lgkmcnt(0)
	v_mul_f64 v[70:71], v[70:71], v[72:73]
	s_cbranch_execz .LBB96_310
	s_branch .LBB96_311
.LBB96_309:
                                        ; implicit-def: $vgpr70_vgpr71
.LBB96_310:
	ds_read_b64 v[70:71], v1
.LBB96_311:
	s_and_saveexec_b64 s[4:5], s[0:1]
	s_cbranch_execz .LBB96_315
; %bb.312:
	v_add_u32_e32 v72, -1, v0
	s_movk_i32 s8, 0x118
	s_mov_b64 s[0:1], 0
.LBB96_313:                             ; =>This Inner Loop Header: Depth=1
	scratch_load_dwordx2 v[74:75], off, s10
	v_mov_b32_e32 v73, s8
	ds_read_b64 v[76:77], v73
	v_add_u32_e32 v72, -1, v72
	s_add_i32 s8, s8, 8
	s_add_i32 s10, s10, 8
	v_cmp_eq_u32_e32 vcc, 0, v72
	s_or_b64 s[0:1], vcc, s[0:1]
	s_waitcnt vmcnt(0) lgkmcnt(0)
	v_fmac_f64_e32 v[70:71], v[74:75], v[76:77]
	s_andn2_b64 exec, exec, s[0:1]
	s_cbranch_execnz .LBB96_313
; %bb.314:
	s_or_b64 exec, exec, s[0:1]
.LBB96_315:
	s_or_b64 exec, exec, s[4:5]
	v_mov_b32_e32 v72, 0
	ds_read_b64 v[72:73], v72
	s_waitcnt lgkmcnt(0)
	v_mul_f64 v[70:71], v[70:71], v[72:73]
	scratch_store_dwordx2 off, v[70:71], off
.LBB96_316:
	s_or_b64 exec, exec, s[2:3]
	s_mov_b64 s[0:1], 0
.LBB96_317:
	s_and_b64 vcc, exec, s[0:1]
	s_cbranch_vccz .LBB96_629
; %bb.318:
	scratch_load_dwordx2 v[70:71], off, off offset:8
	v_cmp_eq_u32_e64 s[2:3], 0, v0
	s_waitcnt vmcnt(0)
	ds_write_b64 v1, v[70:71]
	s_waitcnt lgkmcnt(0)
	; wave barrier
	s_and_saveexec_b64 s[0:1], s[2:3]
	s_cbranch_execz .LBB96_324
; %bb.319:
	s_and_b64 vcc, exec, s[6:7]
	s_cbranch_vccz .LBB96_321
; %bb.320:
	scratch_load_dwordx2 v[70:71], v19, off
	ds_read_b64 v[72:73], v1
	s_waitcnt vmcnt(0) lgkmcnt(0)
	v_mul_f64 v[70:71], v[70:71], v[72:73]
	s_cbranch_execz .LBB96_322
	s_branch .LBB96_323
.LBB96_321:
                                        ; implicit-def: $vgpr70_vgpr71
.LBB96_322:
	ds_read_b64 v[70:71], v1
.LBB96_323:
	v_mov_b32_e32 v72, 0
	ds_read_b64 v[72:73], v72 offset:8
	s_waitcnt lgkmcnt(0)
	v_mul_f64 v[70:71], v[70:71], v[72:73]
	scratch_store_dwordx2 off, v[70:71], off offset:8
.LBB96_324:
	s_or_b64 exec, exec, s[0:1]
	scratch_load_dwordx2 v[70:71], off, off offset:16
	v_cndmask_b32_e64 v72, 0, 1, s[6:7]
	v_cmp_gt_u32_e32 vcc, 2, v0
	v_cmp_ne_u32_e64 s[0:1], 1, v72
	s_waitcnt vmcnt(0)
	ds_write_b64 v1, v[70:71]
	s_waitcnt lgkmcnt(0)
	; wave barrier
	s_and_saveexec_b64 s[4:5], vcc
	s_cbranch_execz .LBB96_330
; %bb.325:
	s_and_b64 vcc, exec, s[0:1]
	s_cbranch_vccnz .LBB96_327
; %bb.326:
	scratch_load_dwordx2 v[70:71], v19, off
	ds_read_b64 v[72:73], v1
	s_waitcnt vmcnt(0) lgkmcnt(0)
	v_mul_f64 v[70:71], v[70:71], v[72:73]
	s_cbranch_execz .LBB96_328
	s_branch .LBB96_329
.LBB96_327:
                                        ; implicit-def: $vgpr70_vgpr71
.LBB96_328:
	ds_read_b64 v[70:71], v1
.LBB96_329:
	scratch_load_dwordx2 v[76:77], off, off offset:8
	v_mov_b32_e32 v72, 0
	ds_read2_b64 v[72:75], v72 offset0:2 offset1:35
	s_waitcnt vmcnt(0) lgkmcnt(0)
	v_fma_f64 v[74:75], v[76:77], v[74:75], v[70:71]
	v_cndmask_b32_e64 v71, v71, v75, s[2:3]
	v_cndmask_b32_e64 v70, v70, v74, s[2:3]
	v_mul_f64 v[70:71], v[70:71], v[72:73]
	scratch_store_dwordx2 off, v[70:71], off offset:16
.LBB96_330:
	s_or_b64 exec, exec, s[4:5]
	scratch_load_dwordx2 v[70:71], off, off offset:24
	v_cmp_gt_u32_e32 vcc, 3, v0
	s_waitcnt vmcnt(0)
	ds_write_b64 v1, v[70:71]
	s_waitcnt lgkmcnt(0)
	; wave barrier
	s_and_saveexec_b64 s[4:5], vcc
	s_cbranch_execz .LBB96_338
; %bb.331:
	s_and_b64 vcc, exec, s[0:1]
	s_cbranch_vccnz .LBB96_333
; %bb.332:
	scratch_load_dwordx2 v[70:71], v19, off
	ds_read_b64 v[72:73], v1
	s_waitcnt vmcnt(0) lgkmcnt(0)
	v_mul_f64 v[70:71], v[70:71], v[72:73]
	s_cbranch_execz .LBB96_334
	s_branch .LBB96_335
.LBB96_333:
                                        ; implicit-def: $vgpr70_vgpr71
.LBB96_334:
	ds_read_b64 v[70:71], v1
.LBB96_335:
	v_cmp_ne_u32_e32 vcc, 2, v0
	s_and_saveexec_b64 s[6:7], vcc
	s_cbranch_execz .LBB96_337
; %bb.336:
	scratch_load_dwordx2 v[72:73], v19, off offset:8
	scratch_load_dwordx2 v[74:75], off, off offset:16
	ds_read_b64 v[76:77], v1 offset:8
	v_mov_b32_e32 v78, 0
	ds_read_b64 v[78:79], v78 offset:288
	s_waitcnt vmcnt(1) lgkmcnt(1)
	v_fmac_f64_e32 v[70:71], v[72:73], v[76:77]
	s_waitcnt vmcnt(0) lgkmcnt(0)
	v_fma_f64 v[72:73], v[74:75], v[78:79], v[70:71]
	v_cndmask_b32_e64 v71, v71, v73, s[2:3]
	v_cndmask_b32_e64 v70, v70, v72, s[2:3]
.LBB96_337:
	s_or_b64 exec, exec, s[6:7]
	v_mov_b32_e32 v72, 0
	ds_read_b64 v[72:73], v72 offset:24
	s_waitcnt lgkmcnt(0)
	v_mul_f64 v[70:71], v[70:71], v[72:73]
	scratch_store_dwordx2 off, v[70:71], off offset:24
.LBB96_338:
	s_or_b64 exec, exec, s[4:5]
	scratch_load_dwordx2 v[70:71], off, off offset:32
	v_cmp_gt_u32_e32 vcc, 4, v0
	s_waitcnt vmcnt(0)
	ds_write_b64 v1, v[70:71]
	s_waitcnt lgkmcnt(0)
	; wave barrier
	s_and_saveexec_b64 s[2:3], vcc
	s_cbranch_execz .LBB96_348
; %bb.339:
	s_and_b64 vcc, exec, s[0:1]
	s_cbranch_vccnz .LBB96_341
; %bb.340:
	scratch_load_dwordx2 v[70:71], v19, off
	ds_read_b64 v[72:73], v1
	s_waitcnt vmcnt(0) lgkmcnt(0)
	v_mul_f64 v[70:71], v[70:71], v[72:73]
	s_cbranch_execz .LBB96_342
	s_branch .LBB96_343
.LBB96_341:
                                        ; implicit-def: $vgpr70_vgpr71
.LBB96_342:
	ds_read_b64 v[70:71], v1
.LBB96_343:
	v_cmp_ne_u32_e32 vcc, 3, v0
	s_and_saveexec_b64 s[4:5], vcc
	s_cbranch_execz .LBB96_347
; %bb.344:
	s_mov_b32 s6, 0
	v_add_u32_e32 v72, 0x118, v18
	v_add3_u32 v73, v18, s6, 8
	s_mov_b64 s[6:7], 0
	v_mov_b32_e32 v74, v0
.LBB96_345:                             ; =>This Inner Loop Header: Depth=1
	scratch_load_dwordx2 v[76:77], v73, off
	ds_read_b64 v[78:79], v72
	v_add_u32_e32 v74, 1, v74
	v_cmp_lt_u32_e32 vcc, 2, v74
	v_add_u32_e32 v72, 8, v72
	v_add_u32_e32 v73, 8, v73
	s_or_b64 s[6:7], vcc, s[6:7]
	s_waitcnt vmcnt(0) lgkmcnt(0)
	v_fmac_f64_e32 v[70:71], v[76:77], v[78:79]
	s_andn2_b64 exec, exec, s[6:7]
	s_cbranch_execnz .LBB96_345
; %bb.346:
	s_or_b64 exec, exec, s[6:7]
.LBB96_347:
	s_or_b64 exec, exec, s[4:5]
	v_mov_b32_e32 v72, 0
	ds_read_b64 v[72:73], v72 offset:32
	s_waitcnt lgkmcnt(0)
	v_mul_f64 v[70:71], v[70:71], v[72:73]
	scratch_store_dwordx2 off, v[70:71], off offset:32
.LBB96_348:
	s_or_b64 exec, exec, s[2:3]
	scratch_load_dwordx2 v[70:71], off, off offset:40
	v_cmp_gt_u32_e32 vcc, 5, v0
	s_waitcnt vmcnt(0)
	ds_write_b64 v1, v[70:71]
	s_waitcnt lgkmcnt(0)
	; wave barrier
	s_and_saveexec_b64 s[2:3], vcc
	s_cbranch_execz .LBB96_358
; %bb.349:
	s_and_b64 vcc, exec, s[0:1]
	s_cbranch_vccnz .LBB96_351
; %bb.350:
	scratch_load_dwordx2 v[70:71], v19, off
	ds_read_b64 v[72:73], v1
	s_waitcnt vmcnt(0) lgkmcnt(0)
	v_mul_f64 v[70:71], v[70:71], v[72:73]
	s_cbranch_execz .LBB96_352
	s_branch .LBB96_353
.LBB96_351:
                                        ; implicit-def: $vgpr70_vgpr71
.LBB96_352:
	ds_read_b64 v[70:71], v1
.LBB96_353:
	v_cmp_ne_u32_e32 vcc, 4, v0
	s_and_saveexec_b64 s[4:5], vcc
	s_cbranch_execz .LBB96_357
; %bb.354:
	s_mov_b32 s6, 0
	v_add_u32_e32 v72, 0x118, v18
	v_add3_u32 v73, v18, s6, 8
	s_mov_b64 s[6:7], 0
	v_mov_b32_e32 v74, v0
.LBB96_355:                             ; =>This Inner Loop Header: Depth=1
	scratch_load_dwordx2 v[76:77], v73, off
	ds_read_b64 v[78:79], v72
	v_add_u32_e32 v74, 1, v74
	v_cmp_lt_u32_e32 vcc, 3, v74
	v_add_u32_e32 v72, 8, v72
	v_add_u32_e32 v73, 8, v73
	s_or_b64 s[6:7], vcc, s[6:7]
	s_waitcnt vmcnt(0) lgkmcnt(0)
	v_fmac_f64_e32 v[70:71], v[76:77], v[78:79]
	s_andn2_b64 exec, exec, s[6:7]
	s_cbranch_execnz .LBB96_355
; %bb.356:
	s_or_b64 exec, exec, s[6:7]
.LBB96_357:
	s_or_b64 exec, exec, s[4:5]
	v_mov_b32_e32 v72, 0
	ds_read_b64 v[72:73], v72 offset:40
	s_waitcnt lgkmcnt(0)
	v_mul_f64 v[70:71], v[70:71], v[72:73]
	scratch_store_dwordx2 off, v[70:71], off offset:40
.LBB96_358:
	;; [unrolled: 55-line block ×27, first 2 shown]
	s_or_b64 exec, exec, s[2:3]
	scratch_load_dwordx2 v[70:71], off, off offset:248
	v_cmp_gt_u32_e64 s[2:3], 31, v0
	s_waitcnt vmcnt(0)
	ds_write_b64 v1, v[70:71]
	s_waitcnt lgkmcnt(0)
	; wave barrier
	s_and_saveexec_b64 s[4:5], s[2:3]
	s_cbranch_execz .LBB96_618
; %bb.609:
	s_and_b64 vcc, exec, s[0:1]
	s_cbranch_vccnz .LBB96_611
; %bb.610:
	scratch_load_dwordx2 v[70:71], v19, off
	ds_read_b64 v[72:73], v1
	s_waitcnt vmcnt(0) lgkmcnt(0)
	v_mul_f64 v[70:71], v[70:71], v[72:73]
	s_cbranch_execz .LBB96_612
	s_branch .LBB96_613
.LBB96_611:
                                        ; implicit-def: $vgpr70_vgpr71
.LBB96_612:
	ds_read_b64 v[70:71], v1
.LBB96_613:
	v_cmp_ne_u32_e32 vcc, 30, v0
	s_and_saveexec_b64 s[6:7], vcc
	s_cbranch_execz .LBB96_617
; %bb.614:
	s_mov_b32 s8, 0
	v_add_u32_e32 v72, 0x118, v18
	v_add3_u32 v73, v18, s8, 8
	s_mov_b64 s[8:9], 0
	v_mov_b32_e32 v74, v0
.LBB96_615:                             ; =>This Inner Loop Header: Depth=1
	scratch_load_dwordx2 v[76:77], v73, off
	ds_read_b64 v[78:79], v72
	v_add_u32_e32 v74, 1, v74
	v_cmp_lt_u32_e32 vcc, 29, v74
	v_add_u32_e32 v72, 8, v72
	v_add_u32_e32 v73, 8, v73
	s_or_b64 s[8:9], vcc, s[8:9]
	s_waitcnt vmcnt(0) lgkmcnt(0)
	v_fmac_f64_e32 v[70:71], v[76:77], v[78:79]
	s_andn2_b64 exec, exec, s[8:9]
	s_cbranch_execnz .LBB96_615
; %bb.616:
	s_or_b64 exec, exec, s[8:9]
.LBB96_617:
	s_or_b64 exec, exec, s[6:7]
	v_mov_b32_e32 v72, 0
	ds_read_b64 v[72:73], v72 offset:248
	s_waitcnt lgkmcnt(0)
	v_mul_f64 v[70:71], v[70:71], v[72:73]
	scratch_store_dwordx2 off, v[70:71], off offset:248
.LBB96_618:
	s_or_b64 exec, exec, s[4:5]
	scratch_load_dwordx2 v[70:71], off, off offset:256
	v_cmp_ne_u32_e32 vcc, 32, v0
	s_waitcnt vmcnt(0)
	ds_write_b64 v1, v[70:71]
	s_waitcnt lgkmcnt(0)
	; wave barrier
	s_and_saveexec_b64 s[4:5], vcc
	s_cbranch_execz .LBB96_628
; %bb.619:
	s_and_b64 vcc, exec, s[0:1]
	s_cbranch_vccnz .LBB96_621
; %bb.620:
	scratch_load_dwordx2 v[70:71], v19, off
	ds_read_b64 v[72:73], v1
	s_waitcnt vmcnt(0) lgkmcnt(0)
	v_mul_f64 v[70:71], v[70:71], v[72:73]
	s_cbranch_execz .LBB96_622
	s_branch .LBB96_623
.LBB96_621:
                                        ; implicit-def: $vgpr70_vgpr71
.LBB96_622:
	ds_read_b64 v[70:71], v1
.LBB96_623:
	s_and_saveexec_b64 s[0:1], s[2:3]
	s_cbranch_execz .LBB96_627
; %bb.624:
	s_mov_b32 s2, 0
	v_add_u32_e32 v1, 0x118, v18
	v_add3_u32 v18, v18, s2, 8
	s_mov_b64 s[2:3], 0
.LBB96_625:                             ; =>This Inner Loop Header: Depth=1
	scratch_load_dwordx2 v[72:73], v18, off
	ds_read_b64 v[74:75], v1
	v_add_u32_e32 v0, 1, v0
	v_cmp_lt_u32_e32 vcc, 30, v0
	v_add_u32_e32 v1, 8, v1
	v_add_u32_e32 v18, 8, v18
	s_or_b64 s[2:3], vcc, s[2:3]
	s_waitcnt vmcnt(0) lgkmcnt(0)
	v_fmac_f64_e32 v[70:71], v[72:73], v[74:75]
	s_andn2_b64 exec, exec, s[2:3]
	s_cbranch_execnz .LBB96_625
; %bb.626:
	s_or_b64 exec, exec, s[2:3]
.LBB96_627:
	s_or_b64 exec, exec, s[0:1]
	v_mov_b32_e32 v0, 0
	ds_read_b64 v[0:1], v0 offset:256
	s_waitcnt lgkmcnt(0)
	v_mul_f64 v[0:1], v[70:71], v[0:1]
	scratch_store_dwordx2 off, v[0:1], off offset:256
.LBB96_628:
	s_or_b64 exec, exec, s[4:5]
.LBB96_629:
	scratch_load_dwordx2 v[0:1], off, off
	s_waitcnt vmcnt(0)
	flat_store_dwordx2 v[2:3], v[0:1]
	scratch_load_dwordx2 v[0:1], off, off offset:8
	s_waitcnt vmcnt(0)
	flat_store_dwordx2 v[4:5], v[0:1]
	scratch_load_dwordx2 v[0:1], off, off offset:16
	;; [unrolled: 3-line block ×32, first 2 shown]
	s_waitcnt vmcnt(0)
	flat_store_dwordx2 v[68:69], v[0:1]
.LBB96_630:
	s_endpgm
	.section	.rodata,"a",@progbits
	.p2align	6, 0x0
	.amdhsa_kernel _ZN9rocsolver6v33100L18trti2_kernel_smallILi33EdPKPdEEv13rocblas_fill_17rocblas_diagonal_T1_iil
		.amdhsa_group_segment_fixed_size 536
		.amdhsa_private_segment_fixed_size 272
		.amdhsa_kernarg_size 32
		.amdhsa_user_sgpr_count 2
		.amdhsa_user_sgpr_dispatch_ptr 0
		.amdhsa_user_sgpr_queue_ptr 0
		.amdhsa_user_sgpr_kernarg_segment_ptr 1
		.amdhsa_user_sgpr_dispatch_id 0
		.amdhsa_user_sgpr_kernarg_preload_length 0
		.amdhsa_user_sgpr_kernarg_preload_offset 0
		.amdhsa_user_sgpr_private_segment_size 0
		.amdhsa_uses_dynamic_stack 0
		.amdhsa_enable_private_segment 1
		.amdhsa_system_sgpr_workgroup_id_x 1
		.amdhsa_system_sgpr_workgroup_id_y 0
		.amdhsa_system_sgpr_workgroup_id_z 0
		.amdhsa_system_sgpr_workgroup_info 0
		.amdhsa_system_vgpr_workitem_id 0
		.amdhsa_next_free_vgpr 80
		.amdhsa_next_free_sgpr 42
		.amdhsa_accum_offset 80
		.amdhsa_reserve_vcc 1
		.amdhsa_float_round_mode_32 0
		.amdhsa_float_round_mode_16_64 0
		.amdhsa_float_denorm_mode_32 3
		.amdhsa_float_denorm_mode_16_64 3
		.amdhsa_dx10_clamp 1
		.amdhsa_ieee_mode 1
		.amdhsa_fp16_overflow 0
		.amdhsa_tg_split 0
		.amdhsa_exception_fp_ieee_invalid_op 0
		.amdhsa_exception_fp_denorm_src 0
		.amdhsa_exception_fp_ieee_div_zero 0
		.amdhsa_exception_fp_ieee_overflow 0
		.amdhsa_exception_fp_ieee_underflow 0
		.amdhsa_exception_fp_ieee_inexact 0
		.amdhsa_exception_int_div_zero 0
	.end_amdhsa_kernel
	.section	.text._ZN9rocsolver6v33100L18trti2_kernel_smallILi33EdPKPdEEv13rocblas_fill_17rocblas_diagonal_T1_iil,"axG",@progbits,_ZN9rocsolver6v33100L18trti2_kernel_smallILi33EdPKPdEEv13rocblas_fill_17rocblas_diagonal_T1_iil,comdat
.Lfunc_end96:
	.size	_ZN9rocsolver6v33100L18trti2_kernel_smallILi33EdPKPdEEv13rocblas_fill_17rocblas_diagonal_T1_iil, .Lfunc_end96-_ZN9rocsolver6v33100L18trti2_kernel_smallILi33EdPKPdEEv13rocblas_fill_17rocblas_diagonal_T1_iil
                                        ; -- End function
	.set _ZN9rocsolver6v33100L18trti2_kernel_smallILi33EdPKPdEEv13rocblas_fill_17rocblas_diagonal_T1_iil.num_vgpr, 80
	.set _ZN9rocsolver6v33100L18trti2_kernel_smallILi33EdPKPdEEv13rocblas_fill_17rocblas_diagonal_T1_iil.num_agpr, 0
	.set _ZN9rocsolver6v33100L18trti2_kernel_smallILi33EdPKPdEEv13rocblas_fill_17rocblas_diagonal_T1_iil.numbered_sgpr, 42
	.set _ZN9rocsolver6v33100L18trti2_kernel_smallILi33EdPKPdEEv13rocblas_fill_17rocblas_diagonal_T1_iil.num_named_barrier, 0
	.set _ZN9rocsolver6v33100L18trti2_kernel_smallILi33EdPKPdEEv13rocblas_fill_17rocblas_diagonal_T1_iil.private_seg_size, 272
	.set _ZN9rocsolver6v33100L18trti2_kernel_smallILi33EdPKPdEEv13rocblas_fill_17rocblas_diagonal_T1_iil.uses_vcc, 1
	.set _ZN9rocsolver6v33100L18trti2_kernel_smallILi33EdPKPdEEv13rocblas_fill_17rocblas_diagonal_T1_iil.uses_flat_scratch, 0
	.set _ZN9rocsolver6v33100L18trti2_kernel_smallILi33EdPKPdEEv13rocblas_fill_17rocblas_diagonal_T1_iil.has_dyn_sized_stack, 0
	.set _ZN9rocsolver6v33100L18trti2_kernel_smallILi33EdPKPdEEv13rocblas_fill_17rocblas_diagonal_T1_iil.has_recursion, 0
	.set _ZN9rocsolver6v33100L18trti2_kernel_smallILi33EdPKPdEEv13rocblas_fill_17rocblas_diagonal_T1_iil.has_indirect_call, 0
	.section	.AMDGPU.csdata,"",@progbits
; Kernel info:
; codeLenInByte = 15880
; TotalNumSgprs: 48
; NumVgprs: 80
; NumAgprs: 0
; TotalNumVgprs: 80
; ScratchSize: 272
; MemoryBound: 0
; FloatMode: 240
; IeeeMode: 1
; LDSByteSize: 536 bytes/workgroup (compile time only)
; SGPRBlocks: 5
; VGPRBlocks: 9
; NumSGPRsForWavesPerEU: 48
; NumVGPRsForWavesPerEU: 80
; AccumOffset: 80
; Occupancy: 6
; WaveLimiterHint : 1
; COMPUTE_PGM_RSRC2:SCRATCH_EN: 1
; COMPUTE_PGM_RSRC2:USER_SGPR: 2
; COMPUTE_PGM_RSRC2:TRAP_HANDLER: 0
; COMPUTE_PGM_RSRC2:TGID_X_EN: 1
; COMPUTE_PGM_RSRC2:TGID_Y_EN: 0
; COMPUTE_PGM_RSRC2:TGID_Z_EN: 0
; COMPUTE_PGM_RSRC2:TIDIG_COMP_CNT: 0
; COMPUTE_PGM_RSRC3_GFX90A:ACCUM_OFFSET: 19
; COMPUTE_PGM_RSRC3_GFX90A:TG_SPLIT: 0
	.section	.text._ZN9rocsolver6v33100L18trti2_kernel_smallILi34EdPKPdEEv13rocblas_fill_17rocblas_diagonal_T1_iil,"axG",@progbits,_ZN9rocsolver6v33100L18trti2_kernel_smallILi34EdPKPdEEv13rocblas_fill_17rocblas_diagonal_T1_iil,comdat
	.globl	_ZN9rocsolver6v33100L18trti2_kernel_smallILi34EdPKPdEEv13rocblas_fill_17rocblas_diagonal_T1_iil ; -- Begin function _ZN9rocsolver6v33100L18trti2_kernel_smallILi34EdPKPdEEv13rocblas_fill_17rocblas_diagonal_T1_iil
	.p2align	8
	.type	_ZN9rocsolver6v33100L18trti2_kernel_smallILi34EdPKPdEEv13rocblas_fill_17rocblas_diagonal_T1_iil,@function
_ZN9rocsolver6v33100L18trti2_kernel_smallILi34EdPKPdEEv13rocblas_fill_17rocblas_diagonal_T1_iil: ; @_ZN9rocsolver6v33100L18trti2_kernel_smallILi34EdPKPdEEv13rocblas_fill_17rocblas_diagonal_T1_iil
; %bb.0:
	v_cmp_gt_u32_e32 vcc, 34, v0
	s_and_saveexec_b64 s[4:5], vcc
	s_cbranch_execz .LBB97_650
; %bb.1:
	s_load_dwordx2 s[8:9], s[0:1], 0x10
	s_load_dwordx4 s[4:7], s[0:1], 0x0
	s_ashr_i32 s3, s2, 31
	s_lshl_b64 s[0:1], s[2:3], 3
	v_lshlrev_b32_e32 v18, 3, v0
	s_waitcnt lgkmcnt(0)
	s_ashr_i32 s3, s8, 31
	s_add_u32 s0, s6, s0
	s_addc_u32 s1, s7, s1
	s_load_dwordx2 s[0:1], s[0:1], 0x0
	s_mov_b32 s2, s8
	s_lshl_b64 s[2:3], s[2:3], 3
	v_mov_b32_e32 v19, 0
	s_waitcnt lgkmcnt(0)
	s_add_u32 s0, s0, s2
	s_addc_u32 s1, s1, s3
	v_lshl_add_u64 v[2:3], s[0:1], 0, v[18:19]
	flat_load_dwordx2 v[6:7], v[2:3]
	s_mov_b32 s2, s9
	s_ashr_i32 s3, s9, 31
	v_lshl_add_u64 v[4:5], s[2:3], 3, v[2:3]
	s_add_i32 s2, s9, s9
	v_add_u32_e32 v10, s2, v0
	v_ashrrev_i32_e32 v11, 31, v10
	s_cmpk_lg_i32 s5, 0x84
	s_cselect_b64 s[6:7], -1, 0
	s_cmpk_eq_i32 s5, 0x84
	s_waitcnt vmcnt(0) lgkmcnt(0)
	scratch_store_dwordx2 off, v[6:7], off
	flat_load_dwordx2 v[8:9], v[4:5]
	v_lshl_add_u64 v[6:7], v[10:11], 3, s[0:1]
	v_add_u32_e32 v10, s9, v10
	v_ashrrev_i32_e32 v11, 31, v10
	v_add_u32_e32 v14, s9, v10
	v_ashrrev_i32_e32 v15, 31, v14
	s_waitcnt vmcnt(0) lgkmcnt(0)
	scratch_store_dwordx2 off, v[8:9], off offset:8
	flat_load_dwordx2 v[12:13], v[6:7]
	v_lshl_add_u64 v[8:9], v[10:11], 3, s[0:1]
	v_lshl_add_u64 v[10:11], v[14:15], 3, s[0:1]
	v_add_u32_e32 v14, s9, v14
	v_ashrrev_i32_e32 v15, 31, v14
	v_add_u32_e32 v20, s9, v14
	v_ashrrev_i32_e32 v21, 31, v20
	s_waitcnt vmcnt(0) lgkmcnt(0)
	scratch_store_dwordx2 off, v[12:13], off offset:16
	flat_load_dwordx2 v[12:13], v[8:9]
	s_waitcnt vmcnt(0) lgkmcnt(0)
	scratch_store_dwordx2 off, v[12:13], off offset:24
	flat_load_dwordx2 v[16:17], v[10:11]
	v_lshl_add_u64 v[12:13], v[14:15], 3, s[0:1]
	v_lshl_add_u64 v[14:15], v[20:21], 3, s[0:1]
	v_add_u32_e32 v20, s9, v20
	v_ashrrev_i32_e32 v21, 31, v20
	v_add_u32_e32 v24, s9, v20
	v_ashrrev_i32_e32 v25, 31, v24
	s_waitcnt vmcnt(0) lgkmcnt(0)
	scratch_store_dwordx2 off, v[16:17], off offset:32
	flat_load_dwordx2 v[16:17], v[12:13]
	;; [unrolled: 12-line block ×14, first 2 shown]
	s_waitcnt vmcnt(0) lgkmcnt(0)
	scratch_store_dwordx2 off, v[66:67], off offset:232
	flat_load_dwordx2 v[70:71], v[64:65]
	v_lshl_add_u64 v[66:67], v[68:69], 3, s[0:1]
	v_lshl_add_u64 v[68:69], v[72:73], 3, s[0:1]
	s_waitcnt vmcnt(0) lgkmcnt(0)
	scratch_store_dwordx2 off, v[70:71], off offset:240
	flat_load_dwordx2 v[70:71], v[66:67]
	s_waitcnt vmcnt(0) lgkmcnt(0)
	scratch_store_dwordx2 off, v[70:71], off offset:248
	flat_load_dwordx2 v[74:75], v[68:69]
	v_add_u32_e32 v70, s9, v72
	v_ashrrev_i32_e32 v71, 31, v70
	v_lshl_add_u64 v[70:71], v[70:71], 3, s[0:1]
	s_waitcnt vmcnt(0) lgkmcnt(0)
	scratch_store_dwordx2 off, v[74:75], off offset:256
	flat_load_dwordx2 v[72:73], v[70:71]
	s_waitcnt vmcnt(0) lgkmcnt(0)
	scratch_store_dwordx2 off, v[72:73], off offset:264
	v_mov_b64_e32 v[72:73], -1.0
	s_cbranch_scc1 .LBB97_3
; %bb.2:
	scratch_load_dwordx2 v[72:73], v18, off
	s_waitcnt vmcnt(0)
	v_div_scale_f64 v[74:75], s[0:1], v[72:73], v[72:73], 1.0
	v_rcp_f64_e32 v[76:77], v[74:75]
	v_div_scale_f64 v[78:79], vcc, 1.0, v[72:73], 1.0
	v_fma_f64 v[80:81], -v[74:75], v[76:77], 1.0
	v_fmac_f64_e32 v[76:77], v[76:77], v[80:81]
	v_fma_f64 v[80:81], -v[74:75], v[76:77], 1.0
	v_fmac_f64_e32 v[76:77], v[76:77], v[80:81]
	v_mul_f64 v[80:81], v[78:79], v[76:77]
	v_fma_f64 v[74:75], -v[74:75], v[80:81], v[78:79]
	v_div_fmas_f64 v[74:75], v[74:75], v[76:77], v[80:81]
	v_div_fixup_f64 v[72:73], v[74:75], v[72:73], 1.0
	scratch_store_dwordx2 v18, v[72:73], off
	v_xor_b32_e32 v73, 0x80000000, v73
.LBB97_3:
	s_cmpk_eq_i32 s4, 0x79
	v_add_u32_e32 v1, 0x110, v18
	v_mov_b32_e32 v19, v18
	s_mov_b64 s[0:1], -1
	ds_write_b64 v18, v[72:73]
	s_cbranch_scc1 .LBB97_327
; %bb.4:
	scratch_load_dwordx2 v[72:73], off, off offset:256
	s_movk_i32 s8, 0x48
	s_movk_i32 s9, 0x50
	;; [unrolled: 1-line block ×23, first 2 shown]
	v_cmp_eq_u32_e64 s[0:1], 33, v0
	s_waitcnt vmcnt(0)
	ds_write_b64 v1, v[72:73]
	s_waitcnt lgkmcnt(0)
	; wave barrier
	s_and_saveexec_b64 s[2:3], s[0:1]
	s_cbranch_execz .LBB97_10
; %bb.5:
	s_and_b64 vcc, exec, s[6:7]
	s_cbranch_vccz .LBB97_7
; %bb.6:
	scratch_load_dwordx2 v[72:73], v19, off
	ds_read_b64 v[74:75], v1
	s_waitcnt vmcnt(0) lgkmcnt(0)
	v_mul_f64 v[72:73], v[72:73], v[74:75]
	s_cbranch_execz .LBB97_8
	s_branch .LBB97_9
.LBB97_7:
                                        ; implicit-def: $vgpr72_vgpr73
.LBB97_8:
	ds_read_b64 v[72:73], v1
.LBB97_9:
	v_mov_b32_e32 v74, 0
	ds_read_b64 v[74:75], v74 offset:256
	s_waitcnt lgkmcnt(0)
	v_mul_f64 v[72:73], v[72:73], v[74:75]
	scratch_store_dwordx2 off, v[72:73], off offset:256
.LBB97_10:
	s_or_b64 exec, exec, s[2:3]
	scratch_load_dwordx2 v[72:73], off, off offset:248
	s_or_b32 s10, 0, 8
	s_mov_b32 s11, 16
	s_mov_b32 s12, 24
	;; [unrolled: 1-line block ×9, first 2 shown]
	v_cmp_lt_u32_e64 s[2:3], 31, v0
	s_waitcnt vmcnt(0)
	ds_write_b64 v1, v[72:73]
	s_waitcnt lgkmcnt(0)
	; wave barrier
	s_and_saveexec_b64 s[4:5], s[2:3]
	s_cbranch_execz .LBB97_16
; %bb.11:
	s_andn2_b64 vcc, exec, s[6:7]
	s_cbranch_vccnz .LBB97_13
; %bb.12:
	scratch_load_dwordx2 v[72:73], v19, off
	ds_read_b64 v[74:75], v1
	s_waitcnt vmcnt(0) lgkmcnt(0)
	v_mul_f64 v[72:73], v[72:73], v[74:75]
	s_cbranch_execz .LBB97_14
	s_branch .LBB97_15
.LBB97_13:
                                        ; implicit-def: $vgpr72_vgpr73
.LBB97_14:
	ds_read_b64 v[72:73], v1
.LBB97_15:
	scratch_load_dwordx2 v[78:79], off, off offset:256
	v_mov_b32_e32 v74, 0
	ds_read2_b64 v[74:77], v74 offset0:31 offset1:66
	s_waitcnt vmcnt(0) lgkmcnt(0)
	v_fma_f64 v[76:77], v[78:79], v[76:77], v[72:73]
	v_cndmask_b32_e64 v73, v73, v77, s[0:1]
	v_cndmask_b32_e64 v72, v72, v76, s[0:1]
	v_mul_f64 v[72:73], v[72:73], v[74:75]
	scratch_store_dwordx2 off, v[72:73], off offset:248
.LBB97_16:
	s_or_b64 exec, exec, s[4:5]
	scratch_load_dwordx2 v[72:73], off, off offset:240
	v_cmp_lt_u32_e64 s[0:1], 30, v0
	s_waitcnt vmcnt(0)
	ds_write_b64 v1, v[72:73]
	s_waitcnt lgkmcnt(0)
	; wave barrier
	s_and_saveexec_b64 s[4:5], s[0:1]
	s_cbranch_execz .LBB97_26
; %bb.17:
	s_andn2_b64 vcc, exec, s[6:7]
	s_cbranch_vccnz .LBB97_19
; %bb.18:
	scratch_load_dwordx2 v[72:73], v19, off
	ds_read_b64 v[74:75], v1
	s_waitcnt vmcnt(0) lgkmcnt(0)
	v_mul_f64 v[72:73], v[72:73], v[74:75]
	s_cbranch_execz .LBB97_20
	s_branch .LBB97_21
.LBB97_19:
                                        ; implicit-def: $vgpr72_vgpr73
.LBB97_20:
	ds_read_b64 v[72:73], v1
.LBB97_21:
	s_and_saveexec_b64 s[8:9], s[2:3]
	s_cbranch_execz .LBB97_25
; %bb.22:
	v_subrev_u32_e32 v74, 31, v0
	s_movk_i32 s42, 0x208
	s_mov_b64 s[2:3], 0
.LBB97_23:                              ; =>This Inner Loop Header: Depth=1
	scratch_load_dwordx2 v[76:77], off, s41
	v_mov_b32_e32 v75, s42
	ds_read_b64 v[78:79], v75
	v_add_u32_e32 v74, -1, v74
	s_add_i32 s42, s42, 8
	s_add_i32 s41, s41, 8
	v_cmp_eq_u32_e32 vcc, 0, v74
	s_or_b64 s[2:3], vcc, s[2:3]
	s_waitcnt vmcnt(0) lgkmcnt(0)
	v_fmac_f64_e32 v[72:73], v[76:77], v[78:79]
	s_andn2_b64 exec, exec, s[2:3]
	s_cbranch_execnz .LBB97_23
; %bb.24:
	s_or_b64 exec, exec, s[2:3]
.LBB97_25:
	s_or_b64 exec, exec, s[8:9]
	v_mov_b32_e32 v74, 0
	ds_read_b64 v[74:75], v74 offset:240
	s_waitcnt lgkmcnt(0)
	v_mul_f64 v[72:73], v[72:73], v[74:75]
	scratch_store_dwordx2 off, v[72:73], off offset:240
.LBB97_26:
	s_or_b64 exec, exec, s[4:5]
	scratch_load_dwordx2 v[72:73], off, off offset:232
	v_cmp_lt_u32_e64 s[2:3], 29, v0
	s_waitcnt vmcnt(0)
	ds_write_b64 v1, v[72:73]
	s_waitcnt lgkmcnt(0)
	; wave barrier
	s_and_saveexec_b64 s[4:5], s[2:3]
	s_cbranch_execz .LBB97_36
; %bb.27:
	s_andn2_b64 vcc, exec, s[6:7]
	s_cbranch_vccnz .LBB97_29
; %bb.28:
	scratch_load_dwordx2 v[72:73], v19, off
	ds_read_b64 v[74:75], v1
	s_waitcnt vmcnt(0) lgkmcnt(0)
	v_mul_f64 v[72:73], v[72:73], v[74:75]
	s_cbranch_execz .LBB97_30
	s_branch .LBB97_31
.LBB97_29:
                                        ; implicit-def: $vgpr72_vgpr73
.LBB97_30:
	ds_read_b64 v[72:73], v1
.LBB97_31:
	s_and_saveexec_b64 s[8:9], s[0:1]
	s_cbranch_execz .LBB97_35
; %bb.32:
	v_subrev_u32_e32 v74, 30, v0
	s_movk_i32 s41, 0x200
	s_mov_b64 s[0:1], 0
.LBB97_33:                              ; =>This Inner Loop Header: Depth=1
	scratch_load_dwordx2 v[76:77], off, s40
	v_mov_b32_e32 v75, s41
	ds_read_b64 v[78:79], v75
	v_add_u32_e32 v74, -1, v74
	s_add_i32 s41, s41, 8
	s_add_i32 s40, s40, 8
	v_cmp_eq_u32_e32 vcc, 0, v74
	s_or_b64 s[0:1], vcc, s[0:1]
	s_waitcnt vmcnt(0) lgkmcnt(0)
	v_fmac_f64_e32 v[72:73], v[76:77], v[78:79]
	s_andn2_b64 exec, exec, s[0:1]
	s_cbranch_execnz .LBB97_33
; %bb.34:
	s_or_b64 exec, exec, s[0:1]
.LBB97_35:
	s_or_b64 exec, exec, s[8:9]
	v_mov_b32_e32 v74, 0
	ds_read_b64 v[74:75], v74 offset:232
	s_waitcnt lgkmcnt(0)
	v_mul_f64 v[72:73], v[72:73], v[74:75]
	scratch_store_dwordx2 off, v[72:73], off offset:232
.LBB97_36:
	;; [unrolled: 53-line block ×8, first 2 shown]
	s_or_b64 exec, exec, s[4:5]
	scratch_load_dwordx2 v[72:73], off, off offset:176
	v_cmp_lt_u32_e64 s[0:1], 22, v0
	s_waitcnt vmcnt(0)
	ds_write_b64 v1, v[72:73]
	s_waitcnt lgkmcnt(0)
	; wave barrier
	s_and_saveexec_b64 s[4:5], s[0:1]
	s_cbranch_execz .LBB97_106
; %bb.97:
	s_andn2_b64 vcc, exec, s[6:7]
	s_cbranch_vccnz .LBB97_99
; %bb.98:
	scratch_load_dwordx2 v[72:73], v19, off
	ds_read_b64 v[74:75], v1
	s_waitcnt vmcnt(0) lgkmcnt(0)
	v_mul_f64 v[72:73], v[72:73], v[74:75]
	s_cbranch_execz .LBB97_100
	s_branch .LBB97_101
.LBB97_99:
                                        ; implicit-def: $vgpr72_vgpr73
.LBB97_100:
	ds_read_b64 v[72:73], v1
.LBB97_101:
	s_and_saveexec_b64 s[8:9], s[2:3]
	s_cbranch_execz .LBB97_105
; %bb.102:
	v_subrev_u32_e32 v74, 23, v0
	s_movk_i32 s34, 0x1c8
	s_mov_b64 s[2:3], 0
.LBB97_103:                             ; =>This Inner Loop Header: Depth=1
	scratch_load_dwordx2 v[76:77], off, s33
	v_mov_b32_e32 v75, s34
	ds_read_b64 v[78:79], v75
	v_add_u32_e32 v74, -1, v74
	s_add_i32 s34, s34, 8
	s_add_i32 s33, s33, 8
	v_cmp_eq_u32_e32 vcc, 0, v74
	s_or_b64 s[2:3], vcc, s[2:3]
	s_waitcnt vmcnt(0) lgkmcnt(0)
	v_fmac_f64_e32 v[72:73], v[76:77], v[78:79]
	s_andn2_b64 exec, exec, s[2:3]
	s_cbranch_execnz .LBB97_103
; %bb.104:
	s_or_b64 exec, exec, s[2:3]
.LBB97_105:
	s_or_b64 exec, exec, s[8:9]
	v_mov_b32_e32 v74, 0
	ds_read_b64 v[74:75], v74 offset:176
	s_waitcnt lgkmcnt(0)
	v_mul_f64 v[72:73], v[72:73], v[74:75]
	scratch_store_dwordx2 off, v[72:73], off offset:176
.LBB97_106:
	s_or_b64 exec, exec, s[4:5]
	scratch_load_dwordx2 v[72:73], off, off offset:168
	v_cmp_lt_u32_e64 s[2:3], 21, v0
	s_waitcnt vmcnt(0)
	ds_write_b64 v1, v[72:73]
	s_waitcnt lgkmcnt(0)
	; wave barrier
	s_and_saveexec_b64 s[4:5], s[2:3]
	s_cbranch_execz .LBB97_116
; %bb.107:
	s_andn2_b64 vcc, exec, s[6:7]
	s_cbranch_vccnz .LBB97_109
; %bb.108:
	scratch_load_dwordx2 v[72:73], v19, off
	ds_read_b64 v[74:75], v1
	s_waitcnt vmcnt(0) lgkmcnt(0)
	v_mul_f64 v[72:73], v[72:73], v[74:75]
	s_cbranch_execz .LBB97_110
	s_branch .LBB97_111
.LBB97_109:
                                        ; implicit-def: $vgpr72_vgpr73
.LBB97_110:
	ds_read_b64 v[72:73], v1
.LBB97_111:
	s_and_saveexec_b64 s[8:9], s[0:1]
	s_cbranch_execz .LBB97_115
; %bb.112:
	v_subrev_u32_e32 v74, 22, v0
	s_movk_i32 s33, 0x1c0
	s_mov_b64 s[0:1], 0
.LBB97_113:                             ; =>This Inner Loop Header: Depth=1
	scratch_load_dwordx2 v[76:77], off, s31
	v_mov_b32_e32 v75, s33
	ds_read_b64 v[78:79], v75
	v_add_u32_e32 v74, -1, v74
	s_add_i32 s33, s33, 8
	s_add_i32 s31, s31, 8
	v_cmp_eq_u32_e32 vcc, 0, v74
	s_or_b64 s[0:1], vcc, s[0:1]
	s_waitcnt vmcnt(0) lgkmcnt(0)
	v_fmac_f64_e32 v[72:73], v[76:77], v[78:79]
	s_andn2_b64 exec, exec, s[0:1]
	s_cbranch_execnz .LBB97_113
; %bb.114:
	s_or_b64 exec, exec, s[0:1]
.LBB97_115:
	s_or_b64 exec, exec, s[8:9]
	v_mov_b32_e32 v74, 0
	ds_read_b64 v[74:75], v74 offset:168
	s_waitcnt lgkmcnt(0)
	v_mul_f64 v[72:73], v[72:73], v[74:75]
	scratch_store_dwordx2 off, v[72:73], off offset:168
.LBB97_116:
	;; [unrolled: 53-line block ×7, first 2 shown]
	s_or_b64 exec, exec, s[4:5]
	scratch_load_dwordx2 v[72:73], off, off offset:120
	v_cmp_lt_u32_e64 s[2:3], 15, v0
	s_waitcnt vmcnt(0)
	ds_write_b64 v1, v[72:73]
	s_waitcnt lgkmcnt(0)
	; wave barrier
	s_and_saveexec_b64 s[4:5], s[2:3]
	s_cbranch_execz .LBB97_176
; %bb.167:
	s_andn2_b64 vcc, exec, s[6:7]
	s_cbranch_vccnz .LBB97_169
; %bb.168:
	scratch_load_dwordx2 v[72:73], v19, off
	ds_read_b64 v[74:75], v1
	s_waitcnt vmcnt(0) lgkmcnt(0)
	v_mul_f64 v[72:73], v[72:73], v[74:75]
	s_cbranch_execz .LBB97_170
	s_branch .LBB97_171
.LBB97_169:
                                        ; implicit-def: $vgpr72_vgpr73
.LBB97_170:
	ds_read_b64 v[72:73], v1
.LBB97_171:
	s_and_saveexec_b64 s[8:9], s[0:1]
	s_cbranch_execz .LBB97_175
; %bb.172:
	v_add_u32_e32 v74, -16, v0
	s_movk_i32 s26, 0x190
	s_mov_b64 s[0:1], 0
.LBB97_173:                             ; =>This Inner Loop Header: Depth=1
	scratch_load_dwordx2 v[76:77], off, s25
	v_mov_b32_e32 v75, s26
	ds_read_b64 v[78:79], v75
	v_add_u32_e32 v74, -1, v74
	s_add_i32 s26, s26, 8
	s_add_i32 s25, s25, 8
	v_cmp_eq_u32_e32 vcc, 0, v74
	s_or_b64 s[0:1], vcc, s[0:1]
	s_waitcnt vmcnt(0) lgkmcnt(0)
	v_fmac_f64_e32 v[72:73], v[76:77], v[78:79]
	s_andn2_b64 exec, exec, s[0:1]
	s_cbranch_execnz .LBB97_173
; %bb.174:
	s_or_b64 exec, exec, s[0:1]
.LBB97_175:
	s_or_b64 exec, exec, s[8:9]
	v_mov_b32_e32 v74, 0
	ds_read_b64 v[74:75], v74 offset:120
	s_waitcnt lgkmcnt(0)
	v_mul_f64 v[72:73], v[72:73], v[74:75]
	scratch_store_dwordx2 off, v[72:73], off offset:120
.LBB97_176:
	s_or_b64 exec, exec, s[4:5]
	scratch_load_dwordx2 v[72:73], off, off offset:112
	v_cmp_lt_u32_e64 s[0:1], 14, v0
	s_waitcnt vmcnt(0)
	ds_write_b64 v1, v[72:73]
	s_waitcnt lgkmcnt(0)
	; wave barrier
	s_and_saveexec_b64 s[4:5], s[0:1]
	s_cbranch_execz .LBB97_186
; %bb.177:
	s_andn2_b64 vcc, exec, s[6:7]
	s_cbranch_vccnz .LBB97_179
; %bb.178:
	scratch_load_dwordx2 v[72:73], v19, off
	ds_read_b64 v[74:75], v1
	s_waitcnt vmcnt(0) lgkmcnt(0)
	v_mul_f64 v[72:73], v[72:73], v[74:75]
	s_cbranch_execz .LBB97_180
	s_branch .LBB97_181
.LBB97_179:
                                        ; implicit-def: $vgpr72_vgpr73
.LBB97_180:
	ds_read_b64 v[72:73], v1
.LBB97_181:
	s_and_saveexec_b64 s[8:9], s[2:3]
	s_cbranch_execz .LBB97_185
; %bb.182:
	v_add_u32_e32 v74, -15, v0
	s_movk_i32 s25, 0x188
	s_mov_b64 s[2:3], 0
.LBB97_183:                             ; =>This Inner Loop Header: Depth=1
	scratch_load_dwordx2 v[76:77], off, s24
	v_mov_b32_e32 v75, s25
	ds_read_b64 v[78:79], v75
	v_add_u32_e32 v74, -1, v74
	s_add_i32 s25, s25, 8
	s_add_i32 s24, s24, 8
	v_cmp_eq_u32_e32 vcc, 0, v74
	s_or_b64 s[2:3], vcc, s[2:3]
	s_waitcnt vmcnt(0) lgkmcnt(0)
	v_fmac_f64_e32 v[72:73], v[76:77], v[78:79]
	s_andn2_b64 exec, exec, s[2:3]
	s_cbranch_execnz .LBB97_183
; %bb.184:
	s_or_b64 exec, exec, s[2:3]
.LBB97_185:
	s_or_b64 exec, exec, s[8:9]
	v_mov_b32_e32 v74, 0
	ds_read_b64 v[74:75], v74 offset:112
	s_waitcnt lgkmcnt(0)
	v_mul_f64 v[72:73], v[72:73], v[74:75]
	scratch_store_dwordx2 off, v[72:73], off offset:112
.LBB97_186:
	;; [unrolled: 53-line block ×15, first 2 shown]
	s_or_b64 exec, exec, s[4:5]
	scratch_load_dwordx2 v[72:73], off, off
	v_cmp_ne_u32_e32 vcc, 0, v0
	s_waitcnt vmcnt(0)
	ds_write_b64 v1, v[72:73]
	s_waitcnt lgkmcnt(0)
	; wave barrier
	s_and_saveexec_b64 s[0:1], vcc
	s_cbranch_execz .LBB97_326
; %bb.317:
	s_andn2_b64 vcc, exec, s[6:7]
	s_cbranch_vccnz .LBB97_319
; %bb.318:
	scratch_load_dwordx2 v[72:73], v19, off
	ds_read_b64 v[74:75], v1
	s_waitcnt vmcnt(0) lgkmcnt(0)
	v_mul_f64 v[72:73], v[72:73], v[74:75]
	s_cbranch_execz .LBB97_320
	s_branch .LBB97_321
.LBB97_319:
                                        ; implicit-def: $vgpr72_vgpr73
.LBB97_320:
	ds_read_b64 v[72:73], v1
.LBB97_321:
	s_and_saveexec_b64 s[4:5], s[2:3]
	s_cbranch_execz .LBB97_325
; %bb.322:
	v_add_u32_e32 v74, -1, v0
	s_movk_i32 s8, 0x118
	s_mov_b64 s[2:3], 0
.LBB97_323:                             ; =>This Inner Loop Header: Depth=1
	scratch_load_dwordx2 v[76:77], off, s10
	v_mov_b32_e32 v75, s8
	ds_read_b64 v[78:79], v75
	v_add_u32_e32 v74, -1, v74
	s_add_i32 s8, s8, 8
	s_add_i32 s10, s10, 8
	v_cmp_eq_u32_e32 vcc, 0, v74
	s_or_b64 s[2:3], vcc, s[2:3]
	s_waitcnt vmcnt(0) lgkmcnt(0)
	v_fmac_f64_e32 v[72:73], v[76:77], v[78:79]
	s_andn2_b64 exec, exec, s[2:3]
	s_cbranch_execnz .LBB97_323
; %bb.324:
	s_or_b64 exec, exec, s[2:3]
.LBB97_325:
	s_or_b64 exec, exec, s[4:5]
	v_mov_b32_e32 v74, 0
	ds_read_b64 v[74:75], v74
	s_waitcnt lgkmcnt(0)
	v_mul_f64 v[72:73], v[72:73], v[74:75]
	scratch_store_dwordx2 off, v[72:73], off
.LBB97_326:
	s_or_b64 exec, exec, s[0:1]
	s_mov_b64 s[0:1], 0
.LBB97_327:
	s_and_b64 vcc, exec, s[0:1]
	s_cbranch_vccz .LBB97_649
; %bb.328:
	scratch_load_dwordx2 v[72:73], off, off offset:8
	v_cmp_eq_u32_e64 s[2:3], 0, v0
	s_waitcnt vmcnt(0)
	ds_write_b64 v1, v[72:73]
	s_waitcnt lgkmcnt(0)
	; wave barrier
	s_and_saveexec_b64 s[0:1], s[2:3]
	s_cbranch_execz .LBB97_334
; %bb.329:
	s_and_b64 vcc, exec, s[6:7]
	s_cbranch_vccz .LBB97_331
; %bb.330:
	scratch_load_dwordx2 v[72:73], v19, off
	ds_read_b64 v[74:75], v1
	s_waitcnt vmcnt(0) lgkmcnt(0)
	v_mul_f64 v[72:73], v[72:73], v[74:75]
	s_cbranch_execz .LBB97_332
	s_branch .LBB97_333
.LBB97_331:
                                        ; implicit-def: $vgpr72_vgpr73
.LBB97_332:
	ds_read_b64 v[72:73], v1
.LBB97_333:
	v_mov_b32_e32 v74, 0
	ds_read_b64 v[74:75], v74 offset:8
	s_waitcnt lgkmcnt(0)
	v_mul_f64 v[72:73], v[72:73], v[74:75]
	scratch_store_dwordx2 off, v[72:73], off offset:8
.LBB97_334:
	s_or_b64 exec, exec, s[0:1]
	scratch_load_dwordx2 v[72:73], off, off offset:16
	v_cndmask_b32_e64 v74, 0, 1, s[6:7]
	v_cmp_gt_u32_e32 vcc, 2, v0
	v_cmp_ne_u32_e64 s[0:1], 1, v74
	s_waitcnt vmcnt(0)
	ds_write_b64 v1, v[72:73]
	s_waitcnt lgkmcnt(0)
	; wave barrier
	s_and_saveexec_b64 s[4:5], vcc
	s_cbranch_execz .LBB97_340
; %bb.335:
	s_and_b64 vcc, exec, s[0:1]
	s_cbranch_vccnz .LBB97_337
; %bb.336:
	scratch_load_dwordx2 v[72:73], v19, off
	ds_read_b64 v[74:75], v1
	s_waitcnt vmcnt(0) lgkmcnt(0)
	v_mul_f64 v[72:73], v[72:73], v[74:75]
	s_cbranch_execz .LBB97_338
	s_branch .LBB97_339
.LBB97_337:
                                        ; implicit-def: $vgpr72_vgpr73
.LBB97_338:
	ds_read_b64 v[72:73], v1
.LBB97_339:
	scratch_load_dwordx2 v[78:79], off, off offset:8
	v_mov_b32_e32 v74, 0
	ds_read2_b64 v[74:77], v74 offset0:2 offset1:35
	s_waitcnt vmcnt(0) lgkmcnt(0)
	v_fma_f64 v[76:77], v[78:79], v[76:77], v[72:73]
	v_cndmask_b32_e64 v73, v73, v77, s[2:3]
	v_cndmask_b32_e64 v72, v72, v76, s[2:3]
	v_mul_f64 v[72:73], v[72:73], v[74:75]
	scratch_store_dwordx2 off, v[72:73], off offset:16
.LBB97_340:
	s_or_b64 exec, exec, s[4:5]
	scratch_load_dwordx2 v[72:73], off, off offset:24
	v_cmp_gt_u32_e32 vcc, 3, v0
	s_waitcnt vmcnt(0)
	ds_write_b64 v1, v[72:73]
	s_waitcnt lgkmcnt(0)
	; wave barrier
	s_and_saveexec_b64 s[4:5], vcc
	s_cbranch_execz .LBB97_348
; %bb.341:
	s_and_b64 vcc, exec, s[0:1]
	s_cbranch_vccnz .LBB97_343
; %bb.342:
	scratch_load_dwordx2 v[72:73], v19, off
	ds_read_b64 v[74:75], v1
	s_waitcnt vmcnt(0) lgkmcnt(0)
	v_mul_f64 v[72:73], v[72:73], v[74:75]
	s_cbranch_execz .LBB97_344
	s_branch .LBB97_345
.LBB97_343:
                                        ; implicit-def: $vgpr72_vgpr73
.LBB97_344:
	ds_read_b64 v[72:73], v1
.LBB97_345:
	v_cmp_ne_u32_e32 vcc, 2, v0
	s_and_saveexec_b64 s[6:7], vcc
	s_cbranch_execz .LBB97_347
; %bb.346:
	scratch_load_dwordx2 v[74:75], v19, off offset:8
	scratch_load_dwordx2 v[76:77], off, off offset:16
	ds_read_b64 v[78:79], v1 offset:8
	v_mov_b32_e32 v80, 0
	ds_read_b64 v[80:81], v80 offset:288
	s_waitcnt vmcnt(1) lgkmcnt(1)
	v_fmac_f64_e32 v[72:73], v[74:75], v[78:79]
	s_waitcnt vmcnt(0) lgkmcnt(0)
	v_fma_f64 v[74:75], v[76:77], v[80:81], v[72:73]
	v_cndmask_b32_e64 v73, v73, v75, s[2:3]
	v_cndmask_b32_e64 v72, v72, v74, s[2:3]
.LBB97_347:
	s_or_b64 exec, exec, s[6:7]
	v_mov_b32_e32 v74, 0
	ds_read_b64 v[74:75], v74 offset:24
	s_waitcnt lgkmcnt(0)
	v_mul_f64 v[72:73], v[72:73], v[74:75]
	scratch_store_dwordx2 off, v[72:73], off offset:24
.LBB97_348:
	s_or_b64 exec, exec, s[4:5]
	scratch_load_dwordx2 v[72:73], off, off offset:32
	v_cmp_gt_u32_e32 vcc, 4, v0
	s_waitcnt vmcnt(0)
	ds_write_b64 v1, v[72:73]
	s_waitcnt lgkmcnt(0)
	; wave barrier
	s_and_saveexec_b64 s[2:3], vcc
	s_cbranch_execz .LBB97_358
; %bb.349:
	s_and_b64 vcc, exec, s[0:1]
	s_cbranch_vccnz .LBB97_351
; %bb.350:
	scratch_load_dwordx2 v[72:73], v19, off
	ds_read_b64 v[74:75], v1
	s_waitcnt vmcnt(0) lgkmcnt(0)
	v_mul_f64 v[72:73], v[72:73], v[74:75]
	s_cbranch_execz .LBB97_352
	s_branch .LBB97_353
.LBB97_351:
                                        ; implicit-def: $vgpr72_vgpr73
.LBB97_352:
	ds_read_b64 v[72:73], v1
.LBB97_353:
	v_cmp_ne_u32_e32 vcc, 3, v0
	s_and_saveexec_b64 s[4:5], vcc
	s_cbranch_execz .LBB97_357
; %bb.354:
	s_mov_b32 s6, 0
	v_add_u32_e32 v74, 0x118, v18
	v_add3_u32 v75, v18, s6, 8
	s_mov_b64 s[6:7], 0
	v_mov_b32_e32 v76, v0
.LBB97_355:                             ; =>This Inner Loop Header: Depth=1
	scratch_load_dwordx2 v[78:79], v75, off
	ds_read_b64 v[80:81], v74
	v_add_u32_e32 v76, 1, v76
	v_cmp_lt_u32_e32 vcc, 2, v76
	v_add_u32_e32 v74, 8, v74
	v_add_u32_e32 v75, 8, v75
	s_or_b64 s[6:7], vcc, s[6:7]
	s_waitcnt vmcnt(0) lgkmcnt(0)
	v_fmac_f64_e32 v[72:73], v[78:79], v[80:81]
	s_andn2_b64 exec, exec, s[6:7]
	s_cbranch_execnz .LBB97_355
; %bb.356:
	s_or_b64 exec, exec, s[6:7]
.LBB97_357:
	s_or_b64 exec, exec, s[4:5]
	v_mov_b32_e32 v74, 0
	ds_read_b64 v[74:75], v74 offset:32
	s_waitcnt lgkmcnt(0)
	v_mul_f64 v[72:73], v[72:73], v[74:75]
	scratch_store_dwordx2 off, v[72:73], off offset:32
.LBB97_358:
	s_or_b64 exec, exec, s[2:3]
	scratch_load_dwordx2 v[72:73], off, off offset:40
	v_cmp_gt_u32_e32 vcc, 5, v0
	s_waitcnt vmcnt(0)
	ds_write_b64 v1, v[72:73]
	s_waitcnt lgkmcnt(0)
	; wave barrier
	s_and_saveexec_b64 s[2:3], vcc
	s_cbranch_execz .LBB97_368
; %bb.359:
	s_and_b64 vcc, exec, s[0:1]
	s_cbranch_vccnz .LBB97_361
; %bb.360:
	scratch_load_dwordx2 v[72:73], v19, off
	ds_read_b64 v[74:75], v1
	s_waitcnt vmcnt(0) lgkmcnt(0)
	v_mul_f64 v[72:73], v[72:73], v[74:75]
	s_cbranch_execz .LBB97_362
	s_branch .LBB97_363
.LBB97_361:
                                        ; implicit-def: $vgpr72_vgpr73
.LBB97_362:
	ds_read_b64 v[72:73], v1
.LBB97_363:
	v_cmp_ne_u32_e32 vcc, 4, v0
	s_and_saveexec_b64 s[4:5], vcc
	s_cbranch_execz .LBB97_367
; %bb.364:
	s_mov_b32 s6, 0
	v_add_u32_e32 v74, 0x118, v18
	v_add3_u32 v75, v18, s6, 8
	s_mov_b64 s[6:7], 0
	v_mov_b32_e32 v76, v0
.LBB97_365:                             ; =>This Inner Loop Header: Depth=1
	scratch_load_dwordx2 v[78:79], v75, off
	ds_read_b64 v[80:81], v74
	v_add_u32_e32 v76, 1, v76
	v_cmp_lt_u32_e32 vcc, 3, v76
	v_add_u32_e32 v74, 8, v74
	v_add_u32_e32 v75, 8, v75
	s_or_b64 s[6:7], vcc, s[6:7]
	s_waitcnt vmcnt(0) lgkmcnt(0)
	v_fmac_f64_e32 v[72:73], v[78:79], v[80:81]
	s_andn2_b64 exec, exec, s[6:7]
	s_cbranch_execnz .LBB97_365
; %bb.366:
	s_or_b64 exec, exec, s[6:7]
.LBB97_367:
	s_or_b64 exec, exec, s[4:5]
	v_mov_b32_e32 v74, 0
	ds_read_b64 v[74:75], v74 offset:40
	s_waitcnt lgkmcnt(0)
	v_mul_f64 v[72:73], v[72:73], v[74:75]
	scratch_store_dwordx2 off, v[72:73], off offset:40
.LBB97_368:
	;; [unrolled: 55-line block ×28, first 2 shown]
	s_or_b64 exec, exec, s[2:3]
	scratch_load_dwordx2 v[72:73], off, off offset:256
	v_cmp_gt_u32_e64 s[2:3], 32, v0
	s_waitcnt vmcnt(0)
	ds_write_b64 v1, v[72:73]
	s_waitcnt lgkmcnt(0)
	; wave barrier
	s_and_saveexec_b64 s[4:5], s[2:3]
	s_cbranch_execz .LBB97_638
; %bb.629:
	s_and_b64 vcc, exec, s[0:1]
	s_cbranch_vccnz .LBB97_631
; %bb.630:
	scratch_load_dwordx2 v[72:73], v19, off
	ds_read_b64 v[74:75], v1
	s_waitcnt vmcnt(0) lgkmcnt(0)
	v_mul_f64 v[72:73], v[72:73], v[74:75]
	s_cbranch_execz .LBB97_632
	s_branch .LBB97_633
.LBB97_631:
                                        ; implicit-def: $vgpr72_vgpr73
.LBB97_632:
	ds_read_b64 v[72:73], v1
.LBB97_633:
	v_cmp_ne_u32_e32 vcc, 31, v0
	s_and_saveexec_b64 s[6:7], vcc
	s_cbranch_execz .LBB97_637
; %bb.634:
	s_mov_b32 s8, 0
	v_add_u32_e32 v74, 0x118, v18
	v_add3_u32 v75, v18, s8, 8
	s_mov_b64 s[8:9], 0
	v_mov_b32_e32 v76, v0
.LBB97_635:                             ; =>This Inner Loop Header: Depth=1
	scratch_load_dwordx2 v[78:79], v75, off
	ds_read_b64 v[80:81], v74
	v_add_u32_e32 v76, 1, v76
	v_cmp_lt_u32_e32 vcc, 30, v76
	v_add_u32_e32 v74, 8, v74
	v_add_u32_e32 v75, 8, v75
	s_or_b64 s[8:9], vcc, s[8:9]
	s_waitcnt vmcnt(0) lgkmcnt(0)
	v_fmac_f64_e32 v[72:73], v[78:79], v[80:81]
	s_andn2_b64 exec, exec, s[8:9]
	s_cbranch_execnz .LBB97_635
; %bb.636:
	s_or_b64 exec, exec, s[8:9]
.LBB97_637:
	s_or_b64 exec, exec, s[6:7]
	v_mov_b32_e32 v74, 0
	ds_read_b64 v[74:75], v74 offset:256
	s_waitcnt lgkmcnt(0)
	v_mul_f64 v[72:73], v[72:73], v[74:75]
	scratch_store_dwordx2 off, v[72:73], off offset:256
.LBB97_638:
	s_or_b64 exec, exec, s[4:5]
	scratch_load_dwordx2 v[72:73], off, off offset:264
	v_cmp_ne_u32_e32 vcc, 33, v0
	s_waitcnt vmcnt(0)
	ds_write_b64 v1, v[72:73]
	s_waitcnt lgkmcnt(0)
	; wave barrier
	s_and_saveexec_b64 s[4:5], vcc
	s_cbranch_execz .LBB97_648
; %bb.639:
	s_and_b64 vcc, exec, s[0:1]
	s_cbranch_vccnz .LBB97_641
; %bb.640:
	scratch_load_dwordx2 v[72:73], v19, off
	ds_read_b64 v[74:75], v1
	s_waitcnt vmcnt(0) lgkmcnt(0)
	v_mul_f64 v[72:73], v[72:73], v[74:75]
	s_cbranch_execz .LBB97_642
	s_branch .LBB97_643
.LBB97_641:
                                        ; implicit-def: $vgpr72_vgpr73
.LBB97_642:
	ds_read_b64 v[72:73], v1
.LBB97_643:
	s_and_saveexec_b64 s[0:1], s[2:3]
	s_cbranch_execz .LBB97_647
; %bb.644:
	s_mov_b32 s2, 0
	v_add_u32_e32 v1, 0x118, v18
	v_add3_u32 v18, v18, s2, 8
	s_mov_b64 s[2:3], 0
.LBB97_645:                             ; =>This Inner Loop Header: Depth=1
	scratch_load_dwordx2 v[74:75], v18, off
	ds_read_b64 v[76:77], v1
	v_add_u32_e32 v0, 1, v0
	v_cmp_lt_u32_e32 vcc, 31, v0
	v_add_u32_e32 v1, 8, v1
	v_add_u32_e32 v18, 8, v18
	s_or_b64 s[2:3], vcc, s[2:3]
	s_waitcnt vmcnt(0) lgkmcnt(0)
	v_fmac_f64_e32 v[72:73], v[74:75], v[76:77]
	s_andn2_b64 exec, exec, s[2:3]
	s_cbranch_execnz .LBB97_645
; %bb.646:
	s_or_b64 exec, exec, s[2:3]
.LBB97_647:
	s_or_b64 exec, exec, s[0:1]
	v_mov_b32_e32 v0, 0
	ds_read_b64 v[0:1], v0 offset:264
	s_waitcnt lgkmcnt(0)
	v_mul_f64 v[0:1], v[72:73], v[0:1]
	scratch_store_dwordx2 off, v[0:1], off offset:264
.LBB97_648:
	s_or_b64 exec, exec, s[4:5]
.LBB97_649:
	scratch_load_dwordx2 v[0:1], off, off
	s_waitcnt vmcnt(0)
	flat_store_dwordx2 v[2:3], v[0:1]
	scratch_load_dwordx2 v[0:1], off, off offset:8
	s_waitcnt vmcnt(0)
	flat_store_dwordx2 v[4:5], v[0:1]
	scratch_load_dwordx2 v[0:1], off, off offset:16
	;; [unrolled: 3-line block ×33, first 2 shown]
	s_waitcnt vmcnt(0)
	flat_store_dwordx2 v[70:71], v[0:1]
.LBB97_650:
	s_endpgm
	.section	.rodata,"a",@progbits
	.p2align	6, 0x0
	.amdhsa_kernel _ZN9rocsolver6v33100L18trti2_kernel_smallILi34EdPKPdEEv13rocblas_fill_17rocblas_diagonal_T1_iil
		.amdhsa_group_segment_fixed_size 544
		.amdhsa_private_segment_fixed_size 288
		.amdhsa_kernarg_size 32
		.amdhsa_user_sgpr_count 2
		.amdhsa_user_sgpr_dispatch_ptr 0
		.amdhsa_user_sgpr_queue_ptr 0
		.amdhsa_user_sgpr_kernarg_segment_ptr 1
		.amdhsa_user_sgpr_dispatch_id 0
		.amdhsa_user_sgpr_kernarg_preload_length 0
		.amdhsa_user_sgpr_kernarg_preload_offset 0
		.amdhsa_user_sgpr_private_segment_size 0
		.amdhsa_uses_dynamic_stack 0
		.amdhsa_enable_private_segment 1
		.amdhsa_system_sgpr_workgroup_id_x 1
		.amdhsa_system_sgpr_workgroup_id_y 0
		.amdhsa_system_sgpr_workgroup_id_z 0
		.amdhsa_system_sgpr_workgroup_info 0
		.amdhsa_system_vgpr_workitem_id 0
		.amdhsa_next_free_vgpr 82
		.amdhsa_next_free_sgpr 43
		.amdhsa_accum_offset 84
		.amdhsa_reserve_vcc 1
		.amdhsa_float_round_mode_32 0
		.amdhsa_float_round_mode_16_64 0
		.amdhsa_float_denorm_mode_32 3
		.amdhsa_float_denorm_mode_16_64 3
		.amdhsa_dx10_clamp 1
		.amdhsa_ieee_mode 1
		.amdhsa_fp16_overflow 0
		.amdhsa_tg_split 0
		.amdhsa_exception_fp_ieee_invalid_op 0
		.amdhsa_exception_fp_denorm_src 0
		.amdhsa_exception_fp_ieee_div_zero 0
		.amdhsa_exception_fp_ieee_overflow 0
		.amdhsa_exception_fp_ieee_underflow 0
		.amdhsa_exception_fp_ieee_inexact 0
		.amdhsa_exception_int_div_zero 0
	.end_amdhsa_kernel
	.section	.text._ZN9rocsolver6v33100L18trti2_kernel_smallILi34EdPKPdEEv13rocblas_fill_17rocblas_diagonal_T1_iil,"axG",@progbits,_ZN9rocsolver6v33100L18trti2_kernel_smallILi34EdPKPdEEv13rocblas_fill_17rocblas_diagonal_T1_iil,comdat
.Lfunc_end97:
	.size	_ZN9rocsolver6v33100L18trti2_kernel_smallILi34EdPKPdEEv13rocblas_fill_17rocblas_diagonal_T1_iil, .Lfunc_end97-_ZN9rocsolver6v33100L18trti2_kernel_smallILi34EdPKPdEEv13rocblas_fill_17rocblas_diagonal_T1_iil
                                        ; -- End function
	.set _ZN9rocsolver6v33100L18trti2_kernel_smallILi34EdPKPdEEv13rocblas_fill_17rocblas_diagonal_T1_iil.num_vgpr, 82
	.set _ZN9rocsolver6v33100L18trti2_kernel_smallILi34EdPKPdEEv13rocblas_fill_17rocblas_diagonal_T1_iil.num_agpr, 0
	.set _ZN9rocsolver6v33100L18trti2_kernel_smallILi34EdPKPdEEv13rocblas_fill_17rocblas_diagonal_T1_iil.numbered_sgpr, 43
	.set _ZN9rocsolver6v33100L18trti2_kernel_smallILi34EdPKPdEEv13rocblas_fill_17rocblas_diagonal_T1_iil.num_named_barrier, 0
	.set _ZN9rocsolver6v33100L18trti2_kernel_smallILi34EdPKPdEEv13rocblas_fill_17rocblas_diagonal_T1_iil.private_seg_size, 288
	.set _ZN9rocsolver6v33100L18trti2_kernel_smallILi34EdPKPdEEv13rocblas_fill_17rocblas_diagonal_T1_iil.uses_vcc, 1
	.set _ZN9rocsolver6v33100L18trti2_kernel_smallILi34EdPKPdEEv13rocblas_fill_17rocblas_diagonal_T1_iil.uses_flat_scratch, 0
	.set _ZN9rocsolver6v33100L18trti2_kernel_smallILi34EdPKPdEEv13rocblas_fill_17rocblas_diagonal_T1_iil.has_dyn_sized_stack, 0
	.set _ZN9rocsolver6v33100L18trti2_kernel_smallILi34EdPKPdEEv13rocblas_fill_17rocblas_diagonal_T1_iil.has_recursion, 0
	.set _ZN9rocsolver6v33100L18trti2_kernel_smallILi34EdPKPdEEv13rocblas_fill_17rocblas_diagonal_T1_iil.has_indirect_call, 0
	.section	.AMDGPU.csdata,"",@progbits
; Kernel info:
; codeLenInByte = 16376
; TotalNumSgprs: 49
; NumVgprs: 82
; NumAgprs: 0
; TotalNumVgprs: 82
; ScratchSize: 288
; MemoryBound: 0
; FloatMode: 240
; IeeeMode: 1
; LDSByteSize: 544 bytes/workgroup (compile time only)
; SGPRBlocks: 6
; VGPRBlocks: 10
; NumSGPRsForWavesPerEU: 49
; NumVGPRsForWavesPerEU: 82
; AccumOffset: 84
; Occupancy: 5
; WaveLimiterHint : 1
; COMPUTE_PGM_RSRC2:SCRATCH_EN: 1
; COMPUTE_PGM_RSRC2:USER_SGPR: 2
; COMPUTE_PGM_RSRC2:TRAP_HANDLER: 0
; COMPUTE_PGM_RSRC2:TGID_X_EN: 1
; COMPUTE_PGM_RSRC2:TGID_Y_EN: 0
; COMPUTE_PGM_RSRC2:TGID_Z_EN: 0
; COMPUTE_PGM_RSRC2:TIDIG_COMP_CNT: 0
; COMPUTE_PGM_RSRC3_GFX90A:ACCUM_OFFSET: 20
; COMPUTE_PGM_RSRC3_GFX90A:TG_SPLIT: 0
	.section	.text._ZN9rocsolver6v33100L18trti2_kernel_smallILi35EdPKPdEEv13rocblas_fill_17rocblas_diagonal_T1_iil,"axG",@progbits,_ZN9rocsolver6v33100L18trti2_kernel_smallILi35EdPKPdEEv13rocblas_fill_17rocblas_diagonal_T1_iil,comdat
	.globl	_ZN9rocsolver6v33100L18trti2_kernel_smallILi35EdPKPdEEv13rocblas_fill_17rocblas_diagonal_T1_iil ; -- Begin function _ZN9rocsolver6v33100L18trti2_kernel_smallILi35EdPKPdEEv13rocblas_fill_17rocblas_diagonal_T1_iil
	.p2align	8
	.type	_ZN9rocsolver6v33100L18trti2_kernel_smallILi35EdPKPdEEv13rocblas_fill_17rocblas_diagonal_T1_iil,@function
_ZN9rocsolver6v33100L18trti2_kernel_smallILi35EdPKPdEEv13rocblas_fill_17rocblas_diagonal_T1_iil: ; @_ZN9rocsolver6v33100L18trti2_kernel_smallILi35EdPKPdEEv13rocblas_fill_17rocblas_diagonal_T1_iil
; %bb.0:
	v_cmp_gt_u32_e32 vcc, 35, v0
	s_and_saveexec_b64 s[4:5], vcc
	s_cbranch_execz .LBB98_670
; %bb.1:
	s_load_dwordx2 s[8:9], s[0:1], 0x10
	s_load_dwordx4 s[4:7], s[0:1], 0x0
	s_ashr_i32 s3, s2, 31
	s_lshl_b64 s[0:1], s[2:3], 3
	v_lshlrev_b32_e32 v18, 3, v0
	s_waitcnt lgkmcnt(0)
	s_ashr_i32 s3, s8, 31
	s_add_u32 s0, s6, s0
	s_addc_u32 s1, s7, s1
	s_load_dwordx2 s[0:1], s[0:1], 0x0
	s_mov_b32 s2, s8
	s_lshl_b64 s[2:3], s[2:3], 3
	v_mov_b32_e32 v19, 0
	s_waitcnt lgkmcnt(0)
	s_add_u32 s0, s0, s2
	s_addc_u32 s1, s1, s3
	v_lshl_add_u64 v[2:3], s[0:1], 0, v[18:19]
	flat_load_dwordx2 v[6:7], v[2:3]
	s_mov_b32 s2, s9
	s_ashr_i32 s3, s9, 31
	v_lshl_add_u64 v[4:5], s[2:3], 3, v[2:3]
	s_add_i32 s2, s9, s9
	v_add_u32_e32 v10, s2, v0
	v_ashrrev_i32_e32 v11, 31, v10
	s_cmpk_lg_i32 s5, 0x84
	s_cselect_b64 s[6:7], -1, 0
	s_cmpk_eq_i32 s5, 0x84
	s_waitcnt vmcnt(0) lgkmcnt(0)
	scratch_store_dwordx2 off, v[6:7], off
	flat_load_dwordx2 v[8:9], v[4:5]
	v_lshl_add_u64 v[6:7], v[10:11], 3, s[0:1]
	v_add_u32_e32 v10, s9, v10
	v_ashrrev_i32_e32 v11, 31, v10
	v_add_u32_e32 v14, s9, v10
	v_ashrrev_i32_e32 v15, 31, v14
	s_waitcnt vmcnt(0) lgkmcnt(0)
	scratch_store_dwordx2 off, v[8:9], off offset:8
	flat_load_dwordx2 v[12:13], v[6:7]
	v_lshl_add_u64 v[8:9], v[10:11], 3, s[0:1]
	v_lshl_add_u64 v[10:11], v[14:15], 3, s[0:1]
	v_add_u32_e32 v14, s9, v14
	v_ashrrev_i32_e32 v15, 31, v14
	v_add_u32_e32 v20, s9, v14
	v_ashrrev_i32_e32 v21, 31, v20
	s_waitcnt vmcnt(0) lgkmcnt(0)
	scratch_store_dwordx2 off, v[12:13], off offset:16
	flat_load_dwordx2 v[12:13], v[8:9]
	s_waitcnt vmcnt(0) lgkmcnt(0)
	scratch_store_dwordx2 off, v[12:13], off offset:24
	flat_load_dwordx2 v[16:17], v[10:11]
	v_lshl_add_u64 v[12:13], v[14:15], 3, s[0:1]
	v_lshl_add_u64 v[14:15], v[20:21], 3, s[0:1]
	v_add_u32_e32 v20, s9, v20
	v_ashrrev_i32_e32 v21, 31, v20
	v_add_u32_e32 v24, s9, v20
	v_ashrrev_i32_e32 v25, 31, v24
	s_waitcnt vmcnt(0) lgkmcnt(0)
	scratch_store_dwordx2 off, v[16:17], off offset:32
	flat_load_dwordx2 v[16:17], v[12:13]
	;; [unrolled: 12-line block ×14, first 2 shown]
	s_waitcnt vmcnt(0) lgkmcnt(0)
	scratch_store_dwordx2 off, v[66:67], off offset:232
	flat_load_dwordx2 v[70:71], v[64:65]
	v_lshl_add_u64 v[66:67], v[68:69], 3, s[0:1]
	v_lshl_add_u64 v[68:69], v[72:73], 3, s[0:1]
	v_add_u32_e32 v72, s9, v72
	v_ashrrev_i32_e32 v73, 31, v72
	s_waitcnt vmcnt(0) lgkmcnt(0)
	scratch_store_dwordx2 off, v[70:71], off offset:240
	flat_load_dwordx2 v[70:71], v[66:67]
	s_waitcnt vmcnt(0) lgkmcnt(0)
	scratch_store_dwordx2 off, v[70:71], off offset:248
	flat_load_dwordx2 v[74:75], v[68:69]
	v_lshl_add_u64 v[70:71], v[72:73], 3, s[0:1]
	v_add_u32_e32 v72, s9, v72
	v_ashrrev_i32_e32 v73, 31, v72
	v_lshl_add_u64 v[72:73], v[72:73], 3, s[0:1]
	s_waitcnt vmcnt(0) lgkmcnt(0)
	scratch_store_dwordx2 off, v[74:75], off offset:256
	flat_load_dwordx2 v[74:75], v[70:71]
	s_waitcnt vmcnt(0) lgkmcnt(0)
	scratch_store_dwordx2 off, v[74:75], off offset:264
	flat_load_dwordx2 v[74:75], v[72:73]
	s_waitcnt vmcnt(0) lgkmcnt(0)
	scratch_store_dwordx2 off, v[74:75], off offset:272
	v_mov_b64_e32 v[74:75], -1.0
	s_cbranch_scc1 .LBB98_3
; %bb.2:
	scratch_load_dwordx2 v[74:75], v18, off
	s_waitcnt vmcnt(0)
	v_div_scale_f64 v[76:77], s[0:1], v[74:75], v[74:75], 1.0
	v_rcp_f64_e32 v[78:79], v[76:77]
	v_div_scale_f64 v[80:81], vcc, 1.0, v[74:75], 1.0
	v_fma_f64 v[82:83], -v[76:77], v[78:79], 1.0
	v_fmac_f64_e32 v[78:79], v[78:79], v[82:83]
	v_fma_f64 v[82:83], -v[76:77], v[78:79], 1.0
	v_fmac_f64_e32 v[78:79], v[78:79], v[82:83]
	v_mul_f64 v[82:83], v[80:81], v[78:79]
	v_fma_f64 v[76:77], -v[76:77], v[82:83], v[80:81]
	v_div_fmas_f64 v[76:77], v[76:77], v[78:79], v[82:83]
	v_div_fixup_f64 v[74:75], v[76:77], v[74:75], 1.0
	scratch_store_dwordx2 v18, v[74:75], off
	v_xor_b32_e32 v75, 0x80000000, v75
.LBB98_3:
	s_cmpk_eq_i32 s4, 0x79
	v_add_u32_e32 v1, 0x120, v18
	v_mov_b32_e32 v19, v18
	s_mov_b64 s[0:1], -1
	ds_write_b64 v18, v[74:75]
	s_cbranch_scc1 .LBB98_337
; %bb.4:
	scratch_load_dwordx2 v[74:75], off, off offset:264
	s_movk_i32 s8, 0x48
	s_movk_i32 s9, 0x50
	;; [unrolled: 1-line block ×24, first 2 shown]
	v_cmp_eq_u32_e64 s[0:1], 34, v0
	s_waitcnt vmcnt(0)
	ds_write_b64 v1, v[74:75]
	s_waitcnt lgkmcnt(0)
	; wave barrier
	s_and_saveexec_b64 s[2:3], s[0:1]
	s_cbranch_execz .LBB98_10
; %bb.5:
	s_and_b64 vcc, exec, s[6:7]
	s_cbranch_vccz .LBB98_7
; %bb.6:
	scratch_load_dwordx2 v[74:75], v19, off
	ds_read_b64 v[76:77], v1
	s_waitcnt vmcnt(0) lgkmcnt(0)
	v_mul_f64 v[74:75], v[74:75], v[76:77]
	s_cbranch_execz .LBB98_8
	s_branch .LBB98_9
.LBB98_7:
                                        ; implicit-def: $vgpr74_vgpr75
.LBB98_8:
	ds_read_b64 v[74:75], v1
.LBB98_9:
	v_mov_b32_e32 v76, 0
	ds_read_b64 v[76:77], v76 offset:264
	s_waitcnt lgkmcnt(0)
	v_mul_f64 v[74:75], v[74:75], v[76:77]
	scratch_store_dwordx2 off, v[74:75], off offset:264
.LBB98_10:
	s_or_b64 exec, exec, s[2:3]
	scratch_load_dwordx2 v[74:75], off, off offset:256
	s_or_b32 s10, 0, 8
	s_mov_b32 s11, 16
	s_mov_b32 s12, 24
	;; [unrolled: 1-line block ×9, first 2 shown]
	v_cmp_lt_u32_e64 s[2:3], 32, v0
	s_waitcnt vmcnt(0)
	ds_write_b64 v1, v[74:75]
	s_waitcnt lgkmcnt(0)
	; wave barrier
	s_and_saveexec_b64 s[4:5], s[2:3]
	s_cbranch_execz .LBB98_16
; %bb.11:
	s_andn2_b64 vcc, exec, s[6:7]
	s_cbranch_vccnz .LBB98_13
; %bb.12:
	scratch_load_dwordx2 v[74:75], v19, off
	ds_read_b64 v[76:77], v1
	s_waitcnt vmcnt(0) lgkmcnt(0)
	v_mul_f64 v[74:75], v[74:75], v[76:77]
	s_cbranch_execz .LBB98_14
	s_branch .LBB98_15
.LBB98_13:
                                        ; implicit-def: $vgpr74_vgpr75
.LBB98_14:
	ds_read_b64 v[74:75], v1
.LBB98_15:
	scratch_load_dwordx2 v[80:81], off, off offset:264
	v_mov_b32_e32 v76, 0
	ds_read2_b64 v[76:79], v76 offset0:32 offset1:69
	s_waitcnt vmcnt(0) lgkmcnt(0)
	v_fma_f64 v[78:79], v[80:81], v[78:79], v[74:75]
	v_cndmask_b32_e64 v75, v75, v79, s[0:1]
	v_cndmask_b32_e64 v74, v74, v78, s[0:1]
	v_mul_f64 v[74:75], v[74:75], v[76:77]
	scratch_store_dwordx2 off, v[74:75], off offset:256
.LBB98_16:
	s_or_b64 exec, exec, s[4:5]
	scratch_load_dwordx2 v[74:75], off, off offset:248
	v_cmp_lt_u32_e64 s[0:1], 31, v0
	s_waitcnt vmcnt(0)
	ds_write_b64 v1, v[74:75]
	s_waitcnt lgkmcnt(0)
	; wave barrier
	s_and_saveexec_b64 s[4:5], s[0:1]
	s_cbranch_execz .LBB98_26
; %bb.17:
	s_andn2_b64 vcc, exec, s[6:7]
	s_cbranch_vccnz .LBB98_19
; %bb.18:
	scratch_load_dwordx2 v[74:75], v19, off
	ds_read_b64 v[76:77], v1
	s_waitcnt vmcnt(0) lgkmcnt(0)
	v_mul_f64 v[74:75], v[74:75], v[76:77]
	s_cbranch_execz .LBB98_20
	s_branch .LBB98_21
.LBB98_19:
                                        ; implicit-def: $vgpr74_vgpr75
.LBB98_20:
	ds_read_b64 v[74:75], v1
.LBB98_21:
	s_and_saveexec_b64 s[8:9], s[2:3]
	s_cbranch_execz .LBB98_25
; %bb.22:
	v_subrev_u32_e32 v76, 32, v0
	s_movk_i32 s43, 0x220
	s_mov_b64 s[2:3], 0
.LBB98_23:                              ; =>This Inner Loop Header: Depth=1
	scratch_load_dwordx2 v[78:79], off, s42
	v_mov_b32_e32 v77, s43
	ds_read_b64 v[80:81], v77
	v_add_u32_e32 v76, -1, v76
	s_add_i32 s43, s43, 8
	s_add_i32 s42, s42, 8
	v_cmp_eq_u32_e32 vcc, 0, v76
	s_or_b64 s[2:3], vcc, s[2:3]
	s_waitcnt vmcnt(0) lgkmcnt(0)
	v_fmac_f64_e32 v[74:75], v[78:79], v[80:81]
	s_andn2_b64 exec, exec, s[2:3]
	s_cbranch_execnz .LBB98_23
; %bb.24:
	s_or_b64 exec, exec, s[2:3]
.LBB98_25:
	s_or_b64 exec, exec, s[8:9]
	v_mov_b32_e32 v76, 0
	ds_read_b64 v[76:77], v76 offset:248
	s_waitcnt lgkmcnt(0)
	v_mul_f64 v[74:75], v[74:75], v[76:77]
	scratch_store_dwordx2 off, v[74:75], off offset:248
.LBB98_26:
	s_or_b64 exec, exec, s[4:5]
	scratch_load_dwordx2 v[74:75], off, off offset:240
	v_cmp_lt_u32_e64 s[2:3], 30, v0
	s_waitcnt vmcnt(0)
	ds_write_b64 v1, v[74:75]
	s_waitcnt lgkmcnt(0)
	; wave barrier
	s_and_saveexec_b64 s[4:5], s[2:3]
	s_cbranch_execz .LBB98_36
; %bb.27:
	s_andn2_b64 vcc, exec, s[6:7]
	s_cbranch_vccnz .LBB98_29
; %bb.28:
	scratch_load_dwordx2 v[74:75], v19, off
	ds_read_b64 v[76:77], v1
	s_waitcnt vmcnt(0) lgkmcnt(0)
	v_mul_f64 v[74:75], v[74:75], v[76:77]
	s_cbranch_execz .LBB98_30
	s_branch .LBB98_31
.LBB98_29:
                                        ; implicit-def: $vgpr74_vgpr75
.LBB98_30:
	ds_read_b64 v[74:75], v1
.LBB98_31:
	s_and_saveexec_b64 s[8:9], s[0:1]
	s_cbranch_execz .LBB98_35
; %bb.32:
	v_subrev_u32_e32 v76, 31, v0
	s_movk_i32 s42, 0x218
	s_mov_b64 s[0:1], 0
.LBB98_33:                              ; =>This Inner Loop Header: Depth=1
	scratch_load_dwordx2 v[78:79], off, s41
	v_mov_b32_e32 v77, s42
	ds_read_b64 v[80:81], v77
	v_add_u32_e32 v76, -1, v76
	s_add_i32 s42, s42, 8
	s_add_i32 s41, s41, 8
	v_cmp_eq_u32_e32 vcc, 0, v76
	s_or_b64 s[0:1], vcc, s[0:1]
	s_waitcnt vmcnt(0) lgkmcnt(0)
	v_fmac_f64_e32 v[74:75], v[78:79], v[80:81]
	s_andn2_b64 exec, exec, s[0:1]
	s_cbranch_execnz .LBB98_33
; %bb.34:
	s_or_b64 exec, exec, s[0:1]
.LBB98_35:
	s_or_b64 exec, exec, s[8:9]
	v_mov_b32_e32 v76, 0
	ds_read_b64 v[76:77], v76 offset:240
	s_waitcnt lgkmcnt(0)
	v_mul_f64 v[74:75], v[74:75], v[76:77]
	scratch_store_dwordx2 off, v[74:75], off offset:240
.LBB98_36:
	;; [unrolled: 53-line block ×8, first 2 shown]
	s_or_b64 exec, exec, s[4:5]
	scratch_load_dwordx2 v[74:75], off, off offset:184
	v_cmp_lt_u32_e64 s[0:1], 23, v0
	s_waitcnt vmcnt(0)
	ds_write_b64 v1, v[74:75]
	s_waitcnt lgkmcnt(0)
	; wave barrier
	s_and_saveexec_b64 s[4:5], s[0:1]
	s_cbranch_execz .LBB98_106
; %bb.97:
	s_andn2_b64 vcc, exec, s[6:7]
	s_cbranch_vccnz .LBB98_99
; %bb.98:
	scratch_load_dwordx2 v[74:75], v19, off
	ds_read_b64 v[76:77], v1
	s_waitcnt vmcnt(0) lgkmcnt(0)
	v_mul_f64 v[74:75], v[74:75], v[76:77]
	s_cbranch_execz .LBB98_100
	s_branch .LBB98_101
.LBB98_99:
                                        ; implicit-def: $vgpr74_vgpr75
.LBB98_100:
	ds_read_b64 v[74:75], v1
.LBB98_101:
	s_and_saveexec_b64 s[8:9], s[2:3]
	s_cbranch_execz .LBB98_105
; %bb.102:
	v_subrev_u32_e32 v76, 24, v0
	s_movk_i32 s35, 0x1e0
	s_mov_b64 s[2:3], 0
.LBB98_103:                             ; =>This Inner Loop Header: Depth=1
	scratch_load_dwordx2 v[78:79], off, s34
	v_mov_b32_e32 v77, s35
	ds_read_b64 v[80:81], v77
	v_add_u32_e32 v76, -1, v76
	s_add_i32 s35, s35, 8
	s_add_i32 s34, s34, 8
	v_cmp_eq_u32_e32 vcc, 0, v76
	s_or_b64 s[2:3], vcc, s[2:3]
	s_waitcnt vmcnt(0) lgkmcnt(0)
	v_fmac_f64_e32 v[74:75], v[78:79], v[80:81]
	s_andn2_b64 exec, exec, s[2:3]
	s_cbranch_execnz .LBB98_103
; %bb.104:
	s_or_b64 exec, exec, s[2:3]
.LBB98_105:
	s_or_b64 exec, exec, s[8:9]
	v_mov_b32_e32 v76, 0
	ds_read_b64 v[76:77], v76 offset:184
	s_waitcnt lgkmcnt(0)
	v_mul_f64 v[74:75], v[74:75], v[76:77]
	scratch_store_dwordx2 off, v[74:75], off offset:184
.LBB98_106:
	s_or_b64 exec, exec, s[4:5]
	scratch_load_dwordx2 v[74:75], off, off offset:176
	v_cmp_lt_u32_e64 s[2:3], 22, v0
	s_waitcnt vmcnt(0)
	ds_write_b64 v1, v[74:75]
	s_waitcnt lgkmcnt(0)
	; wave barrier
	s_and_saveexec_b64 s[4:5], s[2:3]
	s_cbranch_execz .LBB98_116
; %bb.107:
	s_andn2_b64 vcc, exec, s[6:7]
	s_cbranch_vccnz .LBB98_109
; %bb.108:
	scratch_load_dwordx2 v[74:75], v19, off
	ds_read_b64 v[76:77], v1
	s_waitcnt vmcnt(0) lgkmcnt(0)
	v_mul_f64 v[74:75], v[74:75], v[76:77]
	s_cbranch_execz .LBB98_110
	s_branch .LBB98_111
.LBB98_109:
                                        ; implicit-def: $vgpr74_vgpr75
.LBB98_110:
	ds_read_b64 v[74:75], v1
.LBB98_111:
	s_and_saveexec_b64 s[8:9], s[0:1]
	s_cbranch_execz .LBB98_115
; %bb.112:
	v_subrev_u32_e32 v76, 23, v0
	s_movk_i32 s34, 0x1d8
	s_mov_b64 s[0:1], 0
.LBB98_113:                             ; =>This Inner Loop Header: Depth=1
	scratch_load_dwordx2 v[78:79], off, s33
	v_mov_b32_e32 v77, s34
	ds_read_b64 v[80:81], v77
	v_add_u32_e32 v76, -1, v76
	s_add_i32 s34, s34, 8
	s_add_i32 s33, s33, 8
	v_cmp_eq_u32_e32 vcc, 0, v76
	s_or_b64 s[0:1], vcc, s[0:1]
	s_waitcnt vmcnt(0) lgkmcnt(0)
	v_fmac_f64_e32 v[74:75], v[78:79], v[80:81]
	s_andn2_b64 exec, exec, s[0:1]
	s_cbranch_execnz .LBB98_113
; %bb.114:
	s_or_b64 exec, exec, s[0:1]
.LBB98_115:
	s_or_b64 exec, exec, s[8:9]
	v_mov_b32_e32 v76, 0
	ds_read_b64 v[76:77], v76 offset:176
	s_waitcnt lgkmcnt(0)
	v_mul_f64 v[74:75], v[74:75], v[76:77]
	scratch_store_dwordx2 off, v[74:75], off offset:176
.LBB98_116:
	;; [unrolled: 53-line block ×8, first 2 shown]
	s_or_b64 exec, exec, s[4:5]
	scratch_load_dwordx2 v[74:75], off, off offset:120
	v_cmp_lt_u32_e64 s[0:1], 15, v0
	s_waitcnt vmcnt(0)
	ds_write_b64 v1, v[74:75]
	s_waitcnt lgkmcnt(0)
	; wave barrier
	s_and_saveexec_b64 s[4:5], s[0:1]
	s_cbranch_execz .LBB98_186
; %bb.177:
	s_andn2_b64 vcc, exec, s[6:7]
	s_cbranch_vccnz .LBB98_179
; %bb.178:
	scratch_load_dwordx2 v[74:75], v19, off
	ds_read_b64 v[76:77], v1
	s_waitcnt vmcnt(0) lgkmcnt(0)
	v_mul_f64 v[74:75], v[74:75], v[76:77]
	s_cbranch_execz .LBB98_180
	s_branch .LBB98_181
.LBB98_179:
                                        ; implicit-def: $vgpr74_vgpr75
.LBB98_180:
	ds_read_b64 v[74:75], v1
.LBB98_181:
	s_and_saveexec_b64 s[8:9], s[2:3]
	s_cbranch_execz .LBB98_185
; %bb.182:
	v_add_u32_e32 v76, -16, v0
	s_movk_i32 s26, 0x1a0
	s_mov_b64 s[2:3], 0
.LBB98_183:                             ; =>This Inner Loop Header: Depth=1
	scratch_load_dwordx2 v[78:79], off, s25
	v_mov_b32_e32 v77, s26
	ds_read_b64 v[80:81], v77
	v_add_u32_e32 v76, -1, v76
	s_add_i32 s26, s26, 8
	s_add_i32 s25, s25, 8
	v_cmp_eq_u32_e32 vcc, 0, v76
	s_or_b64 s[2:3], vcc, s[2:3]
	s_waitcnt vmcnt(0) lgkmcnt(0)
	v_fmac_f64_e32 v[74:75], v[78:79], v[80:81]
	s_andn2_b64 exec, exec, s[2:3]
	s_cbranch_execnz .LBB98_183
; %bb.184:
	s_or_b64 exec, exec, s[2:3]
.LBB98_185:
	s_or_b64 exec, exec, s[8:9]
	v_mov_b32_e32 v76, 0
	ds_read_b64 v[76:77], v76 offset:120
	s_waitcnt lgkmcnt(0)
	v_mul_f64 v[74:75], v[74:75], v[76:77]
	scratch_store_dwordx2 off, v[74:75], off offset:120
.LBB98_186:
	s_or_b64 exec, exec, s[4:5]
	scratch_load_dwordx2 v[74:75], off, off offset:112
	v_cmp_lt_u32_e64 s[2:3], 14, v0
	s_waitcnt vmcnt(0)
	ds_write_b64 v1, v[74:75]
	s_waitcnt lgkmcnt(0)
	; wave barrier
	s_and_saveexec_b64 s[4:5], s[2:3]
	s_cbranch_execz .LBB98_196
; %bb.187:
	s_andn2_b64 vcc, exec, s[6:7]
	s_cbranch_vccnz .LBB98_189
; %bb.188:
	scratch_load_dwordx2 v[74:75], v19, off
	ds_read_b64 v[76:77], v1
	s_waitcnt vmcnt(0) lgkmcnt(0)
	v_mul_f64 v[74:75], v[74:75], v[76:77]
	s_cbranch_execz .LBB98_190
	s_branch .LBB98_191
.LBB98_189:
                                        ; implicit-def: $vgpr74_vgpr75
.LBB98_190:
	ds_read_b64 v[74:75], v1
.LBB98_191:
	s_and_saveexec_b64 s[8:9], s[0:1]
	s_cbranch_execz .LBB98_195
; %bb.192:
	v_add_u32_e32 v76, -15, v0
	s_movk_i32 s25, 0x198
	s_mov_b64 s[0:1], 0
.LBB98_193:                             ; =>This Inner Loop Header: Depth=1
	scratch_load_dwordx2 v[78:79], off, s24
	v_mov_b32_e32 v77, s25
	ds_read_b64 v[80:81], v77
	v_add_u32_e32 v76, -1, v76
	s_add_i32 s25, s25, 8
	s_add_i32 s24, s24, 8
	v_cmp_eq_u32_e32 vcc, 0, v76
	s_or_b64 s[0:1], vcc, s[0:1]
	s_waitcnt vmcnt(0) lgkmcnt(0)
	v_fmac_f64_e32 v[74:75], v[78:79], v[80:81]
	s_andn2_b64 exec, exec, s[0:1]
	s_cbranch_execnz .LBB98_193
; %bb.194:
	s_or_b64 exec, exec, s[0:1]
.LBB98_195:
	s_or_b64 exec, exec, s[8:9]
	v_mov_b32_e32 v76, 0
	ds_read_b64 v[76:77], v76 offset:112
	s_waitcnt lgkmcnt(0)
	v_mul_f64 v[74:75], v[74:75], v[76:77]
	scratch_store_dwordx2 off, v[74:75], off offset:112
.LBB98_196:
	;; [unrolled: 53-line block ×15, first 2 shown]
	s_or_b64 exec, exec, s[4:5]
	scratch_load_dwordx2 v[74:75], off, off
	v_cmp_ne_u32_e32 vcc, 0, v0
	s_waitcnt vmcnt(0)
	ds_write_b64 v1, v[74:75]
	s_waitcnt lgkmcnt(0)
	; wave barrier
	s_and_saveexec_b64 s[2:3], vcc
	s_cbranch_execz .LBB98_336
; %bb.327:
	s_andn2_b64 vcc, exec, s[6:7]
	s_cbranch_vccnz .LBB98_329
; %bb.328:
	scratch_load_dwordx2 v[74:75], v19, off
	ds_read_b64 v[76:77], v1
	s_waitcnt vmcnt(0) lgkmcnt(0)
	v_mul_f64 v[74:75], v[74:75], v[76:77]
	s_cbranch_execz .LBB98_330
	s_branch .LBB98_331
.LBB98_329:
                                        ; implicit-def: $vgpr74_vgpr75
.LBB98_330:
	ds_read_b64 v[74:75], v1
.LBB98_331:
	s_and_saveexec_b64 s[4:5], s[0:1]
	s_cbranch_execz .LBB98_335
; %bb.332:
	v_add_u32_e32 v76, -1, v0
	s_movk_i32 s8, 0x128
	s_mov_b64 s[0:1], 0
.LBB98_333:                             ; =>This Inner Loop Header: Depth=1
	scratch_load_dwordx2 v[78:79], off, s10
	v_mov_b32_e32 v77, s8
	ds_read_b64 v[80:81], v77
	v_add_u32_e32 v76, -1, v76
	s_add_i32 s8, s8, 8
	s_add_i32 s10, s10, 8
	v_cmp_eq_u32_e32 vcc, 0, v76
	s_or_b64 s[0:1], vcc, s[0:1]
	s_waitcnt vmcnt(0) lgkmcnt(0)
	v_fmac_f64_e32 v[74:75], v[78:79], v[80:81]
	s_andn2_b64 exec, exec, s[0:1]
	s_cbranch_execnz .LBB98_333
; %bb.334:
	s_or_b64 exec, exec, s[0:1]
.LBB98_335:
	s_or_b64 exec, exec, s[4:5]
	v_mov_b32_e32 v76, 0
	ds_read_b64 v[76:77], v76
	s_waitcnt lgkmcnt(0)
	v_mul_f64 v[74:75], v[74:75], v[76:77]
	scratch_store_dwordx2 off, v[74:75], off
.LBB98_336:
	s_or_b64 exec, exec, s[2:3]
	s_mov_b64 s[0:1], 0
.LBB98_337:
	s_and_b64 vcc, exec, s[0:1]
	s_cbranch_vccz .LBB98_669
; %bb.338:
	scratch_load_dwordx2 v[74:75], off, off offset:8
	v_cmp_eq_u32_e64 s[2:3], 0, v0
	s_waitcnt vmcnt(0)
	ds_write_b64 v1, v[74:75]
	s_waitcnt lgkmcnt(0)
	; wave barrier
	s_and_saveexec_b64 s[0:1], s[2:3]
	s_cbranch_execz .LBB98_344
; %bb.339:
	s_and_b64 vcc, exec, s[6:7]
	s_cbranch_vccz .LBB98_341
; %bb.340:
	scratch_load_dwordx2 v[74:75], v19, off
	ds_read_b64 v[76:77], v1
	s_waitcnt vmcnt(0) lgkmcnt(0)
	v_mul_f64 v[74:75], v[74:75], v[76:77]
	s_cbranch_execz .LBB98_342
	s_branch .LBB98_343
.LBB98_341:
                                        ; implicit-def: $vgpr74_vgpr75
.LBB98_342:
	ds_read_b64 v[74:75], v1
.LBB98_343:
	v_mov_b32_e32 v76, 0
	ds_read_b64 v[76:77], v76 offset:8
	s_waitcnt lgkmcnt(0)
	v_mul_f64 v[74:75], v[74:75], v[76:77]
	scratch_store_dwordx2 off, v[74:75], off offset:8
.LBB98_344:
	s_or_b64 exec, exec, s[0:1]
	scratch_load_dwordx2 v[74:75], off, off offset:16
	v_cndmask_b32_e64 v76, 0, 1, s[6:7]
	v_cmp_gt_u32_e32 vcc, 2, v0
	v_cmp_ne_u32_e64 s[0:1], 1, v76
	s_waitcnt vmcnt(0)
	ds_write_b64 v1, v[74:75]
	s_waitcnt lgkmcnt(0)
	; wave barrier
	s_and_saveexec_b64 s[4:5], vcc
	s_cbranch_execz .LBB98_350
; %bb.345:
	s_and_b64 vcc, exec, s[0:1]
	s_cbranch_vccnz .LBB98_347
; %bb.346:
	scratch_load_dwordx2 v[74:75], v19, off
	ds_read_b64 v[76:77], v1
	s_waitcnt vmcnt(0) lgkmcnt(0)
	v_mul_f64 v[74:75], v[74:75], v[76:77]
	s_cbranch_execz .LBB98_348
	s_branch .LBB98_349
.LBB98_347:
                                        ; implicit-def: $vgpr74_vgpr75
.LBB98_348:
	ds_read_b64 v[74:75], v1
.LBB98_349:
	scratch_load_dwordx2 v[80:81], off, off offset:8
	v_mov_b32_e32 v76, 0
	ds_read2_b64 v[76:79], v76 offset0:2 offset1:37
	s_waitcnt vmcnt(0) lgkmcnt(0)
	v_fma_f64 v[78:79], v[80:81], v[78:79], v[74:75]
	v_cndmask_b32_e64 v75, v75, v79, s[2:3]
	v_cndmask_b32_e64 v74, v74, v78, s[2:3]
	v_mul_f64 v[74:75], v[74:75], v[76:77]
	scratch_store_dwordx2 off, v[74:75], off offset:16
.LBB98_350:
	s_or_b64 exec, exec, s[4:5]
	scratch_load_dwordx2 v[74:75], off, off offset:24
	v_cmp_gt_u32_e32 vcc, 3, v0
	s_waitcnt vmcnt(0)
	ds_write_b64 v1, v[74:75]
	s_waitcnt lgkmcnt(0)
	; wave barrier
	s_and_saveexec_b64 s[4:5], vcc
	s_cbranch_execz .LBB98_358
; %bb.351:
	s_and_b64 vcc, exec, s[0:1]
	s_cbranch_vccnz .LBB98_353
; %bb.352:
	scratch_load_dwordx2 v[74:75], v19, off
	ds_read_b64 v[76:77], v1
	s_waitcnt vmcnt(0) lgkmcnt(0)
	v_mul_f64 v[74:75], v[74:75], v[76:77]
	s_cbranch_execz .LBB98_354
	s_branch .LBB98_355
.LBB98_353:
                                        ; implicit-def: $vgpr74_vgpr75
.LBB98_354:
	ds_read_b64 v[74:75], v1
.LBB98_355:
	v_cmp_ne_u32_e32 vcc, 2, v0
	s_and_saveexec_b64 s[6:7], vcc
	s_cbranch_execz .LBB98_357
; %bb.356:
	scratch_load_dwordx2 v[76:77], v19, off offset:8
	scratch_load_dwordx2 v[78:79], off, off offset:16
	ds_read_b64 v[80:81], v1 offset:8
	v_mov_b32_e32 v82, 0
	ds_read_b64 v[82:83], v82 offset:304
	s_waitcnt vmcnt(1) lgkmcnt(1)
	v_fmac_f64_e32 v[74:75], v[76:77], v[80:81]
	s_waitcnt vmcnt(0) lgkmcnt(0)
	v_fma_f64 v[76:77], v[78:79], v[82:83], v[74:75]
	v_cndmask_b32_e64 v75, v75, v77, s[2:3]
	v_cndmask_b32_e64 v74, v74, v76, s[2:3]
.LBB98_357:
	s_or_b64 exec, exec, s[6:7]
	v_mov_b32_e32 v76, 0
	ds_read_b64 v[76:77], v76 offset:24
	s_waitcnt lgkmcnt(0)
	v_mul_f64 v[74:75], v[74:75], v[76:77]
	scratch_store_dwordx2 off, v[74:75], off offset:24
.LBB98_358:
	s_or_b64 exec, exec, s[4:5]
	scratch_load_dwordx2 v[74:75], off, off offset:32
	v_cmp_gt_u32_e32 vcc, 4, v0
	s_waitcnt vmcnt(0)
	ds_write_b64 v1, v[74:75]
	s_waitcnt lgkmcnt(0)
	; wave barrier
	s_and_saveexec_b64 s[2:3], vcc
	s_cbranch_execz .LBB98_368
; %bb.359:
	s_and_b64 vcc, exec, s[0:1]
	s_cbranch_vccnz .LBB98_361
; %bb.360:
	scratch_load_dwordx2 v[74:75], v19, off
	ds_read_b64 v[76:77], v1
	s_waitcnt vmcnt(0) lgkmcnt(0)
	v_mul_f64 v[74:75], v[74:75], v[76:77]
	s_cbranch_execz .LBB98_362
	s_branch .LBB98_363
.LBB98_361:
                                        ; implicit-def: $vgpr74_vgpr75
.LBB98_362:
	ds_read_b64 v[74:75], v1
.LBB98_363:
	v_cmp_ne_u32_e32 vcc, 3, v0
	s_and_saveexec_b64 s[4:5], vcc
	s_cbranch_execz .LBB98_367
; %bb.364:
	s_mov_b32 s6, 0
	v_add_u32_e32 v76, 0x128, v18
	v_add3_u32 v77, v18, s6, 8
	s_mov_b64 s[6:7], 0
	v_mov_b32_e32 v78, v0
.LBB98_365:                             ; =>This Inner Loop Header: Depth=1
	scratch_load_dwordx2 v[80:81], v77, off
	ds_read_b64 v[82:83], v76
	v_add_u32_e32 v78, 1, v78
	v_cmp_lt_u32_e32 vcc, 2, v78
	v_add_u32_e32 v76, 8, v76
	v_add_u32_e32 v77, 8, v77
	s_or_b64 s[6:7], vcc, s[6:7]
	s_waitcnt vmcnt(0) lgkmcnt(0)
	v_fmac_f64_e32 v[74:75], v[80:81], v[82:83]
	s_andn2_b64 exec, exec, s[6:7]
	s_cbranch_execnz .LBB98_365
; %bb.366:
	s_or_b64 exec, exec, s[6:7]
.LBB98_367:
	s_or_b64 exec, exec, s[4:5]
	v_mov_b32_e32 v76, 0
	ds_read_b64 v[76:77], v76 offset:32
	s_waitcnt lgkmcnt(0)
	v_mul_f64 v[74:75], v[74:75], v[76:77]
	scratch_store_dwordx2 off, v[74:75], off offset:32
.LBB98_368:
	s_or_b64 exec, exec, s[2:3]
	scratch_load_dwordx2 v[74:75], off, off offset:40
	v_cmp_gt_u32_e32 vcc, 5, v0
	s_waitcnt vmcnt(0)
	ds_write_b64 v1, v[74:75]
	s_waitcnt lgkmcnt(0)
	; wave barrier
	s_and_saveexec_b64 s[2:3], vcc
	s_cbranch_execz .LBB98_378
; %bb.369:
	s_and_b64 vcc, exec, s[0:1]
	s_cbranch_vccnz .LBB98_371
; %bb.370:
	scratch_load_dwordx2 v[74:75], v19, off
	ds_read_b64 v[76:77], v1
	s_waitcnt vmcnt(0) lgkmcnt(0)
	v_mul_f64 v[74:75], v[74:75], v[76:77]
	s_cbranch_execz .LBB98_372
	s_branch .LBB98_373
.LBB98_371:
                                        ; implicit-def: $vgpr74_vgpr75
.LBB98_372:
	ds_read_b64 v[74:75], v1
.LBB98_373:
	v_cmp_ne_u32_e32 vcc, 4, v0
	s_and_saveexec_b64 s[4:5], vcc
	s_cbranch_execz .LBB98_377
; %bb.374:
	s_mov_b32 s6, 0
	v_add_u32_e32 v76, 0x128, v18
	v_add3_u32 v77, v18, s6, 8
	s_mov_b64 s[6:7], 0
	v_mov_b32_e32 v78, v0
.LBB98_375:                             ; =>This Inner Loop Header: Depth=1
	scratch_load_dwordx2 v[80:81], v77, off
	ds_read_b64 v[82:83], v76
	v_add_u32_e32 v78, 1, v78
	v_cmp_lt_u32_e32 vcc, 3, v78
	v_add_u32_e32 v76, 8, v76
	v_add_u32_e32 v77, 8, v77
	s_or_b64 s[6:7], vcc, s[6:7]
	s_waitcnt vmcnt(0) lgkmcnt(0)
	v_fmac_f64_e32 v[74:75], v[80:81], v[82:83]
	s_andn2_b64 exec, exec, s[6:7]
	s_cbranch_execnz .LBB98_375
; %bb.376:
	s_or_b64 exec, exec, s[6:7]
.LBB98_377:
	s_or_b64 exec, exec, s[4:5]
	v_mov_b32_e32 v76, 0
	ds_read_b64 v[76:77], v76 offset:40
	s_waitcnt lgkmcnt(0)
	v_mul_f64 v[74:75], v[74:75], v[76:77]
	scratch_store_dwordx2 off, v[74:75], off offset:40
.LBB98_378:
	s_or_b64 exec, exec, s[2:3]
	scratch_load_dwordx2 v[74:75], off, off offset:48
	v_cmp_gt_u32_e32 vcc, 6, v0
	s_waitcnt vmcnt(0)
	ds_write_b64 v1, v[74:75]
	s_waitcnt lgkmcnt(0)
	; wave barrier
	s_and_saveexec_b64 s[2:3], vcc
	s_cbranch_execz .LBB98_388
; %bb.379:
	s_and_b64 vcc, exec, s[0:1]
	s_cbranch_vccnz .LBB98_381
; %bb.380:
	scratch_load_dwordx2 v[74:75], v19, off
	ds_read_b64 v[76:77], v1
	s_waitcnt vmcnt(0) lgkmcnt(0)
	v_mul_f64 v[74:75], v[74:75], v[76:77]
	s_cbranch_execz .LBB98_382
	s_branch .LBB98_383
.LBB98_381:
                                        ; implicit-def: $vgpr74_vgpr75
.LBB98_382:
	ds_read_b64 v[74:75], v1
.LBB98_383:
	v_cmp_ne_u32_e32 vcc, 5, v0
	s_and_saveexec_b64 s[4:5], vcc
	s_cbranch_execz .LBB98_387
; %bb.384:
	s_mov_b32 s6, 0
	v_add_u32_e32 v76, 0x128, v18
	v_add3_u32 v77, v18, s6, 8
	s_mov_b64 s[6:7], 0
	v_mov_b32_e32 v78, v0
.LBB98_385:                             ; =>This Inner Loop Header: Depth=1
	scratch_load_dwordx2 v[80:81], v77, off
	ds_read_b64 v[82:83], v76
	v_add_u32_e32 v78, 1, v78
	v_cmp_lt_u32_e32 vcc, 4, v78
	v_add_u32_e32 v76, 8, v76
	v_add_u32_e32 v77, 8, v77
	s_or_b64 s[6:7], vcc, s[6:7]
	s_waitcnt vmcnt(0) lgkmcnt(0)
	v_fmac_f64_e32 v[74:75], v[80:81], v[82:83]
	s_andn2_b64 exec, exec, s[6:7]
	s_cbranch_execnz .LBB98_385
; %bb.386:
	s_or_b64 exec, exec, s[6:7]
.LBB98_387:
	s_or_b64 exec, exec, s[4:5]
	v_mov_b32_e32 v76, 0
	ds_read_b64 v[76:77], v76 offset:48
	s_waitcnt lgkmcnt(0)
	v_mul_f64 v[74:75], v[74:75], v[76:77]
	scratch_store_dwordx2 off, v[74:75], off offset:48
.LBB98_388:
	s_or_b64 exec, exec, s[2:3]
	scratch_load_dwordx2 v[74:75], off, off offset:56
	v_cmp_gt_u32_e32 vcc, 7, v0
	s_waitcnt vmcnt(0)
	ds_write_b64 v1, v[74:75]
	s_waitcnt lgkmcnt(0)
	; wave barrier
	s_and_saveexec_b64 s[2:3], vcc
	s_cbranch_execz .LBB98_398
; %bb.389:
	s_and_b64 vcc, exec, s[0:1]
	s_cbranch_vccnz .LBB98_391
; %bb.390:
	scratch_load_dwordx2 v[74:75], v19, off
	ds_read_b64 v[76:77], v1
	s_waitcnt vmcnt(0) lgkmcnt(0)
	v_mul_f64 v[74:75], v[74:75], v[76:77]
	s_cbranch_execz .LBB98_392
	s_branch .LBB98_393
.LBB98_391:
                                        ; implicit-def: $vgpr74_vgpr75
.LBB98_392:
	ds_read_b64 v[74:75], v1
.LBB98_393:
	v_cmp_ne_u32_e32 vcc, 6, v0
	s_and_saveexec_b64 s[4:5], vcc
	s_cbranch_execz .LBB98_397
; %bb.394:
	s_mov_b32 s6, 0
	v_add_u32_e32 v76, 0x128, v18
	v_add3_u32 v77, v18, s6, 8
	s_mov_b64 s[6:7], 0
	v_mov_b32_e32 v78, v0
.LBB98_395:                             ; =>This Inner Loop Header: Depth=1
	scratch_load_dwordx2 v[80:81], v77, off
	ds_read_b64 v[82:83], v76
	v_add_u32_e32 v78, 1, v78
	v_cmp_lt_u32_e32 vcc, 5, v78
	v_add_u32_e32 v76, 8, v76
	v_add_u32_e32 v77, 8, v77
	s_or_b64 s[6:7], vcc, s[6:7]
	s_waitcnt vmcnt(0) lgkmcnt(0)
	v_fmac_f64_e32 v[74:75], v[80:81], v[82:83]
	s_andn2_b64 exec, exec, s[6:7]
	s_cbranch_execnz .LBB98_395
; %bb.396:
	s_or_b64 exec, exec, s[6:7]
.LBB98_397:
	s_or_b64 exec, exec, s[4:5]
	v_mov_b32_e32 v76, 0
	ds_read_b64 v[76:77], v76 offset:56
	s_waitcnt lgkmcnt(0)
	v_mul_f64 v[74:75], v[74:75], v[76:77]
	scratch_store_dwordx2 off, v[74:75], off offset:56
.LBB98_398:
	s_or_b64 exec, exec, s[2:3]
	scratch_load_dwordx2 v[74:75], off, off offset:64
	v_cmp_gt_u32_e32 vcc, 8, v0
	s_waitcnt vmcnt(0)
	ds_write_b64 v1, v[74:75]
	s_waitcnt lgkmcnt(0)
	; wave barrier
	s_and_saveexec_b64 s[2:3], vcc
	s_cbranch_execz .LBB98_408
; %bb.399:
	s_and_b64 vcc, exec, s[0:1]
	s_cbranch_vccnz .LBB98_401
; %bb.400:
	scratch_load_dwordx2 v[74:75], v19, off
	ds_read_b64 v[76:77], v1
	s_waitcnt vmcnt(0) lgkmcnt(0)
	v_mul_f64 v[74:75], v[74:75], v[76:77]
	s_cbranch_execz .LBB98_402
	s_branch .LBB98_403
.LBB98_401:
                                        ; implicit-def: $vgpr74_vgpr75
.LBB98_402:
	ds_read_b64 v[74:75], v1
.LBB98_403:
	v_cmp_ne_u32_e32 vcc, 7, v0
	s_and_saveexec_b64 s[4:5], vcc
	s_cbranch_execz .LBB98_407
; %bb.404:
	s_mov_b32 s6, 0
	v_add_u32_e32 v76, 0x128, v18
	v_add3_u32 v77, v18, s6, 8
	s_mov_b64 s[6:7], 0
	v_mov_b32_e32 v78, v0
.LBB98_405:                             ; =>This Inner Loop Header: Depth=1
	scratch_load_dwordx2 v[80:81], v77, off
	ds_read_b64 v[82:83], v76
	v_add_u32_e32 v78, 1, v78
	v_cmp_lt_u32_e32 vcc, 6, v78
	v_add_u32_e32 v76, 8, v76
	v_add_u32_e32 v77, 8, v77
	s_or_b64 s[6:7], vcc, s[6:7]
	s_waitcnt vmcnt(0) lgkmcnt(0)
	v_fmac_f64_e32 v[74:75], v[80:81], v[82:83]
	s_andn2_b64 exec, exec, s[6:7]
	s_cbranch_execnz .LBB98_405
; %bb.406:
	s_or_b64 exec, exec, s[6:7]
.LBB98_407:
	s_or_b64 exec, exec, s[4:5]
	v_mov_b32_e32 v76, 0
	ds_read_b64 v[76:77], v76 offset:64
	s_waitcnt lgkmcnt(0)
	v_mul_f64 v[74:75], v[74:75], v[76:77]
	scratch_store_dwordx2 off, v[74:75], off offset:64
.LBB98_408:
	s_or_b64 exec, exec, s[2:3]
	scratch_load_dwordx2 v[74:75], off, off offset:72
	v_cmp_gt_u32_e32 vcc, 9, v0
	s_waitcnt vmcnt(0)
	ds_write_b64 v1, v[74:75]
	s_waitcnt lgkmcnt(0)
	; wave barrier
	s_and_saveexec_b64 s[2:3], vcc
	s_cbranch_execz .LBB98_418
; %bb.409:
	s_and_b64 vcc, exec, s[0:1]
	s_cbranch_vccnz .LBB98_411
; %bb.410:
	scratch_load_dwordx2 v[74:75], v19, off
	ds_read_b64 v[76:77], v1
	s_waitcnt vmcnt(0) lgkmcnt(0)
	v_mul_f64 v[74:75], v[74:75], v[76:77]
	s_cbranch_execz .LBB98_412
	s_branch .LBB98_413
.LBB98_411:
                                        ; implicit-def: $vgpr74_vgpr75
.LBB98_412:
	ds_read_b64 v[74:75], v1
.LBB98_413:
	v_cmp_ne_u32_e32 vcc, 8, v0
	s_and_saveexec_b64 s[4:5], vcc
	s_cbranch_execz .LBB98_417
; %bb.414:
	s_mov_b32 s6, 0
	v_add_u32_e32 v76, 0x128, v18
	v_add3_u32 v77, v18, s6, 8
	s_mov_b64 s[6:7], 0
	v_mov_b32_e32 v78, v0
.LBB98_415:                             ; =>This Inner Loop Header: Depth=1
	scratch_load_dwordx2 v[80:81], v77, off
	ds_read_b64 v[82:83], v76
	v_add_u32_e32 v78, 1, v78
	v_cmp_lt_u32_e32 vcc, 7, v78
	v_add_u32_e32 v76, 8, v76
	v_add_u32_e32 v77, 8, v77
	s_or_b64 s[6:7], vcc, s[6:7]
	s_waitcnt vmcnt(0) lgkmcnt(0)
	v_fmac_f64_e32 v[74:75], v[80:81], v[82:83]
	s_andn2_b64 exec, exec, s[6:7]
	s_cbranch_execnz .LBB98_415
; %bb.416:
	s_or_b64 exec, exec, s[6:7]
.LBB98_417:
	s_or_b64 exec, exec, s[4:5]
	v_mov_b32_e32 v76, 0
	ds_read_b64 v[76:77], v76 offset:72
	s_waitcnt lgkmcnt(0)
	v_mul_f64 v[74:75], v[74:75], v[76:77]
	scratch_store_dwordx2 off, v[74:75], off offset:72
.LBB98_418:
	s_or_b64 exec, exec, s[2:3]
	scratch_load_dwordx2 v[74:75], off, off offset:80
	v_cmp_gt_u32_e32 vcc, 10, v0
	s_waitcnt vmcnt(0)
	ds_write_b64 v1, v[74:75]
	s_waitcnt lgkmcnt(0)
	; wave barrier
	s_and_saveexec_b64 s[2:3], vcc
	s_cbranch_execz .LBB98_428
; %bb.419:
	s_and_b64 vcc, exec, s[0:1]
	s_cbranch_vccnz .LBB98_421
; %bb.420:
	scratch_load_dwordx2 v[74:75], v19, off
	ds_read_b64 v[76:77], v1
	s_waitcnt vmcnt(0) lgkmcnt(0)
	v_mul_f64 v[74:75], v[74:75], v[76:77]
	s_cbranch_execz .LBB98_422
	s_branch .LBB98_423
.LBB98_421:
                                        ; implicit-def: $vgpr74_vgpr75
.LBB98_422:
	ds_read_b64 v[74:75], v1
.LBB98_423:
	v_cmp_ne_u32_e32 vcc, 9, v0
	s_and_saveexec_b64 s[4:5], vcc
	s_cbranch_execz .LBB98_427
; %bb.424:
	s_mov_b32 s6, 0
	v_add_u32_e32 v76, 0x128, v18
	v_add3_u32 v77, v18, s6, 8
	s_mov_b64 s[6:7], 0
	v_mov_b32_e32 v78, v0
.LBB98_425:                             ; =>This Inner Loop Header: Depth=1
	scratch_load_dwordx2 v[80:81], v77, off
	ds_read_b64 v[82:83], v76
	v_add_u32_e32 v78, 1, v78
	v_cmp_lt_u32_e32 vcc, 8, v78
	v_add_u32_e32 v76, 8, v76
	v_add_u32_e32 v77, 8, v77
	s_or_b64 s[6:7], vcc, s[6:7]
	s_waitcnt vmcnt(0) lgkmcnt(0)
	v_fmac_f64_e32 v[74:75], v[80:81], v[82:83]
	s_andn2_b64 exec, exec, s[6:7]
	s_cbranch_execnz .LBB98_425
; %bb.426:
	s_or_b64 exec, exec, s[6:7]
.LBB98_427:
	s_or_b64 exec, exec, s[4:5]
	v_mov_b32_e32 v76, 0
	ds_read_b64 v[76:77], v76 offset:80
	s_waitcnt lgkmcnt(0)
	v_mul_f64 v[74:75], v[74:75], v[76:77]
	scratch_store_dwordx2 off, v[74:75], off offset:80
.LBB98_428:
	s_or_b64 exec, exec, s[2:3]
	scratch_load_dwordx2 v[74:75], off, off offset:88
	v_cmp_gt_u32_e32 vcc, 11, v0
	s_waitcnt vmcnt(0)
	ds_write_b64 v1, v[74:75]
	s_waitcnt lgkmcnt(0)
	; wave barrier
	s_and_saveexec_b64 s[2:3], vcc
	s_cbranch_execz .LBB98_438
; %bb.429:
	s_and_b64 vcc, exec, s[0:1]
	s_cbranch_vccnz .LBB98_431
; %bb.430:
	scratch_load_dwordx2 v[74:75], v19, off
	ds_read_b64 v[76:77], v1
	s_waitcnt vmcnt(0) lgkmcnt(0)
	v_mul_f64 v[74:75], v[74:75], v[76:77]
	s_cbranch_execz .LBB98_432
	s_branch .LBB98_433
.LBB98_431:
                                        ; implicit-def: $vgpr74_vgpr75
.LBB98_432:
	ds_read_b64 v[74:75], v1
.LBB98_433:
	v_cmp_ne_u32_e32 vcc, 10, v0
	s_and_saveexec_b64 s[4:5], vcc
	s_cbranch_execz .LBB98_437
; %bb.434:
	s_mov_b32 s6, 0
	v_add_u32_e32 v76, 0x128, v18
	v_add3_u32 v77, v18, s6, 8
	s_mov_b64 s[6:7], 0
	v_mov_b32_e32 v78, v0
.LBB98_435:                             ; =>This Inner Loop Header: Depth=1
	scratch_load_dwordx2 v[80:81], v77, off
	ds_read_b64 v[82:83], v76
	v_add_u32_e32 v78, 1, v78
	v_cmp_lt_u32_e32 vcc, 9, v78
	v_add_u32_e32 v76, 8, v76
	v_add_u32_e32 v77, 8, v77
	s_or_b64 s[6:7], vcc, s[6:7]
	s_waitcnt vmcnt(0) lgkmcnt(0)
	v_fmac_f64_e32 v[74:75], v[80:81], v[82:83]
	s_andn2_b64 exec, exec, s[6:7]
	s_cbranch_execnz .LBB98_435
; %bb.436:
	s_or_b64 exec, exec, s[6:7]
.LBB98_437:
	s_or_b64 exec, exec, s[4:5]
	v_mov_b32_e32 v76, 0
	ds_read_b64 v[76:77], v76 offset:88
	s_waitcnt lgkmcnt(0)
	v_mul_f64 v[74:75], v[74:75], v[76:77]
	scratch_store_dwordx2 off, v[74:75], off offset:88
.LBB98_438:
	s_or_b64 exec, exec, s[2:3]
	scratch_load_dwordx2 v[74:75], off, off offset:96
	v_cmp_gt_u32_e32 vcc, 12, v0
	s_waitcnt vmcnt(0)
	ds_write_b64 v1, v[74:75]
	s_waitcnt lgkmcnt(0)
	; wave barrier
	s_and_saveexec_b64 s[2:3], vcc
	s_cbranch_execz .LBB98_448
; %bb.439:
	s_and_b64 vcc, exec, s[0:1]
	s_cbranch_vccnz .LBB98_441
; %bb.440:
	scratch_load_dwordx2 v[74:75], v19, off
	ds_read_b64 v[76:77], v1
	s_waitcnt vmcnt(0) lgkmcnt(0)
	v_mul_f64 v[74:75], v[74:75], v[76:77]
	s_cbranch_execz .LBB98_442
	s_branch .LBB98_443
.LBB98_441:
                                        ; implicit-def: $vgpr74_vgpr75
.LBB98_442:
	ds_read_b64 v[74:75], v1
.LBB98_443:
	v_cmp_ne_u32_e32 vcc, 11, v0
	s_and_saveexec_b64 s[4:5], vcc
	s_cbranch_execz .LBB98_447
; %bb.444:
	s_mov_b32 s6, 0
	v_add_u32_e32 v76, 0x128, v18
	v_add3_u32 v77, v18, s6, 8
	s_mov_b64 s[6:7], 0
	v_mov_b32_e32 v78, v0
.LBB98_445:                             ; =>This Inner Loop Header: Depth=1
	scratch_load_dwordx2 v[80:81], v77, off
	ds_read_b64 v[82:83], v76
	v_add_u32_e32 v78, 1, v78
	v_cmp_lt_u32_e32 vcc, 10, v78
	v_add_u32_e32 v76, 8, v76
	v_add_u32_e32 v77, 8, v77
	s_or_b64 s[6:7], vcc, s[6:7]
	s_waitcnt vmcnt(0) lgkmcnt(0)
	v_fmac_f64_e32 v[74:75], v[80:81], v[82:83]
	s_andn2_b64 exec, exec, s[6:7]
	s_cbranch_execnz .LBB98_445
; %bb.446:
	s_or_b64 exec, exec, s[6:7]
.LBB98_447:
	s_or_b64 exec, exec, s[4:5]
	v_mov_b32_e32 v76, 0
	ds_read_b64 v[76:77], v76 offset:96
	s_waitcnt lgkmcnt(0)
	v_mul_f64 v[74:75], v[74:75], v[76:77]
	scratch_store_dwordx2 off, v[74:75], off offset:96
.LBB98_448:
	s_or_b64 exec, exec, s[2:3]
	scratch_load_dwordx2 v[74:75], off, off offset:104
	v_cmp_gt_u32_e32 vcc, 13, v0
	s_waitcnt vmcnt(0)
	ds_write_b64 v1, v[74:75]
	s_waitcnt lgkmcnt(0)
	; wave barrier
	s_and_saveexec_b64 s[2:3], vcc
	s_cbranch_execz .LBB98_458
; %bb.449:
	s_and_b64 vcc, exec, s[0:1]
	s_cbranch_vccnz .LBB98_451
; %bb.450:
	scratch_load_dwordx2 v[74:75], v19, off
	ds_read_b64 v[76:77], v1
	s_waitcnt vmcnt(0) lgkmcnt(0)
	v_mul_f64 v[74:75], v[74:75], v[76:77]
	s_cbranch_execz .LBB98_452
	s_branch .LBB98_453
.LBB98_451:
                                        ; implicit-def: $vgpr74_vgpr75
.LBB98_452:
	ds_read_b64 v[74:75], v1
.LBB98_453:
	v_cmp_ne_u32_e32 vcc, 12, v0
	s_and_saveexec_b64 s[4:5], vcc
	s_cbranch_execz .LBB98_457
; %bb.454:
	s_mov_b32 s6, 0
	v_add_u32_e32 v76, 0x128, v18
	v_add3_u32 v77, v18, s6, 8
	s_mov_b64 s[6:7], 0
	v_mov_b32_e32 v78, v0
.LBB98_455:                             ; =>This Inner Loop Header: Depth=1
	scratch_load_dwordx2 v[80:81], v77, off
	ds_read_b64 v[82:83], v76
	v_add_u32_e32 v78, 1, v78
	v_cmp_lt_u32_e32 vcc, 11, v78
	v_add_u32_e32 v76, 8, v76
	v_add_u32_e32 v77, 8, v77
	s_or_b64 s[6:7], vcc, s[6:7]
	s_waitcnt vmcnt(0) lgkmcnt(0)
	v_fmac_f64_e32 v[74:75], v[80:81], v[82:83]
	s_andn2_b64 exec, exec, s[6:7]
	s_cbranch_execnz .LBB98_455
; %bb.456:
	s_or_b64 exec, exec, s[6:7]
.LBB98_457:
	s_or_b64 exec, exec, s[4:5]
	v_mov_b32_e32 v76, 0
	ds_read_b64 v[76:77], v76 offset:104
	s_waitcnt lgkmcnt(0)
	v_mul_f64 v[74:75], v[74:75], v[76:77]
	scratch_store_dwordx2 off, v[74:75], off offset:104
.LBB98_458:
	s_or_b64 exec, exec, s[2:3]
	scratch_load_dwordx2 v[74:75], off, off offset:112
	v_cmp_gt_u32_e32 vcc, 14, v0
	s_waitcnt vmcnt(0)
	ds_write_b64 v1, v[74:75]
	s_waitcnt lgkmcnt(0)
	; wave barrier
	s_and_saveexec_b64 s[2:3], vcc
	s_cbranch_execz .LBB98_468
; %bb.459:
	s_and_b64 vcc, exec, s[0:1]
	s_cbranch_vccnz .LBB98_461
; %bb.460:
	scratch_load_dwordx2 v[74:75], v19, off
	ds_read_b64 v[76:77], v1
	s_waitcnt vmcnt(0) lgkmcnt(0)
	v_mul_f64 v[74:75], v[74:75], v[76:77]
	s_cbranch_execz .LBB98_462
	s_branch .LBB98_463
.LBB98_461:
                                        ; implicit-def: $vgpr74_vgpr75
.LBB98_462:
	ds_read_b64 v[74:75], v1
.LBB98_463:
	v_cmp_ne_u32_e32 vcc, 13, v0
	s_and_saveexec_b64 s[4:5], vcc
	s_cbranch_execz .LBB98_467
; %bb.464:
	s_mov_b32 s6, 0
	v_add_u32_e32 v76, 0x128, v18
	v_add3_u32 v77, v18, s6, 8
	s_mov_b64 s[6:7], 0
	v_mov_b32_e32 v78, v0
.LBB98_465:                             ; =>This Inner Loop Header: Depth=1
	scratch_load_dwordx2 v[80:81], v77, off
	ds_read_b64 v[82:83], v76
	v_add_u32_e32 v78, 1, v78
	v_cmp_lt_u32_e32 vcc, 12, v78
	v_add_u32_e32 v76, 8, v76
	v_add_u32_e32 v77, 8, v77
	s_or_b64 s[6:7], vcc, s[6:7]
	s_waitcnt vmcnt(0) lgkmcnt(0)
	v_fmac_f64_e32 v[74:75], v[80:81], v[82:83]
	s_andn2_b64 exec, exec, s[6:7]
	s_cbranch_execnz .LBB98_465
; %bb.466:
	s_or_b64 exec, exec, s[6:7]
.LBB98_467:
	s_or_b64 exec, exec, s[4:5]
	v_mov_b32_e32 v76, 0
	ds_read_b64 v[76:77], v76 offset:112
	s_waitcnt lgkmcnt(0)
	v_mul_f64 v[74:75], v[74:75], v[76:77]
	scratch_store_dwordx2 off, v[74:75], off offset:112
.LBB98_468:
	s_or_b64 exec, exec, s[2:3]
	scratch_load_dwordx2 v[74:75], off, off offset:120
	v_cmp_gt_u32_e32 vcc, 15, v0
	s_waitcnt vmcnt(0)
	ds_write_b64 v1, v[74:75]
	s_waitcnt lgkmcnt(0)
	; wave barrier
	s_and_saveexec_b64 s[2:3], vcc
	s_cbranch_execz .LBB98_478
; %bb.469:
	s_and_b64 vcc, exec, s[0:1]
	s_cbranch_vccnz .LBB98_471
; %bb.470:
	scratch_load_dwordx2 v[74:75], v19, off
	ds_read_b64 v[76:77], v1
	s_waitcnt vmcnt(0) lgkmcnt(0)
	v_mul_f64 v[74:75], v[74:75], v[76:77]
	s_cbranch_execz .LBB98_472
	s_branch .LBB98_473
.LBB98_471:
                                        ; implicit-def: $vgpr74_vgpr75
.LBB98_472:
	ds_read_b64 v[74:75], v1
.LBB98_473:
	v_cmp_ne_u32_e32 vcc, 14, v0
	s_and_saveexec_b64 s[4:5], vcc
	s_cbranch_execz .LBB98_477
; %bb.474:
	s_mov_b32 s6, 0
	v_add_u32_e32 v76, 0x128, v18
	v_add3_u32 v77, v18, s6, 8
	s_mov_b64 s[6:7], 0
	v_mov_b32_e32 v78, v0
.LBB98_475:                             ; =>This Inner Loop Header: Depth=1
	scratch_load_dwordx2 v[80:81], v77, off
	ds_read_b64 v[82:83], v76
	v_add_u32_e32 v78, 1, v78
	v_cmp_lt_u32_e32 vcc, 13, v78
	v_add_u32_e32 v76, 8, v76
	v_add_u32_e32 v77, 8, v77
	s_or_b64 s[6:7], vcc, s[6:7]
	s_waitcnt vmcnt(0) lgkmcnt(0)
	v_fmac_f64_e32 v[74:75], v[80:81], v[82:83]
	s_andn2_b64 exec, exec, s[6:7]
	s_cbranch_execnz .LBB98_475
; %bb.476:
	s_or_b64 exec, exec, s[6:7]
.LBB98_477:
	s_or_b64 exec, exec, s[4:5]
	v_mov_b32_e32 v76, 0
	ds_read_b64 v[76:77], v76 offset:120
	s_waitcnt lgkmcnt(0)
	v_mul_f64 v[74:75], v[74:75], v[76:77]
	scratch_store_dwordx2 off, v[74:75], off offset:120
.LBB98_478:
	s_or_b64 exec, exec, s[2:3]
	scratch_load_dwordx2 v[74:75], off, off offset:128
	v_cmp_gt_u32_e32 vcc, 16, v0
	s_waitcnt vmcnt(0)
	ds_write_b64 v1, v[74:75]
	s_waitcnt lgkmcnt(0)
	; wave barrier
	s_and_saveexec_b64 s[2:3], vcc
	s_cbranch_execz .LBB98_488
; %bb.479:
	s_and_b64 vcc, exec, s[0:1]
	s_cbranch_vccnz .LBB98_481
; %bb.480:
	scratch_load_dwordx2 v[74:75], v19, off
	ds_read_b64 v[76:77], v1
	s_waitcnt vmcnt(0) lgkmcnt(0)
	v_mul_f64 v[74:75], v[74:75], v[76:77]
	s_cbranch_execz .LBB98_482
	s_branch .LBB98_483
.LBB98_481:
                                        ; implicit-def: $vgpr74_vgpr75
.LBB98_482:
	ds_read_b64 v[74:75], v1
.LBB98_483:
	v_cmp_ne_u32_e32 vcc, 15, v0
	s_and_saveexec_b64 s[4:5], vcc
	s_cbranch_execz .LBB98_487
; %bb.484:
	s_mov_b32 s6, 0
	v_add_u32_e32 v76, 0x128, v18
	v_add3_u32 v77, v18, s6, 8
	s_mov_b64 s[6:7], 0
	v_mov_b32_e32 v78, v0
.LBB98_485:                             ; =>This Inner Loop Header: Depth=1
	scratch_load_dwordx2 v[80:81], v77, off
	ds_read_b64 v[82:83], v76
	v_add_u32_e32 v78, 1, v78
	v_cmp_lt_u32_e32 vcc, 14, v78
	v_add_u32_e32 v76, 8, v76
	v_add_u32_e32 v77, 8, v77
	s_or_b64 s[6:7], vcc, s[6:7]
	s_waitcnt vmcnt(0) lgkmcnt(0)
	v_fmac_f64_e32 v[74:75], v[80:81], v[82:83]
	s_andn2_b64 exec, exec, s[6:7]
	s_cbranch_execnz .LBB98_485
; %bb.486:
	s_or_b64 exec, exec, s[6:7]
.LBB98_487:
	s_or_b64 exec, exec, s[4:5]
	v_mov_b32_e32 v76, 0
	ds_read_b64 v[76:77], v76 offset:128
	s_waitcnt lgkmcnt(0)
	v_mul_f64 v[74:75], v[74:75], v[76:77]
	scratch_store_dwordx2 off, v[74:75], off offset:128
.LBB98_488:
	s_or_b64 exec, exec, s[2:3]
	scratch_load_dwordx2 v[74:75], off, off offset:136
	v_cmp_gt_u32_e32 vcc, 17, v0
	s_waitcnt vmcnt(0)
	ds_write_b64 v1, v[74:75]
	s_waitcnt lgkmcnt(0)
	; wave barrier
	s_and_saveexec_b64 s[2:3], vcc
	s_cbranch_execz .LBB98_498
; %bb.489:
	s_and_b64 vcc, exec, s[0:1]
	s_cbranch_vccnz .LBB98_491
; %bb.490:
	scratch_load_dwordx2 v[74:75], v19, off
	ds_read_b64 v[76:77], v1
	s_waitcnt vmcnt(0) lgkmcnt(0)
	v_mul_f64 v[74:75], v[74:75], v[76:77]
	s_cbranch_execz .LBB98_492
	s_branch .LBB98_493
.LBB98_491:
                                        ; implicit-def: $vgpr74_vgpr75
.LBB98_492:
	ds_read_b64 v[74:75], v1
.LBB98_493:
	v_cmp_ne_u32_e32 vcc, 16, v0
	s_and_saveexec_b64 s[4:5], vcc
	s_cbranch_execz .LBB98_497
; %bb.494:
	s_mov_b32 s6, 0
	v_add_u32_e32 v76, 0x128, v18
	v_add3_u32 v77, v18, s6, 8
	s_mov_b64 s[6:7], 0
	v_mov_b32_e32 v78, v0
.LBB98_495:                             ; =>This Inner Loop Header: Depth=1
	scratch_load_dwordx2 v[80:81], v77, off
	ds_read_b64 v[82:83], v76
	v_add_u32_e32 v78, 1, v78
	v_cmp_lt_u32_e32 vcc, 15, v78
	v_add_u32_e32 v76, 8, v76
	v_add_u32_e32 v77, 8, v77
	s_or_b64 s[6:7], vcc, s[6:7]
	s_waitcnt vmcnt(0) lgkmcnt(0)
	v_fmac_f64_e32 v[74:75], v[80:81], v[82:83]
	s_andn2_b64 exec, exec, s[6:7]
	s_cbranch_execnz .LBB98_495
; %bb.496:
	s_or_b64 exec, exec, s[6:7]
.LBB98_497:
	s_or_b64 exec, exec, s[4:5]
	v_mov_b32_e32 v76, 0
	ds_read_b64 v[76:77], v76 offset:136
	s_waitcnt lgkmcnt(0)
	v_mul_f64 v[74:75], v[74:75], v[76:77]
	scratch_store_dwordx2 off, v[74:75], off offset:136
.LBB98_498:
	s_or_b64 exec, exec, s[2:3]
	scratch_load_dwordx2 v[74:75], off, off offset:144
	v_cmp_gt_u32_e32 vcc, 18, v0
	s_waitcnt vmcnt(0)
	ds_write_b64 v1, v[74:75]
	s_waitcnt lgkmcnt(0)
	; wave barrier
	s_and_saveexec_b64 s[2:3], vcc
	s_cbranch_execz .LBB98_508
; %bb.499:
	s_and_b64 vcc, exec, s[0:1]
	s_cbranch_vccnz .LBB98_501
; %bb.500:
	scratch_load_dwordx2 v[74:75], v19, off
	ds_read_b64 v[76:77], v1
	s_waitcnt vmcnt(0) lgkmcnt(0)
	v_mul_f64 v[74:75], v[74:75], v[76:77]
	s_cbranch_execz .LBB98_502
	s_branch .LBB98_503
.LBB98_501:
                                        ; implicit-def: $vgpr74_vgpr75
.LBB98_502:
	ds_read_b64 v[74:75], v1
.LBB98_503:
	v_cmp_ne_u32_e32 vcc, 17, v0
	s_and_saveexec_b64 s[4:5], vcc
	s_cbranch_execz .LBB98_507
; %bb.504:
	s_mov_b32 s6, 0
	v_add_u32_e32 v76, 0x128, v18
	v_add3_u32 v77, v18, s6, 8
	s_mov_b64 s[6:7], 0
	v_mov_b32_e32 v78, v0
.LBB98_505:                             ; =>This Inner Loop Header: Depth=1
	scratch_load_dwordx2 v[80:81], v77, off
	ds_read_b64 v[82:83], v76
	v_add_u32_e32 v78, 1, v78
	v_cmp_lt_u32_e32 vcc, 16, v78
	v_add_u32_e32 v76, 8, v76
	v_add_u32_e32 v77, 8, v77
	s_or_b64 s[6:7], vcc, s[6:7]
	s_waitcnt vmcnt(0) lgkmcnt(0)
	v_fmac_f64_e32 v[74:75], v[80:81], v[82:83]
	s_andn2_b64 exec, exec, s[6:7]
	s_cbranch_execnz .LBB98_505
; %bb.506:
	s_or_b64 exec, exec, s[6:7]
.LBB98_507:
	s_or_b64 exec, exec, s[4:5]
	v_mov_b32_e32 v76, 0
	ds_read_b64 v[76:77], v76 offset:144
	s_waitcnt lgkmcnt(0)
	v_mul_f64 v[74:75], v[74:75], v[76:77]
	scratch_store_dwordx2 off, v[74:75], off offset:144
.LBB98_508:
	s_or_b64 exec, exec, s[2:3]
	scratch_load_dwordx2 v[74:75], off, off offset:152
	v_cmp_gt_u32_e32 vcc, 19, v0
	s_waitcnt vmcnt(0)
	ds_write_b64 v1, v[74:75]
	s_waitcnt lgkmcnt(0)
	; wave barrier
	s_and_saveexec_b64 s[2:3], vcc
	s_cbranch_execz .LBB98_518
; %bb.509:
	s_and_b64 vcc, exec, s[0:1]
	s_cbranch_vccnz .LBB98_511
; %bb.510:
	scratch_load_dwordx2 v[74:75], v19, off
	ds_read_b64 v[76:77], v1
	s_waitcnt vmcnt(0) lgkmcnt(0)
	v_mul_f64 v[74:75], v[74:75], v[76:77]
	s_cbranch_execz .LBB98_512
	s_branch .LBB98_513
.LBB98_511:
                                        ; implicit-def: $vgpr74_vgpr75
.LBB98_512:
	ds_read_b64 v[74:75], v1
.LBB98_513:
	v_cmp_ne_u32_e32 vcc, 18, v0
	s_and_saveexec_b64 s[4:5], vcc
	s_cbranch_execz .LBB98_517
; %bb.514:
	s_mov_b32 s6, 0
	v_add_u32_e32 v76, 0x128, v18
	v_add3_u32 v77, v18, s6, 8
	s_mov_b64 s[6:7], 0
	v_mov_b32_e32 v78, v0
.LBB98_515:                             ; =>This Inner Loop Header: Depth=1
	scratch_load_dwordx2 v[80:81], v77, off
	ds_read_b64 v[82:83], v76
	v_add_u32_e32 v78, 1, v78
	v_cmp_lt_u32_e32 vcc, 17, v78
	v_add_u32_e32 v76, 8, v76
	v_add_u32_e32 v77, 8, v77
	s_or_b64 s[6:7], vcc, s[6:7]
	s_waitcnt vmcnt(0) lgkmcnt(0)
	v_fmac_f64_e32 v[74:75], v[80:81], v[82:83]
	s_andn2_b64 exec, exec, s[6:7]
	s_cbranch_execnz .LBB98_515
; %bb.516:
	s_or_b64 exec, exec, s[6:7]
.LBB98_517:
	s_or_b64 exec, exec, s[4:5]
	v_mov_b32_e32 v76, 0
	ds_read_b64 v[76:77], v76 offset:152
	s_waitcnt lgkmcnt(0)
	v_mul_f64 v[74:75], v[74:75], v[76:77]
	scratch_store_dwordx2 off, v[74:75], off offset:152
.LBB98_518:
	s_or_b64 exec, exec, s[2:3]
	scratch_load_dwordx2 v[74:75], off, off offset:160
	v_cmp_gt_u32_e32 vcc, 20, v0
	s_waitcnt vmcnt(0)
	ds_write_b64 v1, v[74:75]
	s_waitcnt lgkmcnt(0)
	; wave barrier
	s_and_saveexec_b64 s[2:3], vcc
	s_cbranch_execz .LBB98_528
; %bb.519:
	s_and_b64 vcc, exec, s[0:1]
	s_cbranch_vccnz .LBB98_521
; %bb.520:
	scratch_load_dwordx2 v[74:75], v19, off
	ds_read_b64 v[76:77], v1
	s_waitcnt vmcnt(0) lgkmcnt(0)
	v_mul_f64 v[74:75], v[74:75], v[76:77]
	s_cbranch_execz .LBB98_522
	s_branch .LBB98_523
.LBB98_521:
                                        ; implicit-def: $vgpr74_vgpr75
.LBB98_522:
	ds_read_b64 v[74:75], v1
.LBB98_523:
	v_cmp_ne_u32_e32 vcc, 19, v0
	s_and_saveexec_b64 s[4:5], vcc
	s_cbranch_execz .LBB98_527
; %bb.524:
	s_mov_b32 s6, 0
	v_add_u32_e32 v76, 0x128, v18
	v_add3_u32 v77, v18, s6, 8
	s_mov_b64 s[6:7], 0
	v_mov_b32_e32 v78, v0
.LBB98_525:                             ; =>This Inner Loop Header: Depth=1
	scratch_load_dwordx2 v[80:81], v77, off
	ds_read_b64 v[82:83], v76
	v_add_u32_e32 v78, 1, v78
	v_cmp_lt_u32_e32 vcc, 18, v78
	v_add_u32_e32 v76, 8, v76
	v_add_u32_e32 v77, 8, v77
	s_or_b64 s[6:7], vcc, s[6:7]
	s_waitcnt vmcnt(0) lgkmcnt(0)
	v_fmac_f64_e32 v[74:75], v[80:81], v[82:83]
	s_andn2_b64 exec, exec, s[6:7]
	s_cbranch_execnz .LBB98_525
; %bb.526:
	s_or_b64 exec, exec, s[6:7]
.LBB98_527:
	s_or_b64 exec, exec, s[4:5]
	v_mov_b32_e32 v76, 0
	ds_read_b64 v[76:77], v76 offset:160
	s_waitcnt lgkmcnt(0)
	v_mul_f64 v[74:75], v[74:75], v[76:77]
	scratch_store_dwordx2 off, v[74:75], off offset:160
.LBB98_528:
	s_or_b64 exec, exec, s[2:3]
	scratch_load_dwordx2 v[74:75], off, off offset:168
	v_cmp_gt_u32_e32 vcc, 21, v0
	s_waitcnt vmcnt(0)
	ds_write_b64 v1, v[74:75]
	s_waitcnt lgkmcnt(0)
	; wave barrier
	s_and_saveexec_b64 s[2:3], vcc
	s_cbranch_execz .LBB98_538
; %bb.529:
	s_and_b64 vcc, exec, s[0:1]
	s_cbranch_vccnz .LBB98_531
; %bb.530:
	scratch_load_dwordx2 v[74:75], v19, off
	ds_read_b64 v[76:77], v1
	s_waitcnt vmcnt(0) lgkmcnt(0)
	v_mul_f64 v[74:75], v[74:75], v[76:77]
	s_cbranch_execz .LBB98_532
	s_branch .LBB98_533
.LBB98_531:
                                        ; implicit-def: $vgpr74_vgpr75
.LBB98_532:
	ds_read_b64 v[74:75], v1
.LBB98_533:
	v_cmp_ne_u32_e32 vcc, 20, v0
	s_and_saveexec_b64 s[4:5], vcc
	s_cbranch_execz .LBB98_537
; %bb.534:
	s_mov_b32 s6, 0
	v_add_u32_e32 v76, 0x128, v18
	v_add3_u32 v77, v18, s6, 8
	s_mov_b64 s[6:7], 0
	v_mov_b32_e32 v78, v0
.LBB98_535:                             ; =>This Inner Loop Header: Depth=1
	scratch_load_dwordx2 v[80:81], v77, off
	ds_read_b64 v[82:83], v76
	v_add_u32_e32 v78, 1, v78
	v_cmp_lt_u32_e32 vcc, 19, v78
	v_add_u32_e32 v76, 8, v76
	v_add_u32_e32 v77, 8, v77
	s_or_b64 s[6:7], vcc, s[6:7]
	s_waitcnt vmcnt(0) lgkmcnt(0)
	v_fmac_f64_e32 v[74:75], v[80:81], v[82:83]
	s_andn2_b64 exec, exec, s[6:7]
	s_cbranch_execnz .LBB98_535
; %bb.536:
	s_or_b64 exec, exec, s[6:7]
.LBB98_537:
	s_or_b64 exec, exec, s[4:5]
	v_mov_b32_e32 v76, 0
	ds_read_b64 v[76:77], v76 offset:168
	s_waitcnt lgkmcnt(0)
	v_mul_f64 v[74:75], v[74:75], v[76:77]
	scratch_store_dwordx2 off, v[74:75], off offset:168
.LBB98_538:
	s_or_b64 exec, exec, s[2:3]
	scratch_load_dwordx2 v[74:75], off, off offset:176
	v_cmp_gt_u32_e32 vcc, 22, v0
	s_waitcnt vmcnt(0)
	ds_write_b64 v1, v[74:75]
	s_waitcnt lgkmcnt(0)
	; wave barrier
	s_and_saveexec_b64 s[2:3], vcc
	s_cbranch_execz .LBB98_548
; %bb.539:
	s_and_b64 vcc, exec, s[0:1]
	s_cbranch_vccnz .LBB98_541
; %bb.540:
	scratch_load_dwordx2 v[74:75], v19, off
	ds_read_b64 v[76:77], v1
	s_waitcnt vmcnt(0) lgkmcnt(0)
	v_mul_f64 v[74:75], v[74:75], v[76:77]
	s_cbranch_execz .LBB98_542
	s_branch .LBB98_543
.LBB98_541:
                                        ; implicit-def: $vgpr74_vgpr75
.LBB98_542:
	ds_read_b64 v[74:75], v1
.LBB98_543:
	v_cmp_ne_u32_e32 vcc, 21, v0
	s_and_saveexec_b64 s[4:5], vcc
	s_cbranch_execz .LBB98_547
; %bb.544:
	s_mov_b32 s6, 0
	v_add_u32_e32 v76, 0x128, v18
	v_add3_u32 v77, v18, s6, 8
	s_mov_b64 s[6:7], 0
	v_mov_b32_e32 v78, v0
.LBB98_545:                             ; =>This Inner Loop Header: Depth=1
	scratch_load_dwordx2 v[80:81], v77, off
	ds_read_b64 v[82:83], v76
	v_add_u32_e32 v78, 1, v78
	v_cmp_lt_u32_e32 vcc, 20, v78
	v_add_u32_e32 v76, 8, v76
	v_add_u32_e32 v77, 8, v77
	s_or_b64 s[6:7], vcc, s[6:7]
	s_waitcnt vmcnt(0) lgkmcnt(0)
	v_fmac_f64_e32 v[74:75], v[80:81], v[82:83]
	s_andn2_b64 exec, exec, s[6:7]
	s_cbranch_execnz .LBB98_545
; %bb.546:
	s_or_b64 exec, exec, s[6:7]
.LBB98_547:
	s_or_b64 exec, exec, s[4:5]
	v_mov_b32_e32 v76, 0
	ds_read_b64 v[76:77], v76 offset:176
	s_waitcnt lgkmcnt(0)
	v_mul_f64 v[74:75], v[74:75], v[76:77]
	scratch_store_dwordx2 off, v[74:75], off offset:176
.LBB98_548:
	s_or_b64 exec, exec, s[2:3]
	scratch_load_dwordx2 v[74:75], off, off offset:184
	v_cmp_gt_u32_e32 vcc, 23, v0
	s_waitcnt vmcnt(0)
	ds_write_b64 v1, v[74:75]
	s_waitcnt lgkmcnt(0)
	; wave barrier
	s_and_saveexec_b64 s[2:3], vcc
	s_cbranch_execz .LBB98_558
; %bb.549:
	s_and_b64 vcc, exec, s[0:1]
	s_cbranch_vccnz .LBB98_551
; %bb.550:
	scratch_load_dwordx2 v[74:75], v19, off
	ds_read_b64 v[76:77], v1
	s_waitcnt vmcnt(0) lgkmcnt(0)
	v_mul_f64 v[74:75], v[74:75], v[76:77]
	s_cbranch_execz .LBB98_552
	s_branch .LBB98_553
.LBB98_551:
                                        ; implicit-def: $vgpr74_vgpr75
.LBB98_552:
	ds_read_b64 v[74:75], v1
.LBB98_553:
	v_cmp_ne_u32_e32 vcc, 22, v0
	s_and_saveexec_b64 s[4:5], vcc
	s_cbranch_execz .LBB98_557
; %bb.554:
	s_mov_b32 s6, 0
	v_add_u32_e32 v76, 0x128, v18
	v_add3_u32 v77, v18, s6, 8
	s_mov_b64 s[6:7], 0
	v_mov_b32_e32 v78, v0
.LBB98_555:                             ; =>This Inner Loop Header: Depth=1
	scratch_load_dwordx2 v[80:81], v77, off
	ds_read_b64 v[82:83], v76
	v_add_u32_e32 v78, 1, v78
	v_cmp_lt_u32_e32 vcc, 21, v78
	v_add_u32_e32 v76, 8, v76
	v_add_u32_e32 v77, 8, v77
	s_or_b64 s[6:7], vcc, s[6:7]
	s_waitcnt vmcnt(0) lgkmcnt(0)
	v_fmac_f64_e32 v[74:75], v[80:81], v[82:83]
	s_andn2_b64 exec, exec, s[6:7]
	s_cbranch_execnz .LBB98_555
; %bb.556:
	s_or_b64 exec, exec, s[6:7]
.LBB98_557:
	s_or_b64 exec, exec, s[4:5]
	v_mov_b32_e32 v76, 0
	ds_read_b64 v[76:77], v76 offset:184
	s_waitcnt lgkmcnt(0)
	v_mul_f64 v[74:75], v[74:75], v[76:77]
	scratch_store_dwordx2 off, v[74:75], off offset:184
.LBB98_558:
	s_or_b64 exec, exec, s[2:3]
	scratch_load_dwordx2 v[74:75], off, off offset:192
	v_cmp_gt_u32_e32 vcc, 24, v0
	s_waitcnt vmcnt(0)
	ds_write_b64 v1, v[74:75]
	s_waitcnt lgkmcnt(0)
	; wave barrier
	s_and_saveexec_b64 s[2:3], vcc
	s_cbranch_execz .LBB98_568
; %bb.559:
	s_and_b64 vcc, exec, s[0:1]
	s_cbranch_vccnz .LBB98_561
; %bb.560:
	scratch_load_dwordx2 v[74:75], v19, off
	ds_read_b64 v[76:77], v1
	s_waitcnt vmcnt(0) lgkmcnt(0)
	v_mul_f64 v[74:75], v[74:75], v[76:77]
	s_cbranch_execz .LBB98_562
	s_branch .LBB98_563
.LBB98_561:
                                        ; implicit-def: $vgpr74_vgpr75
.LBB98_562:
	ds_read_b64 v[74:75], v1
.LBB98_563:
	v_cmp_ne_u32_e32 vcc, 23, v0
	s_and_saveexec_b64 s[4:5], vcc
	s_cbranch_execz .LBB98_567
; %bb.564:
	s_mov_b32 s6, 0
	v_add_u32_e32 v76, 0x128, v18
	v_add3_u32 v77, v18, s6, 8
	s_mov_b64 s[6:7], 0
	v_mov_b32_e32 v78, v0
.LBB98_565:                             ; =>This Inner Loop Header: Depth=1
	scratch_load_dwordx2 v[80:81], v77, off
	ds_read_b64 v[82:83], v76
	v_add_u32_e32 v78, 1, v78
	v_cmp_lt_u32_e32 vcc, 22, v78
	v_add_u32_e32 v76, 8, v76
	v_add_u32_e32 v77, 8, v77
	s_or_b64 s[6:7], vcc, s[6:7]
	s_waitcnt vmcnt(0) lgkmcnt(0)
	v_fmac_f64_e32 v[74:75], v[80:81], v[82:83]
	s_andn2_b64 exec, exec, s[6:7]
	s_cbranch_execnz .LBB98_565
; %bb.566:
	s_or_b64 exec, exec, s[6:7]
.LBB98_567:
	s_or_b64 exec, exec, s[4:5]
	v_mov_b32_e32 v76, 0
	ds_read_b64 v[76:77], v76 offset:192
	s_waitcnt lgkmcnt(0)
	v_mul_f64 v[74:75], v[74:75], v[76:77]
	scratch_store_dwordx2 off, v[74:75], off offset:192
.LBB98_568:
	s_or_b64 exec, exec, s[2:3]
	scratch_load_dwordx2 v[74:75], off, off offset:200
	v_cmp_gt_u32_e32 vcc, 25, v0
	s_waitcnt vmcnt(0)
	ds_write_b64 v1, v[74:75]
	s_waitcnt lgkmcnt(0)
	; wave barrier
	s_and_saveexec_b64 s[2:3], vcc
	s_cbranch_execz .LBB98_578
; %bb.569:
	s_and_b64 vcc, exec, s[0:1]
	s_cbranch_vccnz .LBB98_571
; %bb.570:
	scratch_load_dwordx2 v[74:75], v19, off
	ds_read_b64 v[76:77], v1
	s_waitcnt vmcnt(0) lgkmcnt(0)
	v_mul_f64 v[74:75], v[74:75], v[76:77]
	s_cbranch_execz .LBB98_572
	s_branch .LBB98_573
.LBB98_571:
                                        ; implicit-def: $vgpr74_vgpr75
.LBB98_572:
	ds_read_b64 v[74:75], v1
.LBB98_573:
	v_cmp_ne_u32_e32 vcc, 24, v0
	s_and_saveexec_b64 s[4:5], vcc
	s_cbranch_execz .LBB98_577
; %bb.574:
	s_mov_b32 s6, 0
	v_add_u32_e32 v76, 0x128, v18
	v_add3_u32 v77, v18, s6, 8
	s_mov_b64 s[6:7], 0
	v_mov_b32_e32 v78, v0
.LBB98_575:                             ; =>This Inner Loop Header: Depth=1
	scratch_load_dwordx2 v[80:81], v77, off
	ds_read_b64 v[82:83], v76
	v_add_u32_e32 v78, 1, v78
	v_cmp_lt_u32_e32 vcc, 23, v78
	v_add_u32_e32 v76, 8, v76
	v_add_u32_e32 v77, 8, v77
	s_or_b64 s[6:7], vcc, s[6:7]
	s_waitcnt vmcnt(0) lgkmcnt(0)
	v_fmac_f64_e32 v[74:75], v[80:81], v[82:83]
	s_andn2_b64 exec, exec, s[6:7]
	s_cbranch_execnz .LBB98_575
; %bb.576:
	s_or_b64 exec, exec, s[6:7]
.LBB98_577:
	s_or_b64 exec, exec, s[4:5]
	v_mov_b32_e32 v76, 0
	ds_read_b64 v[76:77], v76 offset:200
	s_waitcnt lgkmcnt(0)
	v_mul_f64 v[74:75], v[74:75], v[76:77]
	scratch_store_dwordx2 off, v[74:75], off offset:200
.LBB98_578:
	s_or_b64 exec, exec, s[2:3]
	scratch_load_dwordx2 v[74:75], off, off offset:208
	v_cmp_gt_u32_e32 vcc, 26, v0
	s_waitcnt vmcnt(0)
	ds_write_b64 v1, v[74:75]
	s_waitcnt lgkmcnt(0)
	; wave barrier
	s_and_saveexec_b64 s[2:3], vcc
	s_cbranch_execz .LBB98_588
; %bb.579:
	s_and_b64 vcc, exec, s[0:1]
	s_cbranch_vccnz .LBB98_581
; %bb.580:
	scratch_load_dwordx2 v[74:75], v19, off
	ds_read_b64 v[76:77], v1
	s_waitcnt vmcnt(0) lgkmcnt(0)
	v_mul_f64 v[74:75], v[74:75], v[76:77]
	s_cbranch_execz .LBB98_582
	s_branch .LBB98_583
.LBB98_581:
                                        ; implicit-def: $vgpr74_vgpr75
.LBB98_582:
	ds_read_b64 v[74:75], v1
.LBB98_583:
	v_cmp_ne_u32_e32 vcc, 25, v0
	s_and_saveexec_b64 s[4:5], vcc
	s_cbranch_execz .LBB98_587
; %bb.584:
	s_mov_b32 s6, 0
	v_add_u32_e32 v76, 0x128, v18
	v_add3_u32 v77, v18, s6, 8
	s_mov_b64 s[6:7], 0
	v_mov_b32_e32 v78, v0
.LBB98_585:                             ; =>This Inner Loop Header: Depth=1
	scratch_load_dwordx2 v[80:81], v77, off
	ds_read_b64 v[82:83], v76
	v_add_u32_e32 v78, 1, v78
	v_cmp_lt_u32_e32 vcc, 24, v78
	v_add_u32_e32 v76, 8, v76
	v_add_u32_e32 v77, 8, v77
	s_or_b64 s[6:7], vcc, s[6:7]
	s_waitcnt vmcnt(0) lgkmcnt(0)
	v_fmac_f64_e32 v[74:75], v[80:81], v[82:83]
	s_andn2_b64 exec, exec, s[6:7]
	s_cbranch_execnz .LBB98_585
; %bb.586:
	s_or_b64 exec, exec, s[6:7]
.LBB98_587:
	s_or_b64 exec, exec, s[4:5]
	v_mov_b32_e32 v76, 0
	ds_read_b64 v[76:77], v76 offset:208
	s_waitcnt lgkmcnt(0)
	v_mul_f64 v[74:75], v[74:75], v[76:77]
	scratch_store_dwordx2 off, v[74:75], off offset:208
.LBB98_588:
	s_or_b64 exec, exec, s[2:3]
	scratch_load_dwordx2 v[74:75], off, off offset:216
	v_cmp_gt_u32_e32 vcc, 27, v0
	s_waitcnt vmcnt(0)
	ds_write_b64 v1, v[74:75]
	s_waitcnt lgkmcnt(0)
	; wave barrier
	s_and_saveexec_b64 s[2:3], vcc
	s_cbranch_execz .LBB98_598
; %bb.589:
	s_and_b64 vcc, exec, s[0:1]
	s_cbranch_vccnz .LBB98_591
; %bb.590:
	scratch_load_dwordx2 v[74:75], v19, off
	ds_read_b64 v[76:77], v1
	s_waitcnt vmcnt(0) lgkmcnt(0)
	v_mul_f64 v[74:75], v[74:75], v[76:77]
	s_cbranch_execz .LBB98_592
	s_branch .LBB98_593
.LBB98_591:
                                        ; implicit-def: $vgpr74_vgpr75
.LBB98_592:
	ds_read_b64 v[74:75], v1
.LBB98_593:
	v_cmp_ne_u32_e32 vcc, 26, v0
	s_and_saveexec_b64 s[4:5], vcc
	s_cbranch_execz .LBB98_597
; %bb.594:
	s_mov_b32 s6, 0
	v_add_u32_e32 v76, 0x128, v18
	v_add3_u32 v77, v18, s6, 8
	s_mov_b64 s[6:7], 0
	v_mov_b32_e32 v78, v0
.LBB98_595:                             ; =>This Inner Loop Header: Depth=1
	scratch_load_dwordx2 v[80:81], v77, off
	ds_read_b64 v[82:83], v76
	v_add_u32_e32 v78, 1, v78
	v_cmp_lt_u32_e32 vcc, 25, v78
	v_add_u32_e32 v76, 8, v76
	v_add_u32_e32 v77, 8, v77
	s_or_b64 s[6:7], vcc, s[6:7]
	s_waitcnt vmcnt(0) lgkmcnt(0)
	v_fmac_f64_e32 v[74:75], v[80:81], v[82:83]
	s_andn2_b64 exec, exec, s[6:7]
	s_cbranch_execnz .LBB98_595
; %bb.596:
	s_or_b64 exec, exec, s[6:7]
.LBB98_597:
	s_or_b64 exec, exec, s[4:5]
	v_mov_b32_e32 v76, 0
	ds_read_b64 v[76:77], v76 offset:216
	s_waitcnt lgkmcnt(0)
	v_mul_f64 v[74:75], v[74:75], v[76:77]
	scratch_store_dwordx2 off, v[74:75], off offset:216
.LBB98_598:
	s_or_b64 exec, exec, s[2:3]
	scratch_load_dwordx2 v[74:75], off, off offset:224
	v_cmp_gt_u32_e32 vcc, 28, v0
	s_waitcnt vmcnt(0)
	ds_write_b64 v1, v[74:75]
	s_waitcnt lgkmcnt(0)
	; wave barrier
	s_and_saveexec_b64 s[2:3], vcc
	s_cbranch_execz .LBB98_608
; %bb.599:
	s_and_b64 vcc, exec, s[0:1]
	s_cbranch_vccnz .LBB98_601
; %bb.600:
	scratch_load_dwordx2 v[74:75], v19, off
	ds_read_b64 v[76:77], v1
	s_waitcnt vmcnt(0) lgkmcnt(0)
	v_mul_f64 v[74:75], v[74:75], v[76:77]
	s_cbranch_execz .LBB98_602
	s_branch .LBB98_603
.LBB98_601:
                                        ; implicit-def: $vgpr74_vgpr75
.LBB98_602:
	ds_read_b64 v[74:75], v1
.LBB98_603:
	v_cmp_ne_u32_e32 vcc, 27, v0
	s_and_saveexec_b64 s[4:5], vcc
	s_cbranch_execz .LBB98_607
; %bb.604:
	s_mov_b32 s6, 0
	v_add_u32_e32 v76, 0x128, v18
	v_add3_u32 v77, v18, s6, 8
	s_mov_b64 s[6:7], 0
	v_mov_b32_e32 v78, v0
.LBB98_605:                             ; =>This Inner Loop Header: Depth=1
	scratch_load_dwordx2 v[80:81], v77, off
	ds_read_b64 v[82:83], v76
	v_add_u32_e32 v78, 1, v78
	v_cmp_lt_u32_e32 vcc, 26, v78
	v_add_u32_e32 v76, 8, v76
	v_add_u32_e32 v77, 8, v77
	s_or_b64 s[6:7], vcc, s[6:7]
	s_waitcnt vmcnt(0) lgkmcnt(0)
	v_fmac_f64_e32 v[74:75], v[80:81], v[82:83]
	s_andn2_b64 exec, exec, s[6:7]
	s_cbranch_execnz .LBB98_605
; %bb.606:
	s_or_b64 exec, exec, s[6:7]
.LBB98_607:
	s_or_b64 exec, exec, s[4:5]
	v_mov_b32_e32 v76, 0
	ds_read_b64 v[76:77], v76 offset:224
	s_waitcnt lgkmcnt(0)
	v_mul_f64 v[74:75], v[74:75], v[76:77]
	scratch_store_dwordx2 off, v[74:75], off offset:224
.LBB98_608:
	s_or_b64 exec, exec, s[2:3]
	scratch_load_dwordx2 v[74:75], off, off offset:232
	v_cmp_gt_u32_e32 vcc, 29, v0
	s_waitcnt vmcnt(0)
	ds_write_b64 v1, v[74:75]
	s_waitcnt lgkmcnt(0)
	; wave barrier
	s_and_saveexec_b64 s[2:3], vcc
	s_cbranch_execz .LBB98_618
; %bb.609:
	s_and_b64 vcc, exec, s[0:1]
	s_cbranch_vccnz .LBB98_611
; %bb.610:
	scratch_load_dwordx2 v[74:75], v19, off
	ds_read_b64 v[76:77], v1
	s_waitcnt vmcnt(0) lgkmcnt(0)
	v_mul_f64 v[74:75], v[74:75], v[76:77]
	s_cbranch_execz .LBB98_612
	s_branch .LBB98_613
.LBB98_611:
                                        ; implicit-def: $vgpr74_vgpr75
.LBB98_612:
	ds_read_b64 v[74:75], v1
.LBB98_613:
	v_cmp_ne_u32_e32 vcc, 28, v0
	s_and_saveexec_b64 s[4:5], vcc
	s_cbranch_execz .LBB98_617
; %bb.614:
	s_mov_b32 s6, 0
	v_add_u32_e32 v76, 0x128, v18
	v_add3_u32 v77, v18, s6, 8
	s_mov_b64 s[6:7], 0
	v_mov_b32_e32 v78, v0
.LBB98_615:                             ; =>This Inner Loop Header: Depth=1
	scratch_load_dwordx2 v[80:81], v77, off
	ds_read_b64 v[82:83], v76
	v_add_u32_e32 v78, 1, v78
	v_cmp_lt_u32_e32 vcc, 27, v78
	v_add_u32_e32 v76, 8, v76
	v_add_u32_e32 v77, 8, v77
	s_or_b64 s[6:7], vcc, s[6:7]
	s_waitcnt vmcnt(0) lgkmcnt(0)
	v_fmac_f64_e32 v[74:75], v[80:81], v[82:83]
	s_andn2_b64 exec, exec, s[6:7]
	s_cbranch_execnz .LBB98_615
; %bb.616:
	s_or_b64 exec, exec, s[6:7]
.LBB98_617:
	s_or_b64 exec, exec, s[4:5]
	v_mov_b32_e32 v76, 0
	ds_read_b64 v[76:77], v76 offset:232
	s_waitcnt lgkmcnt(0)
	v_mul_f64 v[74:75], v[74:75], v[76:77]
	scratch_store_dwordx2 off, v[74:75], off offset:232
.LBB98_618:
	s_or_b64 exec, exec, s[2:3]
	scratch_load_dwordx2 v[74:75], off, off offset:240
	v_cmp_gt_u32_e32 vcc, 30, v0
	s_waitcnt vmcnt(0)
	ds_write_b64 v1, v[74:75]
	s_waitcnt lgkmcnt(0)
	; wave barrier
	s_and_saveexec_b64 s[2:3], vcc
	s_cbranch_execz .LBB98_628
; %bb.619:
	s_and_b64 vcc, exec, s[0:1]
	s_cbranch_vccnz .LBB98_621
; %bb.620:
	scratch_load_dwordx2 v[74:75], v19, off
	ds_read_b64 v[76:77], v1
	s_waitcnt vmcnt(0) lgkmcnt(0)
	v_mul_f64 v[74:75], v[74:75], v[76:77]
	s_cbranch_execz .LBB98_622
	s_branch .LBB98_623
.LBB98_621:
                                        ; implicit-def: $vgpr74_vgpr75
.LBB98_622:
	ds_read_b64 v[74:75], v1
.LBB98_623:
	v_cmp_ne_u32_e32 vcc, 29, v0
	s_and_saveexec_b64 s[4:5], vcc
	s_cbranch_execz .LBB98_627
; %bb.624:
	s_mov_b32 s6, 0
	v_add_u32_e32 v76, 0x128, v18
	v_add3_u32 v77, v18, s6, 8
	s_mov_b64 s[6:7], 0
	v_mov_b32_e32 v78, v0
.LBB98_625:                             ; =>This Inner Loop Header: Depth=1
	scratch_load_dwordx2 v[80:81], v77, off
	ds_read_b64 v[82:83], v76
	v_add_u32_e32 v78, 1, v78
	v_cmp_lt_u32_e32 vcc, 28, v78
	v_add_u32_e32 v76, 8, v76
	v_add_u32_e32 v77, 8, v77
	s_or_b64 s[6:7], vcc, s[6:7]
	s_waitcnt vmcnt(0) lgkmcnt(0)
	v_fmac_f64_e32 v[74:75], v[80:81], v[82:83]
	s_andn2_b64 exec, exec, s[6:7]
	s_cbranch_execnz .LBB98_625
; %bb.626:
	s_or_b64 exec, exec, s[6:7]
.LBB98_627:
	s_or_b64 exec, exec, s[4:5]
	v_mov_b32_e32 v76, 0
	ds_read_b64 v[76:77], v76 offset:240
	s_waitcnt lgkmcnt(0)
	v_mul_f64 v[74:75], v[74:75], v[76:77]
	scratch_store_dwordx2 off, v[74:75], off offset:240
.LBB98_628:
	s_or_b64 exec, exec, s[2:3]
	scratch_load_dwordx2 v[74:75], off, off offset:248
	v_cmp_gt_u32_e32 vcc, 31, v0
	s_waitcnt vmcnt(0)
	ds_write_b64 v1, v[74:75]
	s_waitcnt lgkmcnt(0)
	; wave barrier
	s_and_saveexec_b64 s[2:3], vcc
	s_cbranch_execz .LBB98_638
; %bb.629:
	s_and_b64 vcc, exec, s[0:1]
	s_cbranch_vccnz .LBB98_631
; %bb.630:
	scratch_load_dwordx2 v[74:75], v19, off
	ds_read_b64 v[76:77], v1
	s_waitcnt vmcnt(0) lgkmcnt(0)
	v_mul_f64 v[74:75], v[74:75], v[76:77]
	s_cbranch_execz .LBB98_632
	s_branch .LBB98_633
.LBB98_631:
                                        ; implicit-def: $vgpr74_vgpr75
.LBB98_632:
	ds_read_b64 v[74:75], v1
.LBB98_633:
	v_cmp_ne_u32_e32 vcc, 30, v0
	s_and_saveexec_b64 s[4:5], vcc
	s_cbranch_execz .LBB98_637
; %bb.634:
	s_mov_b32 s6, 0
	v_add_u32_e32 v76, 0x128, v18
	v_add3_u32 v77, v18, s6, 8
	s_mov_b64 s[6:7], 0
	v_mov_b32_e32 v78, v0
.LBB98_635:                             ; =>This Inner Loop Header: Depth=1
	scratch_load_dwordx2 v[80:81], v77, off
	ds_read_b64 v[82:83], v76
	v_add_u32_e32 v78, 1, v78
	v_cmp_lt_u32_e32 vcc, 29, v78
	v_add_u32_e32 v76, 8, v76
	v_add_u32_e32 v77, 8, v77
	s_or_b64 s[6:7], vcc, s[6:7]
	s_waitcnt vmcnt(0) lgkmcnt(0)
	v_fmac_f64_e32 v[74:75], v[80:81], v[82:83]
	s_andn2_b64 exec, exec, s[6:7]
	s_cbranch_execnz .LBB98_635
; %bb.636:
	s_or_b64 exec, exec, s[6:7]
.LBB98_637:
	s_or_b64 exec, exec, s[4:5]
	v_mov_b32_e32 v76, 0
	ds_read_b64 v[76:77], v76 offset:248
	s_waitcnt lgkmcnt(0)
	v_mul_f64 v[74:75], v[74:75], v[76:77]
	scratch_store_dwordx2 off, v[74:75], off offset:248
.LBB98_638:
	s_or_b64 exec, exec, s[2:3]
	scratch_load_dwordx2 v[74:75], off, off offset:256
	v_cmp_gt_u32_e32 vcc, 32, v0
	s_waitcnt vmcnt(0)
	ds_write_b64 v1, v[74:75]
	s_waitcnt lgkmcnt(0)
	; wave barrier
	s_and_saveexec_b64 s[2:3], vcc
	s_cbranch_execz .LBB98_648
; %bb.639:
	s_and_b64 vcc, exec, s[0:1]
	s_cbranch_vccnz .LBB98_641
; %bb.640:
	scratch_load_dwordx2 v[74:75], v19, off
	ds_read_b64 v[76:77], v1
	s_waitcnt vmcnt(0) lgkmcnt(0)
	v_mul_f64 v[74:75], v[74:75], v[76:77]
	s_cbranch_execz .LBB98_642
	s_branch .LBB98_643
.LBB98_641:
                                        ; implicit-def: $vgpr74_vgpr75
.LBB98_642:
	ds_read_b64 v[74:75], v1
.LBB98_643:
	v_cmp_ne_u32_e32 vcc, 31, v0
	s_and_saveexec_b64 s[4:5], vcc
	s_cbranch_execz .LBB98_647
; %bb.644:
	s_mov_b32 s6, 0
	v_add_u32_e32 v76, 0x128, v18
	v_add3_u32 v77, v18, s6, 8
	s_mov_b64 s[6:7], 0
	v_mov_b32_e32 v78, v0
.LBB98_645:                             ; =>This Inner Loop Header: Depth=1
	scratch_load_dwordx2 v[80:81], v77, off
	ds_read_b64 v[82:83], v76
	v_add_u32_e32 v78, 1, v78
	v_cmp_lt_u32_e32 vcc, 30, v78
	v_add_u32_e32 v76, 8, v76
	v_add_u32_e32 v77, 8, v77
	s_or_b64 s[6:7], vcc, s[6:7]
	s_waitcnt vmcnt(0) lgkmcnt(0)
	v_fmac_f64_e32 v[74:75], v[80:81], v[82:83]
	s_andn2_b64 exec, exec, s[6:7]
	s_cbranch_execnz .LBB98_645
; %bb.646:
	s_or_b64 exec, exec, s[6:7]
.LBB98_647:
	s_or_b64 exec, exec, s[4:5]
	v_mov_b32_e32 v76, 0
	ds_read_b64 v[76:77], v76 offset:256
	s_waitcnt lgkmcnt(0)
	v_mul_f64 v[74:75], v[74:75], v[76:77]
	scratch_store_dwordx2 off, v[74:75], off offset:256
.LBB98_648:
	s_or_b64 exec, exec, s[2:3]
	scratch_load_dwordx2 v[74:75], off, off offset:264
	v_cmp_gt_u32_e64 s[2:3], 33, v0
	s_waitcnt vmcnt(0)
	ds_write_b64 v1, v[74:75]
	s_waitcnt lgkmcnt(0)
	; wave barrier
	s_and_saveexec_b64 s[4:5], s[2:3]
	s_cbranch_execz .LBB98_658
; %bb.649:
	s_and_b64 vcc, exec, s[0:1]
	s_cbranch_vccnz .LBB98_651
; %bb.650:
	scratch_load_dwordx2 v[74:75], v19, off
	ds_read_b64 v[76:77], v1
	s_waitcnt vmcnt(0) lgkmcnt(0)
	v_mul_f64 v[74:75], v[74:75], v[76:77]
	s_cbranch_execz .LBB98_652
	s_branch .LBB98_653
.LBB98_651:
                                        ; implicit-def: $vgpr74_vgpr75
.LBB98_652:
	ds_read_b64 v[74:75], v1
.LBB98_653:
	v_cmp_ne_u32_e32 vcc, 32, v0
	s_and_saveexec_b64 s[6:7], vcc
	s_cbranch_execz .LBB98_657
; %bb.654:
	s_mov_b32 s8, 0
	v_add_u32_e32 v76, 0x128, v18
	v_add3_u32 v77, v18, s8, 8
	s_mov_b64 s[8:9], 0
	v_mov_b32_e32 v78, v0
.LBB98_655:                             ; =>This Inner Loop Header: Depth=1
	scratch_load_dwordx2 v[80:81], v77, off
	ds_read_b64 v[82:83], v76
	v_add_u32_e32 v78, 1, v78
	v_cmp_lt_u32_e32 vcc, 31, v78
	v_add_u32_e32 v76, 8, v76
	v_add_u32_e32 v77, 8, v77
	s_or_b64 s[8:9], vcc, s[8:9]
	s_waitcnt vmcnt(0) lgkmcnt(0)
	v_fmac_f64_e32 v[74:75], v[80:81], v[82:83]
	s_andn2_b64 exec, exec, s[8:9]
	s_cbranch_execnz .LBB98_655
; %bb.656:
	s_or_b64 exec, exec, s[8:9]
.LBB98_657:
	s_or_b64 exec, exec, s[6:7]
	v_mov_b32_e32 v76, 0
	ds_read_b64 v[76:77], v76 offset:264
	s_waitcnt lgkmcnt(0)
	v_mul_f64 v[74:75], v[74:75], v[76:77]
	scratch_store_dwordx2 off, v[74:75], off offset:264
.LBB98_658:
	s_or_b64 exec, exec, s[4:5]
	scratch_load_dwordx2 v[74:75], off, off offset:272
	v_cmp_ne_u32_e32 vcc, 34, v0
	s_waitcnt vmcnt(0)
	ds_write_b64 v1, v[74:75]
	s_waitcnt lgkmcnt(0)
	; wave barrier
	s_and_saveexec_b64 s[4:5], vcc
	s_cbranch_execz .LBB98_668
; %bb.659:
	s_and_b64 vcc, exec, s[0:1]
	s_cbranch_vccnz .LBB98_661
; %bb.660:
	scratch_load_dwordx2 v[74:75], v19, off
	ds_read_b64 v[76:77], v1
	s_waitcnt vmcnt(0) lgkmcnt(0)
	v_mul_f64 v[74:75], v[74:75], v[76:77]
	s_cbranch_execz .LBB98_662
	s_branch .LBB98_663
.LBB98_661:
                                        ; implicit-def: $vgpr74_vgpr75
.LBB98_662:
	ds_read_b64 v[74:75], v1
.LBB98_663:
	s_and_saveexec_b64 s[0:1], s[2:3]
	s_cbranch_execz .LBB98_667
; %bb.664:
	s_mov_b32 s2, 0
	v_add_u32_e32 v1, 0x128, v18
	v_add3_u32 v18, v18, s2, 8
	s_mov_b64 s[2:3], 0
.LBB98_665:                             ; =>This Inner Loop Header: Depth=1
	scratch_load_dwordx2 v[76:77], v18, off
	ds_read_b64 v[78:79], v1
	v_add_u32_e32 v0, 1, v0
	v_cmp_lt_u32_e32 vcc, 32, v0
	v_add_u32_e32 v1, 8, v1
	v_add_u32_e32 v18, 8, v18
	s_or_b64 s[2:3], vcc, s[2:3]
	s_waitcnt vmcnt(0) lgkmcnt(0)
	v_fmac_f64_e32 v[74:75], v[76:77], v[78:79]
	s_andn2_b64 exec, exec, s[2:3]
	s_cbranch_execnz .LBB98_665
; %bb.666:
	s_or_b64 exec, exec, s[2:3]
.LBB98_667:
	s_or_b64 exec, exec, s[0:1]
	v_mov_b32_e32 v0, 0
	ds_read_b64 v[0:1], v0 offset:272
	s_waitcnt lgkmcnt(0)
	v_mul_f64 v[0:1], v[74:75], v[0:1]
	scratch_store_dwordx2 off, v[0:1], off offset:272
.LBB98_668:
	s_or_b64 exec, exec, s[4:5]
.LBB98_669:
	scratch_load_dwordx2 v[0:1], off, off
	s_waitcnt vmcnt(0)
	flat_store_dwordx2 v[2:3], v[0:1]
	scratch_load_dwordx2 v[0:1], off, off offset:8
	s_waitcnt vmcnt(0)
	flat_store_dwordx2 v[4:5], v[0:1]
	scratch_load_dwordx2 v[0:1], off, off offset:16
	;; [unrolled: 3-line block ×34, first 2 shown]
	s_waitcnt vmcnt(0)
	flat_store_dwordx2 v[72:73], v[0:1]
.LBB98_670:
	s_endpgm
	.section	.rodata,"a",@progbits
	.p2align	6, 0x0
	.amdhsa_kernel _ZN9rocsolver6v33100L18trti2_kernel_smallILi35EdPKPdEEv13rocblas_fill_17rocblas_diagonal_T1_iil
		.amdhsa_group_segment_fixed_size 568
		.amdhsa_private_segment_fixed_size 288
		.amdhsa_kernarg_size 32
		.amdhsa_user_sgpr_count 2
		.amdhsa_user_sgpr_dispatch_ptr 0
		.amdhsa_user_sgpr_queue_ptr 0
		.amdhsa_user_sgpr_kernarg_segment_ptr 1
		.amdhsa_user_sgpr_dispatch_id 0
		.amdhsa_user_sgpr_kernarg_preload_length 0
		.amdhsa_user_sgpr_kernarg_preload_offset 0
		.amdhsa_user_sgpr_private_segment_size 0
		.amdhsa_uses_dynamic_stack 0
		.amdhsa_enable_private_segment 1
		.amdhsa_system_sgpr_workgroup_id_x 1
		.amdhsa_system_sgpr_workgroup_id_y 0
		.amdhsa_system_sgpr_workgroup_id_z 0
		.amdhsa_system_sgpr_workgroup_info 0
		.amdhsa_system_vgpr_workitem_id 0
		.amdhsa_next_free_vgpr 84
		.amdhsa_next_free_sgpr 44
		.amdhsa_accum_offset 84
		.amdhsa_reserve_vcc 1
		.amdhsa_float_round_mode_32 0
		.amdhsa_float_round_mode_16_64 0
		.amdhsa_float_denorm_mode_32 3
		.amdhsa_float_denorm_mode_16_64 3
		.amdhsa_dx10_clamp 1
		.amdhsa_ieee_mode 1
		.amdhsa_fp16_overflow 0
		.amdhsa_tg_split 0
		.amdhsa_exception_fp_ieee_invalid_op 0
		.amdhsa_exception_fp_denorm_src 0
		.amdhsa_exception_fp_ieee_div_zero 0
		.amdhsa_exception_fp_ieee_overflow 0
		.amdhsa_exception_fp_ieee_underflow 0
		.amdhsa_exception_fp_ieee_inexact 0
		.amdhsa_exception_int_div_zero 0
	.end_amdhsa_kernel
	.section	.text._ZN9rocsolver6v33100L18trti2_kernel_smallILi35EdPKPdEEv13rocblas_fill_17rocblas_diagonal_T1_iil,"axG",@progbits,_ZN9rocsolver6v33100L18trti2_kernel_smallILi35EdPKPdEEv13rocblas_fill_17rocblas_diagonal_T1_iil,comdat
.Lfunc_end98:
	.size	_ZN9rocsolver6v33100L18trti2_kernel_smallILi35EdPKPdEEv13rocblas_fill_17rocblas_diagonal_T1_iil, .Lfunc_end98-_ZN9rocsolver6v33100L18trti2_kernel_smallILi35EdPKPdEEv13rocblas_fill_17rocblas_diagonal_T1_iil
                                        ; -- End function
	.set _ZN9rocsolver6v33100L18trti2_kernel_smallILi35EdPKPdEEv13rocblas_fill_17rocblas_diagonal_T1_iil.num_vgpr, 84
	.set _ZN9rocsolver6v33100L18trti2_kernel_smallILi35EdPKPdEEv13rocblas_fill_17rocblas_diagonal_T1_iil.num_agpr, 0
	.set _ZN9rocsolver6v33100L18trti2_kernel_smallILi35EdPKPdEEv13rocblas_fill_17rocblas_diagonal_T1_iil.numbered_sgpr, 44
	.set _ZN9rocsolver6v33100L18trti2_kernel_smallILi35EdPKPdEEv13rocblas_fill_17rocblas_diagonal_T1_iil.num_named_barrier, 0
	.set _ZN9rocsolver6v33100L18trti2_kernel_smallILi35EdPKPdEEv13rocblas_fill_17rocblas_diagonal_T1_iil.private_seg_size, 288
	.set _ZN9rocsolver6v33100L18trti2_kernel_smallILi35EdPKPdEEv13rocblas_fill_17rocblas_diagonal_T1_iil.uses_vcc, 1
	.set _ZN9rocsolver6v33100L18trti2_kernel_smallILi35EdPKPdEEv13rocblas_fill_17rocblas_diagonal_T1_iil.uses_flat_scratch, 0
	.set _ZN9rocsolver6v33100L18trti2_kernel_smallILi35EdPKPdEEv13rocblas_fill_17rocblas_diagonal_T1_iil.has_dyn_sized_stack, 0
	.set _ZN9rocsolver6v33100L18trti2_kernel_smallILi35EdPKPdEEv13rocblas_fill_17rocblas_diagonal_T1_iil.has_recursion, 0
	.set _ZN9rocsolver6v33100L18trti2_kernel_smallILi35EdPKPdEEv13rocblas_fill_17rocblas_diagonal_T1_iil.has_indirect_call, 0
	.section	.AMDGPU.csdata,"",@progbits
; Kernel info:
; codeLenInByte = 16872
; TotalNumSgprs: 50
; NumVgprs: 84
; NumAgprs: 0
; TotalNumVgprs: 84
; ScratchSize: 288
; MemoryBound: 0
; FloatMode: 240
; IeeeMode: 1
; LDSByteSize: 568 bytes/workgroup (compile time only)
; SGPRBlocks: 6
; VGPRBlocks: 10
; NumSGPRsForWavesPerEU: 50
; NumVGPRsForWavesPerEU: 84
; AccumOffset: 84
; Occupancy: 5
; WaveLimiterHint : 1
; COMPUTE_PGM_RSRC2:SCRATCH_EN: 1
; COMPUTE_PGM_RSRC2:USER_SGPR: 2
; COMPUTE_PGM_RSRC2:TRAP_HANDLER: 0
; COMPUTE_PGM_RSRC2:TGID_X_EN: 1
; COMPUTE_PGM_RSRC2:TGID_Y_EN: 0
; COMPUTE_PGM_RSRC2:TGID_Z_EN: 0
; COMPUTE_PGM_RSRC2:TIDIG_COMP_CNT: 0
; COMPUTE_PGM_RSRC3_GFX90A:ACCUM_OFFSET: 20
; COMPUTE_PGM_RSRC3_GFX90A:TG_SPLIT: 0
	.section	.text._ZN9rocsolver6v33100L18trti2_kernel_smallILi36EdPKPdEEv13rocblas_fill_17rocblas_diagonal_T1_iil,"axG",@progbits,_ZN9rocsolver6v33100L18trti2_kernel_smallILi36EdPKPdEEv13rocblas_fill_17rocblas_diagonal_T1_iil,comdat
	.globl	_ZN9rocsolver6v33100L18trti2_kernel_smallILi36EdPKPdEEv13rocblas_fill_17rocblas_diagonal_T1_iil ; -- Begin function _ZN9rocsolver6v33100L18trti2_kernel_smallILi36EdPKPdEEv13rocblas_fill_17rocblas_diagonal_T1_iil
	.p2align	8
	.type	_ZN9rocsolver6v33100L18trti2_kernel_smallILi36EdPKPdEEv13rocblas_fill_17rocblas_diagonal_T1_iil,@function
_ZN9rocsolver6v33100L18trti2_kernel_smallILi36EdPKPdEEv13rocblas_fill_17rocblas_diagonal_T1_iil: ; @_ZN9rocsolver6v33100L18trti2_kernel_smallILi36EdPKPdEEv13rocblas_fill_17rocblas_diagonal_T1_iil
; %bb.0:
	v_cmp_gt_u32_e32 vcc, 36, v0
	s_and_saveexec_b64 s[4:5], vcc
	s_cbranch_execz .LBB99_690
; %bb.1:
	s_load_dwordx2 s[8:9], s[0:1], 0x10
	s_load_dwordx4 s[4:7], s[0:1], 0x0
	s_ashr_i32 s3, s2, 31
	s_lshl_b64 s[0:1], s[2:3], 3
	v_lshlrev_b32_e32 v18, 3, v0
	s_waitcnt lgkmcnt(0)
	s_ashr_i32 s3, s8, 31
	s_add_u32 s0, s6, s0
	s_addc_u32 s1, s7, s1
	s_load_dwordx2 s[0:1], s[0:1], 0x0
	s_mov_b32 s2, s8
	s_lshl_b64 s[2:3], s[2:3], 3
	v_mov_b32_e32 v19, 0
	s_waitcnt lgkmcnt(0)
	s_add_u32 s0, s0, s2
	s_addc_u32 s1, s1, s3
	v_lshl_add_u64 v[2:3], s[0:1], 0, v[18:19]
	flat_load_dwordx2 v[6:7], v[2:3]
	s_mov_b32 s2, s9
	s_ashr_i32 s3, s9, 31
	v_lshl_add_u64 v[4:5], s[2:3], 3, v[2:3]
	s_add_i32 s2, s9, s9
	v_add_u32_e32 v10, s2, v0
	v_ashrrev_i32_e32 v11, 31, v10
	s_cmpk_lg_i32 s5, 0x84
	s_cselect_b64 s[6:7], -1, 0
	s_cmpk_eq_i32 s5, 0x84
	s_waitcnt vmcnt(0) lgkmcnt(0)
	scratch_store_dwordx2 off, v[6:7], off
	flat_load_dwordx2 v[8:9], v[4:5]
	v_lshl_add_u64 v[6:7], v[10:11], 3, s[0:1]
	v_add_u32_e32 v10, s9, v10
	v_ashrrev_i32_e32 v11, 31, v10
	v_add_u32_e32 v14, s9, v10
	v_ashrrev_i32_e32 v15, 31, v14
	s_waitcnt vmcnt(0) lgkmcnt(0)
	scratch_store_dwordx2 off, v[8:9], off offset:8
	flat_load_dwordx2 v[12:13], v[6:7]
	v_lshl_add_u64 v[8:9], v[10:11], 3, s[0:1]
	v_lshl_add_u64 v[10:11], v[14:15], 3, s[0:1]
	v_add_u32_e32 v14, s9, v14
	v_ashrrev_i32_e32 v15, 31, v14
	v_add_u32_e32 v20, s9, v14
	v_ashrrev_i32_e32 v21, 31, v20
	s_waitcnt vmcnt(0) lgkmcnt(0)
	scratch_store_dwordx2 off, v[12:13], off offset:16
	flat_load_dwordx2 v[12:13], v[8:9]
	s_waitcnt vmcnt(0) lgkmcnt(0)
	scratch_store_dwordx2 off, v[12:13], off offset:24
	flat_load_dwordx2 v[16:17], v[10:11]
	v_lshl_add_u64 v[12:13], v[14:15], 3, s[0:1]
	v_lshl_add_u64 v[14:15], v[20:21], 3, s[0:1]
	v_add_u32_e32 v20, s9, v20
	v_ashrrev_i32_e32 v21, 31, v20
	v_add_u32_e32 v24, s9, v20
	v_ashrrev_i32_e32 v25, 31, v24
	s_waitcnt vmcnt(0) lgkmcnt(0)
	scratch_store_dwordx2 off, v[16:17], off offset:32
	flat_load_dwordx2 v[16:17], v[12:13]
	;; [unrolled: 12-line block ×15, first 2 shown]
	s_waitcnt vmcnt(0) lgkmcnt(0)
	scratch_store_dwordx2 off, v[70:71], off offset:248
	flat_load_dwordx2 v[74:75], v[68:69]
	v_lshl_add_u64 v[70:71], v[72:73], 3, s[0:1]
	v_lshl_add_u64 v[72:73], v[76:77], 3, s[0:1]
	s_waitcnt vmcnt(0) lgkmcnt(0)
	scratch_store_dwordx2 off, v[74:75], off offset:256
	flat_load_dwordx2 v[74:75], v[70:71]
	s_waitcnt vmcnt(0) lgkmcnt(0)
	scratch_store_dwordx2 off, v[74:75], off offset:264
	flat_load_dwordx2 v[78:79], v[72:73]
	v_add_u32_e32 v74, s9, v76
	v_ashrrev_i32_e32 v75, 31, v74
	v_lshl_add_u64 v[74:75], v[74:75], 3, s[0:1]
	s_waitcnt vmcnt(0) lgkmcnt(0)
	scratch_store_dwordx2 off, v[78:79], off offset:272
	flat_load_dwordx2 v[76:77], v[74:75]
	s_waitcnt vmcnt(0) lgkmcnt(0)
	scratch_store_dwordx2 off, v[76:77], off offset:280
	v_mov_b64_e32 v[76:77], -1.0
	s_cbranch_scc1 .LBB99_3
; %bb.2:
	scratch_load_dwordx2 v[76:77], v18, off
	s_waitcnt vmcnt(0)
	v_div_scale_f64 v[78:79], s[0:1], v[76:77], v[76:77], 1.0
	v_rcp_f64_e32 v[80:81], v[78:79]
	v_div_scale_f64 v[82:83], vcc, 1.0, v[76:77], 1.0
	v_fma_f64 v[84:85], -v[78:79], v[80:81], 1.0
	v_fmac_f64_e32 v[80:81], v[80:81], v[84:85]
	v_fma_f64 v[84:85], -v[78:79], v[80:81], 1.0
	v_fmac_f64_e32 v[80:81], v[80:81], v[84:85]
	v_mul_f64 v[84:85], v[82:83], v[80:81]
	v_fma_f64 v[78:79], -v[78:79], v[84:85], v[82:83]
	v_div_fmas_f64 v[78:79], v[78:79], v[80:81], v[84:85]
	v_div_fixup_f64 v[76:77], v[78:79], v[76:77], 1.0
	scratch_store_dwordx2 v18, v[76:77], off
	v_xor_b32_e32 v77, 0x80000000, v77
.LBB99_3:
	s_cmpk_eq_i32 s4, 0x79
	v_add_u32_e32 v1, 0x120, v18
	v_mov_b32_e32 v19, v18
	s_mov_b64 s[0:1], -1
	ds_write_b64 v18, v[76:77]
	s_cbranch_scc1 .LBB99_347
; %bb.4:
	scratch_load_dwordx2 v[76:77], off, off offset:272
	s_movk_i32 s8, 0x48
	s_movk_i32 s9, 0x50
	;; [unrolled: 1-line block ×25, first 2 shown]
	v_cmp_eq_u32_e64 s[0:1], 35, v0
	s_waitcnt vmcnt(0)
	ds_write_b64 v1, v[76:77]
	s_waitcnt lgkmcnt(0)
	; wave barrier
	s_and_saveexec_b64 s[2:3], s[0:1]
	s_cbranch_execz .LBB99_10
; %bb.5:
	s_and_b64 vcc, exec, s[6:7]
	s_cbranch_vccz .LBB99_7
; %bb.6:
	scratch_load_dwordx2 v[76:77], v19, off
	ds_read_b64 v[78:79], v1
	s_waitcnt vmcnt(0) lgkmcnt(0)
	v_mul_f64 v[76:77], v[76:77], v[78:79]
	s_cbranch_execz .LBB99_8
	s_branch .LBB99_9
.LBB99_7:
                                        ; implicit-def: $vgpr76_vgpr77
.LBB99_8:
	ds_read_b64 v[76:77], v1
.LBB99_9:
	v_mov_b32_e32 v78, 0
	ds_read_b64 v[78:79], v78 offset:272
	s_waitcnt lgkmcnt(0)
	v_mul_f64 v[76:77], v[76:77], v[78:79]
	scratch_store_dwordx2 off, v[76:77], off offset:272
.LBB99_10:
	s_or_b64 exec, exec, s[2:3]
	scratch_load_dwordx2 v[76:77], off, off offset:264
	s_or_b32 s10, 0, 8
	s_mov_b32 s11, 16
	s_mov_b32 s12, 24
	;; [unrolled: 1-line block ×9, first 2 shown]
	v_cmp_lt_u32_e64 s[2:3], 33, v0
	s_waitcnt vmcnt(0)
	ds_write_b64 v1, v[76:77]
	s_waitcnt lgkmcnt(0)
	; wave barrier
	s_and_saveexec_b64 s[4:5], s[2:3]
	s_cbranch_execz .LBB99_16
; %bb.11:
	s_andn2_b64 vcc, exec, s[6:7]
	s_cbranch_vccnz .LBB99_13
; %bb.12:
	scratch_load_dwordx2 v[76:77], v19, off
	ds_read_b64 v[78:79], v1
	s_waitcnt vmcnt(0) lgkmcnt(0)
	v_mul_f64 v[76:77], v[76:77], v[78:79]
	s_cbranch_execz .LBB99_14
	s_branch .LBB99_15
.LBB99_13:
                                        ; implicit-def: $vgpr76_vgpr77
.LBB99_14:
	ds_read_b64 v[76:77], v1
.LBB99_15:
	scratch_load_dwordx2 v[82:83], off, off offset:272
	v_mov_b32_e32 v78, 0
	ds_read2_b64 v[78:81], v78 offset0:33 offset1:70
	s_waitcnt vmcnt(0) lgkmcnt(0)
	v_fma_f64 v[80:81], v[82:83], v[80:81], v[76:77]
	v_cndmask_b32_e64 v77, v77, v81, s[0:1]
	v_cndmask_b32_e64 v76, v76, v80, s[0:1]
	v_mul_f64 v[76:77], v[76:77], v[78:79]
	scratch_store_dwordx2 off, v[76:77], off offset:264
.LBB99_16:
	s_or_b64 exec, exec, s[4:5]
	scratch_load_dwordx2 v[76:77], off, off offset:256
	v_cmp_lt_u32_e64 s[0:1], 32, v0
	s_waitcnt vmcnt(0)
	ds_write_b64 v1, v[76:77]
	s_waitcnt lgkmcnt(0)
	; wave barrier
	s_and_saveexec_b64 s[4:5], s[0:1]
	s_cbranch_execz .LBB99_26
; %bb.17:
	s_andn2_b64 vcc, exec, s[6:7]
	s_cbranch_vccnz .LBB99_19
; %bb.18:
	scratch_load_dwordx2 v[76:77], v19, off
	ds_read_b64 v[78:79], v1
	s_waitcnt vmcnt(0) lgkmcnt(0)
	v_mul_f64 v[76:77], v[76:77], v[78:79]
	s_cbranch_execz .LBB99_20
	s_branch .LBB99_21
.LBB99_19:
                                        ; implicit-def: $vgpr76_vgpr77
.LBB99_20:
	ds_read_b64 v[76:77], v1
.LBB99_21:
	s_and_saveexec_b64 s[8:9], s[2:3]
	s_cbranch_execz .LBB99_25
; %bb.22:
	v_subrev_u32_e32 v78, 33, v0
	s_movk_i32 s44, 0x228
	s_mov_b64 s[2:3], 0
.LBB99_23:                              ; =>This Inner Loop Header: Depth=1
	scratch_load_dwordx2 v[80:81], off, s43
	v_mov_b32_e32 v79, s44
	ds_read_b64 v[82:83], v79
	v_add_u32_e32 v78, -1, v78
	s_add_i32 s44, s44, 8
	s_add_i32 s43, s43, 8
	v_cmp_eq_u32_e32 vcc, 0, v78
	s_or_b64 s[2:3], vcc, s[2:3]
	s_waitcnt vmcnt(0) lgkmcnt(0)
	v_fmac_f64_e32 v[76:77], v[80:81], v[82:83]
	s_andn2_b64 exec, exec, s[2:3]
	s_cbranch_execnz .LBB99_23
; %bb.24:
	s_or_b64 exec, exec, s[2:3]
.LBB99_25:
	s_or_b64 exec, exec, s[8:9]
	v_mov_b32_e32 v78, 0
	ds_read_b64 v[78:79], v78 offset:256
	s_waitcnt lgkmcnt(0)
	v_mul_f64 v[76:77], v[76:77], v[78:79]
	scratch_store_dwordx2 off, v[76:77], off offset:256
.LBB99_26:
	s_or_b64 exec, exec, s[4:5]
	scratch_load_dwordx2 v[76:77], off, off offset:248
	v_cmp_lt_u32_e64 s[2:3], 31, v0
	s_waitcnt vmcnt(0)
	ds_write_b64 v1, v[76:77]
	s_waitcnt lgkmcnt(0)
	; wave barrier
	s_and_saveexec_b64 s[4:5], s[2:3]
	s_cbranch_execz .LBB99_36
; %bb.27:
	s_andn2_b64 vcc, exec, s[6:7]
	s_cbranch_vccnz .LBB99_29
; %bb.28:
	scratch_load_dwordx2 v[76:77], v19, off
	ds_read_b64 v[78:79], v1
	s_waitcnt vmcnt(0) lgkmcnt(0)
	v_mul_f64 v[76:77], v[76:77], v[78:79]
	s_cbranch_execz .LBB99_30
	s_branch .LBB99_31
.LBB99_29:
                                        ; implicit-def: $vgpr76_vgpr77
.LBB99_30:
	ds_read_b64 v[76:77], v1
.LBB99_31:
	s_and_saveexec_b64 s[8:9], s[0:1]
	s_cbranch_execz .LBB99_35
; %bb.32:
	v_subrev_u32_e32 v78, 32, v0
	s_movk_i32 s43, 0x220
	s_mov_b64 s[0:1], 0
.LBB99_33:                              ; =>This Inner Loop Header: Depth=1
	scratch_load_dwordx2 v[80:81], off, s42
	v_mov_b32_e32 v79, s43
	ds_read_b64 v[82:83], v79
	v_add_u32_e32 v78, -1, v78
	s_add_i32 s43, s43, 8
	s_add_i32 s42, s42, 8
	v_cmp_eq_u32_e32 vcc, 0, v78
	s_or_b64 s[0:1], vcc, s[0:1]
	s_waitcnt vmcnt(0) lgkmcnt(0)
	v_fmac_f64_e32 v[76:77], v[80:81], v[82:83]
	s_andn2_b64 exec, exec, s[0:1]
	s_cbranch_execnz .LBB99_33
; %bb.34:
	s_or_b64 exec, exec, s[0:1]
.LBB99_35:
	s_or_b64 exec, exec, s[8:9]
	v_mov_b32_e32 v78, 0
	ds_read_b64 v[78:79], v78 offset:248
	s_waitcnt lgkmcnt(0)
	v_mul_f64 v[76:77], v[76:77], v[78:79]
	scratch_store_dwordx2 off, v[76:77], off offset:248
.LBB99_36:
	s_or_b64 exec, exec, s[4:5]
	scratch_load_dwordx2 v[76:77], off, off offset:240
	v_cmp_lt_u32_e64 s[0:1], 30, v0
	s_waitcnt vmcnt(0)
	ds_write_b64 v1, v[76:77]
	s_waitcnt lgkmcnt(0)
	; wave barrier
	s_and_saveexec_b64 s[4:5], s[0:1]
	s_cbranch_execz .LBB99_46
; %bb.37:
	s_andn2_b64 vcc, exec, s[6:7]
	s_cbranch_vccnz .LBB99_39
; %bb.38:
	scratch_load_dwordx2 v[76:77], v19, off
	ds_read_b64 v[78:79], v1
	s_waitcnt vmcnt(0) lgkmcnt(0)
	v_mul_f64 v[76:77], v[76:77], v[78:79]
	s_cbranch_execz .LBB99_40
	s_branch .LBB99_41
.LBB99_39:
                                        ; implicit-def: $vgpr76_vgpr77
.LBB99_40:
	ds_read_b64 v[76:77], v1
.LBB99_41:
	s_and_saveexec_b64 s[8:9], s[2:3]
	s_cbranch_execz .LBB99_45
; %bb.42:
	v_subrev_u32_e32 v78, 31, v0
	s_movk_i32 s42, 0x218
	s_mov_b64 s[2:3], 0
.LBB99_43:                              ; =>This Inner Loop Header: Depth=1
	scratch_load_dwordx2 v[80:81], off, s41
	v_mov_b32_e32 v79, s42
	ds_read_b64 v[82:83], v79
	v_add_u32_e32 v78, -1, v78
	s_add_i32 s42, s42, 8
	s_add_i32 s41, s41, 8
	v_cmp_eq_u32_e32 vcc, 0, v78
	s_or_b64 s[2:3], vcc, s[2:3]
	s_waitcnt vmcnt(0) lgkmcnt(0)
	v_fmac_f64_e32 v[76:77], v[80:81], v[82:83]
	s_andn2_b64 exec, exec, s[2:3]
	s_cbranch_execnz .LBB99_43
; %bb.44:
	s_or_b64 exec, exec, s[2:3]
.LBB99_45:
	s_or_b64 exec, exec, s[8:9]
	v_mov_b32_e32 v78, 0
	ds_read_b64 v[78:79], v78 offset:240
	s_waitcnt lgkmcnt(0)
	v_mul_f64 v[76:77], v[76:77], v[78:79]
	scratch_store_dwordx2 off, v[76:77], off offset:240
.LBB99_46:
	s_or_b64 exec, exec, s[4:5]
	scratch_load_dwordx2 v[76:77], off, off offset:232
	v_cmp_lt_u32_e64 s[2:3], 29, v0
	s_waitcnt vmcnt(0)
	ds_write_b64 v1, v[76:77]
	s_waitcnt lgkmcnt(0)
	; wave barrier
	s_and_saveexec_b64 s[4:5], s[2:3]
	s_cbranch_execz .LBB99_56
; %bb.47:
	s_andn2_b64 vcc, exec, s[6:7]
	s_cbranch_vccnz .LBB99_49
; %bb.48:
	scratch_load_dwordx2 v[76:77], v19, off
	ds_read_b64 v[78:79], v1
	s_waitcnt vmcnt(0) lgkmcnt(0)
	v_mul_f64 v[76:77], v[76:77], v[78:79]
	s_cbranch_execz .LBB99_50
	s_branch .LBB99_51
.LBB99_49:
                                        ; implicit-def: $vgpr76_vgpr77
.LBB99_50:
	ds_read_b64 v[76:77], v1
.LBB99_51:
	s_and_saveexec_b64 s[8:9], s[0:1]
	s_cbranch_execz .LBB99_55
; %bb.52:
	v_subrev_u32_e32 v78, 30, v0
	s_movk_i32 s41, 0x210
	s_mov_b64 s[0:1], 0
.LBB99_53:                              ; =>This Inner Loop Header: Depth=1
	scratch_load_dwordx2 v[80:81], off, s40
	v_mov_b32_e32 v79, s41
	ds_read_b64 v[82:83], v79
	v_add_u32_e32 v78, -1, v78
	s_add_i32 s41, s41, 8
	s_add_i32 s40, s40, 8
	v_cmp_eq_u32_e32 vcc, 0, v78
	s_or_b64 s[0:1], vcc, s[0:1]
	s_waitcnt vmcnt(0) lgkmcnt(0)
	v_fmac_f64_e32 v[76:77], v[80:81], v[82:83]
	s_andn2_b64 exec, exec, s[0:1]
	s_cbranch_execnz .LBB99_53
; %bb.54:
	s_or_b64 exec, exec, s[0:1]
.LBB99_55:
	s_or_b64 exec, exec, s[8:9]
	v_mov_b32_e32 v78, 0
	ds_read_b64 v[78:79], v78 offset:232
	s_waitcnt lgkmcnt(0)
	v_mul_f64 v[76:77], v[76:77], v[78:79]
	scratch_store_dwordx2 off, v[76:77], off offset:232
.LBB99_56:
	s_or_b64 exec, exec, s[4:5]
	scratch_load_dwordx2 v[76:77], off, off offset:224
	v_cmp_lt_u32_e64 s[0:1], 28, v0
	s_waitcnt vmcnt(0)
	ds_write_b64 v1, v[76:77]
	s_waitcnt lgkmcnt(0)
	; wave barrier
	s_and_saveexec_b64 s[4:5], s[0:1]
	s_cbranch_execz .LBB99_66
; %bb.57:
	s_andn2_b64 vcc, exec, s[6:7]
	s_cbranch_vccnz .LBB99_59
; %bb.58:
	scratch_load_dwordx2 v[76:77], v19, off
	ds_read_b64 v[78:79], v1
	s_waitcnt vmcnt(0) lgkmcnt(0)
	v_mul_f64 v[76:77], v[76:77], v[78:79]
	s_cbranch_execz .LBB99_60
	s_branch .LBB99_61
.LBB99_59:
                                        ; implicit-def: $vgpr76_vgpr77
.LBB99_60:
	ds_read_b64 v[76:77], v1
.LBB99_61:
	s_and_saveexec_b64 s[8:9], s[2:3]
	s_cbranch_execz .LBB99_65
; %bb.62:
	v_subrev_u32_e32 v78, 29, v0
	s_movk_i32 s40, 0x208
	s_mov_b64 s[2:3], 0
.LBB99_63:                              ; =>This Inner Loop Header: Depth=1
	scratch_load_dwordx2 v[80:81], off, s39
	v_mov_b32_e32 v79, s40
	ds_read_b64 v[82:83], v79
	v_add_u32_e32 v78, -1, v78
	s_add_i32 s40, s40, 8
	s_add_i32 s39, s39, 8
	v_cmp_eq_u32_e32 vcc, 0, v78
	s_or_b64 s[2:3], vcc, s[2:3]
	s_waitcnt vmcnt(0) lgkmcnt(0)
	v_fmac_f64_e32 v[76:77], v[80:81], v[82:83]
	s_andn2_b64 exec, exec, s[2:3]
	s_cbranch_execnz .LBB99_63
; %bb.64:
	s_or_b64 exec, exec, s[2:3]
.LBB99_65:
	s_or_b64 exec, exec, s[8:9]
	v_mov_b32_e32 v78, 0
	ds_read_b64 v[78:79], v78 offset:224
	s_waitcnt lgkmcnt(0)
	v_mul_f64 v[76:77], v[76:77], v[78:79]
	scratch_store_dwordx2 off, v[76:77], off offset:224
.LBB99_66:
	s_or_b64 exec, exec, s[4:5]
	scratch_load_dwordx2 v[76:77], off, off offset:216
	v_cmp_lt_u32_e64 s[2:3], 27, v0
	s_waitcnt vmcnt(0)
	ds_write_b64 v1, v[76:77]
	s_waitcnt lgkmcnt(0)
	; wave barrier
	s_and_saveexec_b64 s[4:5], s[2:3]
	s_cbranch_execz .LBB99_76
; %bb.67:
	s_andn2_b64 vcc, exec, s[6:7]
	s_cbranch_vccnz .LBB99_69
; %bb.68:
	scratch_load_dwordx2 v[76:77], v19, off
	ds_read_b64 v[78:79], v1
	s_waitcnt vmcnt(0) lgkmcnt(0)
	v_mul_f64 v[76:77], v[76:77], v[78:79]
	s_cbranch_execz .LBB99_70
	s_branch .LBB99_71
.LBB99_69:
                                        ; implicit-def: $vgpr76_vgpr77
.LBB99_70:
	ds_read_b64 v[76:77], v1
.LBB99_71:
	s_and_saveexec_b64 s[8:9], s[0:1]
	s_cbranch_execz .LBB99_75
; %bb.72:
	v_subrev_u32_e32 v78, 28, v0
	s_movk_i32 s39, 0x200
	s_mov_b64 s[0:1], 0
.LBB99_73:                              ; =>This Inner Loop Header: Depth=1
	scratch_load_dwordx2 v[80:81], off, s38
	v_mov_b32_e32 v79, s39
	ds_read_b64 v[82:83], v79
	v_add_u32_e32 v78, -1, v78
	s_add_i32 s39, s39, 8
	s_add_i32 s38, s38, 8
	v_cmp_eq_u32_e32 vcc, 0, v78
	s_or_b64 s[0:1], vcc, s[0:1]
	s_waitcnt vmcnt(0) lgkmcnt(0)
	v_fmac_f64_e32 v[76:77], v[80:81], v[82:83]
	s_andn2_b64 exec, exec, s[0:1]
	s_cbranch_execnz .LBB99_73
; %bb.74:
	s_or_b64 exec, exec, s[0:1]
.LBB99_75:
	s_or_b64 exec, exec, s[8:9]
	v_mov_b32_e32 v78, 0
	ds_read_b64 v[78:79], v78 offset:216
	s_waitcnt lgkmcnt(0)
	v_mul_f64 v[76:77], v[76:77], v[78:79]
	scratch_store_dwordx2 off, v[76:77], off offset:216
.LBB99_76:
	s_or_b64 exec, exec, s[4:5]
	scratch_load_dwordx2 v[76:77], off, off offset:208
	v_cmp_lt_u32_e64 s[0:1], 26, v0
	s_waitcnt vmcnt(0)
	ds_write_b64 v1, v[76:77]
	s_waitcnt lgkmcnt(0)
	; wave barrier
	s_and_saveexec_b64 s[4:5], s[0:1]
	s_cbranch_execz .LBB99_86
; %bb.77:
	s_andn2_b64 vcc, exec, s[6:7]
	s_cbranch_vccnz .LBB99_79
; %bb.78:
	scratch_load_dwordx2 v[76:77], v19, off
	ds_read_b64 v[78:79], v1
	s_waitcnt vmcnt(0) lgkmcnt(0)
	v_mul_f64 v[76:77], v[76:77], v[78:79]
	s_cbranch_execz .LBB99_80
	s_branch .LBB99_81
.LBB99_79:
                                        ; implicit-def: $vgpr76_vgpr77
.LBB99_80:
	ds_read_b64 v[76:77], v1
.LBB99_81:
	s_and_saveexec_b64 s[8:9], s[2:3]
	s_cbranch_execz .LBB99_85
; %bb.82:
	v_subrev_u32_e32 v78, 27, v0
	s_movk_i32 s38, 0x1f8
	s_mov_b64 s[2:3], 0
.LBB99_83:                              ; =>This Inner Loop Header: Depth=1
	scratch_load_dwordx2 v[80:81], off, s37
	v_mov_b32_e32 v79, s38
	ds_read_b64 v[82:83], v79
	v_add_u32_e32 v78, -1, v78
	s_add_i32 s38, s38, 8
	s_add_i32 s37, s37, 8
	v_cmp_eq_u32_e32 vcc, 0, v78
	s_or_b64 s[2:3], vcc, s[2:3]
	s_waitcnt vmcnt(0) lgkmcnt(0)
	v_fmac_f64_e32 v[76:77], v[80:81], v[82:83]
	s_andn2_b64 exec, exec, s[2:3]
	s_cbranch_execnz .LBB99_83
; %bb.84:
	s_or_b64 exec, exec, s[2:3]
.LBB99_85:
	s_or_b64 exec, exec, s[8:9]
	v_mov_b32_e32 v78, 0
	ds_read_b64 v[78:79], v78 offset:208
	s_waitcnt lgkmcnt(0)
	v_mul_f64 v[76:77], v[76:77], v[78:79]
	scratch_store_dwordx2 off, v[76:77], off offset:208
.LBB99_86:
	s_or_b64 exec, exec, s[4:5]
	scratch_load_dwordx2 v[76:77], off, off offset:200
	v_cmp_lt_u32_e64 s[2:3], 25, v0
	s_waitcnt vmcnt(0)
	ds_write_b64 v1, v[76:77]
	s_waitcnt lgkmcnt(0)
	; wave barrier
	s_and_saveexec_b64 s[4:5], s[2:3]
	s_cbranch_execz .LBB99_96
; %bb.87:
	s_andn2_b64 vcc, exec, s[6:7]
	s_cbranch_vccnz .LBB99_89
; %bb.88:
	scratch_load_dwordx2 v[76:77], v19, off
	ds_read_b64 v[78:79], v1
	s_waitcnt vmcnt(0) lgkmcnt(0)
	v_mul_f64 v[76:77], v[76:77], v[78:79]
	s_cbranch_execz .LBB99_90
	s_branch .LBB99_91
.LBB99_89:
                                        ; implicit-def: $vgpr76_vgpr77
.LBB99_90:
	ds_read_b64 v[76:77], v1
.LBB99_91:
	s_and_saveexec_b64 s[8:9], s[0:1]
	s_cbranch_execz .LBB99_95
; %bb.92:
	v_subrev_u32_e32 v78, 26, v0
	s_movk_i32 s37, 0x1f0
	s_mov_b64 s[0:1], 0
.LBB99_93:                              ; =>This Inner Loop Header: Depth=1
	scratch_load_dwordx2 v[80:81], off, s36
	v_mov_b32_e32 v79, s37
	ds_read_b64 v[82:83], v79
	v_add_u32_e32 v78, -1, v78
	s_add_i32 s37, s37, 8
	s_add_i32 s36, s36, 8
	v_cmp_eq_u32_e32 vcc, 0, v78
	s_or_b64 s[0:1], vcc, s[0:1]
	s_waitcnt vmcnt(0) lgkmcnt(0)
	v_fmac_f64_e32 v[76:77], v[80:81], v[82:83]
	s_andn2_b64 exec, exec, s[0:1]
	s_cbranch_execnz .LBB99_93
; %bb.94:
	s_or_b64 exec, exec, s[0:1]
.LBB99_95:
	s_or_b64 exec, exec, s[8:9]
	v_mov_b32_e32 v78, 0
	ds_read_b64 v[78:79], v78 offset:200
	s_waitcnt lgkmcnt(0)
	v_mul_f64 v[76:77], v[76:77], v[78:79]
	scratch_store_dwordx2 off, v[76:77], off offset:200
.LBB99_96:
	s_or_b64 exec, exec, s[4:5]
	scratch_load_dwordx2 v[76:77], off, off offset:192
	v_cmp_lt_u32_e64 s[0:1], 24, v0
	s_waitcnt vmcnt(0)
	ds_write_b64 v1, v[76:77]
	s_waitcnt lgkmcnt(0)
	; wave barrier
	s_and_saveexec_b64 s[4:5], s[0:1]
	s_cbranch_execz .LBB99_106
; %bb.97:
	s_andn2_b64 vcc, exec, s[6:7]
	s_cbranch_vccnz .LBB99_99
; %bb.98:
	scratch_load_dwordx2 v[76:77], v19, off
	ds_read_b64 v[78:79], v1
	s_waitcnt vmcnt(0) lgkmcnt(0)
	v_mul_f64 v[76:77], v[76:77], v[78:79]
	s_cbranch_execz .LBB99_100
	s_branch .LBB99_101
.LBB99_99:
                                        ; implicit-def: $vgpr76_vgpr77
.LBB99_100:
	ds_read_b64 v[76:77], v1
.LBB99_101:
	s_and_saveexec_b64 s[8:9], s[2:3]
	s_cbranch_execz .LBB99_105
; %bb.102:
	v_subrev_u32_e32 v78, 25, v0
	s_movk_i32 s36, 0x1e8
	s_mov_b64 s[2:3], 0
.LBB99_103:                             ; =>This Inner Loop Header: Depth=1
	scratch_load_dwordx2 v[80:81], off, s35
	v_mov_b32_e32 v79, s36
	ds_read_b64 v[82:83], v79
	v_add_u32_e32 v78, -1, v78
	s_add_i32 s36, s36, 8
	s_add_i32 s35, s35, 8
	v_cmp_eq_u32_e32 vcc, 0, v78
	s_or_b64 s[2:3], vcc, s[2:3]
	s_waitcnt vmcnt(0) lgkmcnt(0)
	v_fmac_f64_e32 v[76:77], v[80:81], v[82:83]
	s_andn2_b64 exec, exec, s[2:3]
	s_cbranch_execnz .LBB99_103
; %bb.104:
	s_or_b64 exec, exec, s[2:3]
.LBB99_105:
	s_or_b64 exec, exec, s[8:9]
	v_mov_b32_e32 v78, 0
	ds_read_b64 v[78:79], v78 offset:192
	s_waitcnt lgkmcnt(0)
	v_mul_f64 v[76:77], v[76:77], v[78:79]
	scratch_store_dwordx2 off, v[76:77], off offset:192
.LBB99_106:
	s_or_b64 exec, exec, s[4:5]
	scratch_load_dwordx2 v[76:77], off, off offset:184
	v_cmp_lt_u32_e64 s[2:3], 23, v0
	s_waitcnt vmcnt(0)
	ds_write_b64 v1, v[76:77]
	s_waitcnt lgkmcnt(0)
	; wave barrier
	s_and_saveexec_b64 s[4:5], s[2:3]
	s_cbranch_execz .LBB99_116
; %bb.107:
	s_andn2_b64 vcc, exec, s[6:7]
	s_cbranch_vccnz .LBB99_109
; %bb.108:
	scratch_load_dwordx2 v[76:77], v19, off
	ds_read_b64 v[78:79], v1
	s_waitcnt vmcnt(0) lgkmcnt(0)
	v_mul_f64 v[76:77], v[76:77], v[78:79]
	s_cbranch_execz .LBB99_110
	s_branch .LBB99_111
.LBB99_109:
                                        ; implicit-def: $vgpr76_vgpr77
.LBB99_110:
	ds_read_b64 v[76:77], v1
.LBB99_111:
	s_and_saveexec_b64 s[8:9], s[0:1]
	s_cbranch_execz .LBB99_115
; %bb.112:
	v_subrev_u32_e32 v78, 24, v0
	s_movk_i32 s35, 0x1e0
	s_mov_b64 s[0:1], 0
.LBB99_113:                             ; =>This Inner Loop Header: Depth=1
	scratch_load_dwordx2 v[80:81], off, s34
	v_mov_b32_e32 v79, s35
	ds_read_b64 v[82:83], v79
	v_add_u32_e32 v78, -1, v78
	s_add_i32 s35, s35, 8
	s_add_i32 s34, s34, 8
	v_cmp_eq_u32_e32 vcc, 0, v78
	s_or_b64 s[0:1], vcc, s[0:1]
	s_waitcnt vmcnt(0) lgkmcnt(0)
	v_fmac_f64_e32 v[76:77], v[80:81], v[82:83]
	s_andn2_b64 exec, exec, s[0:1]
	s_cbranch_execnz .LBB99_113
; %bb.114:
	s_or_b64 exec, exec, s[0:1]
.LBB99_115:
	s_or_b64 exec, exec, s[8:9]
	v_mov_b32_e32 v78, 0
	ds_read_b64 v[78:79], v78 offset:184
	s_waitcnt lgkmcnt(0)
	v_mul_f64 v[76:77], v[76:77], v[78:79]
	scratch_store_dwordx2 off, v[76:77], off offset:184
.LBB99_116:
	;; [unrolled: 53-line block ×9, first 2 shown]
	s_or_b64 exec, exec, s[4:5]
	scratch_load_dwordx2 v[76:77], off, off offset:120
	v_cmp_lt_u32_e64 s[2:3], 15, v0
	s_waitcnt vmcnt(0)
	ds_write_b64 v1, v[76:77]
	s_waitcnt lgkmcnt(0)
	; wave barrier
	s_and_saveexec_b64 s[4:5], s[2:3]
	s_cbranch_execz .LBB99_196
; %bb.187:
	s_andn2_b64 vcc, exec, s[6:7]
	s_cbranch_vccnz .LBB99_189
; %bb.188:
	scratch_load_dwordx2 v[76:77], v19, off
	ds_read_b64 v[78:79], v1
	s_waitcnt vmcnt(0) lgkmcnt(0)
	v_mul_f64 v[76:77], v[76:77], v[78:79]
	s_cbranch_execz .LBB99_190
	s_branch .LBB99_191
.LBB99_189:
                                        ; implicit-def: $vgpr76_vgpr77
.LBB99_190:
	ds_read_b64 v[76:77], v1
.LBB99_191:
	s_and_saveexec_b64 s[8:9], s[0:1]
	s_cbranch_execz .LBB99_195
; %bb.192:
	v_add_u32_e32 v78, -16, v0
	s_movk_i32 s26, 0x1a0
	s_mov_b64 s[0:1], 0
.LBB99_193:                             ; =>This Inner Loop Header: Depth=1
	scratch_load_dwordx2 v[80:81], off, s25
	v_mov_b32_e32 v79, s26
	ds_read_b64 v[82:83], v79
	v_add_u32_e32 v78, -1, v78
	s_add_i32 s26, s26, 8
	s_add_i32 s25, s25, 8
	v_cmp_eq_u32_e32 vcc, 0, v78
	s_or_b64 s[0:1], vcc, s[0:1]
	s_waitcnt vmcnt(0) lgkmcnt(0)
	v_fmac_f64_e32 v[76:77], v[80:81], v[82:83]
	s_andn2_b64 exec, exec, s[0:1]
	s_cbranch_execnz .LBB99_193
; %bb.194:
	s_or_b64 exec, exec, s[0:1]
.LBB99_195:
	s_or_b64 exec, exec, s[8:9]
	v_mov_b32_e32 v78, 0
	ds_read_b64 v[78:79], v78 offset:120
	s_waitcnt lgkmcnt(0)
	v_mul_f64 v[76:77], v[76:77], v[78:79]
	scratch_store_dwordx2 off, v[76:77], off offset:120
.LBB99_196:
	s_or_b64 exec, exec, s[4:5]
	scratch_load_dwordx2 v[76:77], off, off offset:112
	v_cmp_lt_u32_e64 s[0:1], 14, v0
	s_waitcnt vmcnt(0)
	ds_write_b64 v1, v[76:77]
	s_waitcnt lgkmcnt(0)
	; wave barrier
	s_and_saveexec_b64 s[4:5], s[0:1]
	s_cbranch_execz .LBB99_206
; %bb.197:
	s_andn2_b64 vcc, exec, s[6:7]
	s_cbranch_vccnz .LBB99_199
; %bb.198:
	scratch_load_dwordx2 v[76:77], v19, off
	ds_read_b64 v[78:79], v1
	s_waitcnt vmcnt(0) lgkmcnt(0)
	v_mul_f64 v[76:77], v[76:77], v[78:79]
	s_cbranch_execz .LBB99_200
	s_branch .LBB99_201
.LBB99_199:
                                        ; implicit-def: $vgpr76_vgpr77
.LBB99_200:
	ds_read_b64 v[76:77], v1
.LBB99_201:
	s_and_saveexec_b64 s[8:9], s[2:3]
	s_cbranch_execz .LBB99_205
; %bb.202:
	v_add_u32_e32 v78, -15, v0
	s_movk_i32 s25, 0x198
	s_mov_b64 s[2:3], 0
.LBB99_203:                             ; =>This Inner Loop Header: Depth=1
	scratch_load_dwordx2 v[80:81], off, s24
	v_mov_b32_e32 v79, s25
	ds_read_b64 v[82:83], v79
	v_add_u32_e32 v78, -1, v78
	s_add_i32 s25, s25, 8
	s_add_i32 s24, s24, 8
	v_cmp_eq_u32_e32 vcc, 0, v78
	s_or_b64 s[2:3], vcc, s[2:3]
	s_waitcnt vmcnt(0) lgkmcnt(0)
	v_fmac_f64_e32 v[76:77], v[80:81], v[82:83]
	s_andn2_b64 exec, exec, s[2:3]
	s_cbranch_execnz .LBB99_203
; %bb.204:
	s_or_b64 exec, exec, s[2:3]
.LBB99_205:
	s_or_b64 exec, exec, s[8:9]
	v_mov_b32_e32 v78, 0
	ds_read_b64 v[78:79], v78 offset:112
	s_waitcnt lgkmcnt(0)
	v_mul_f64 v[76:77], v[76:77], v[78:79]
	scratch_store_dwordx2 off, v[76:77], off offset:112
.LBB99_206:
	s_or_b64 exec, exec, s[4:5]
	scratch_load_dwordx2 v[76:77], off, off offset:104
	v_cmp_lt_u32_e64 s[2:3], 13, v0
	s_waitcnt vmcnt(0)
	ds_write_b64 v1, v[76:77]
	s_waitcnt lgkmcnt(0)
	; wave barrier
	s_and_saveexec_b64 s[4:5], s[2:3]
	s_cbranch_execz .LBB99_216
; %bb.207:
	s_andn2_b64 vcc, exec, s[6:7]
	s_cbranch_vccnz .LBB99_209
; %bb.208:
	scratch_load_dwordx2 v[76:77], v19, off
	ds_read_b64 v[78:79], v1
	s_waitcnt vmcnt(0) lgkmcnt(0)
	v_mul_f64 v[76:77], v[76:77], v[78:79]
	s_cbranch_execz .LBB99_210
	s_branch .LBB99_211
.LBB99_209:
                                        ; implicit-def: $vgpr76_vgpr77
.LBB99_210:
	ds_read_b64 v[76:77], v1
.LBB99_211:
	s_and_saveexec_b64 s[8:9], s[0:1]
	s_cbranch_execz .LBB99_215
; %bb.212:
	v_add_u32_e32 v78, -14, v0
	s_movk_i32 s24, 0x190
	s_mov_b64 s[0:1], 0
.LBB99_213:                             ; =>This Inner Loop Header: Depth=1
	scratch_load_dwordx2 v[80:81], off, s23
	v_mov_b32_e32 v79, s24
	ds_read_b64 v[82:83], v79
	v_add_u32_e32 v78, -1, v78
	s_add_i32 s24, s24, 8
	s_add_i32 s23, s23, 8
	v_cmp_eq_u32_e32 vcc, 0, v78
	s_or_b64 s[0:1], vcc, s[0:1]
	s_waitcnt vmcnt(0) lgkmcnt(0)
	v_fmac_f64_e32 v[76:77], v[80:81], v[82:83]
	s_andn2_b64 exec, exec, s[0:1]
	s_cbranch_execnz .LBB99_213
; %bb.214:
	s_or_b64 exec, exec, s[0:1]
.LBB99_215:
	s_or_b64 exec, exec, s[8:9]
	v_mov_b32_e32 v78, 0
	ds_read_b64 v[78:79], v78 offset:104
	s_waitcnt lgkmcnt(0)
	v_mul_f64 v[76:77], v[76:77], v[78:79]
	scratch_store_dwordx2 off, v[76:77], off offset:104
.LBB99_216:
	s_or_b64 exec, exec, s[4:5]
	scratch_load_dwordx2 v[76:77], off, off offset:96
	v_cmp_lt_u32_e64 s[0:1], 12, v0
	s_waitcnt vmcnt(0)
	ds_write_b64 v1, v[76:77]
	s_waitcnt lgkmcnt(0)
	; wave barrier
	s_and_saveexec_b64 s[4:5], s[0:1]
	s_cbranch_execz .LBB99_226
; %bb.217:
	s_andn2_b64 vcc, exec, s[6:7]
	s_cbranch_vccnz .LBB99_219
; %bb.218:
	scratch_load_dwordx2 v[76:77], v19, off
	ds_read_b64 v[78:79], v1
	s_waitcnt vmcnt(0) lgkmcnt(0)
	v_mul_f64 v[76:77], v[76:77], v[78:79]
	s_cbranch_execz .LBB99_220
	s_branch .LBB99_221
.LBB99_219:
                                        ; implicit-def: $vgpr76_vgpr77
.LBB99_220:
	ds_read_b64 v[76:77], v1
.LBB99_221:
	s_and_saveexec_b64 s[8:9], s[2:3]
	s_cbranch_execz .LBB99_225
; %bb.222:
	v_add_u32_e32 v78, -13, v0
	s_movk_i32 s23, 0x188
	s_mov_b64 s[2:3], 0
.LBB99_223:                             ; =>This Inner Loop Header: Depth=1
	scratch_load_dwordx2 v[80:81], off, s22
	v_mov_b32_e32 v79, s23
	ds_read_b64 v[82:83], v79
	v_add_u32_e32 v78, -1, v78
	s_add_i32 s23, s23, 8
	s_add_i32 s22, s22, 8
	v_cmp_eq_u32_e32 vcc, 0, v78
	s_or_b64 s[2:3], vcc, s[2:3]
	s_waitcnt vmcnt(0) lgkmcnt(0)
	v_fmac_f64_e32 v[76:77], v[80:81], v[82:83]
	s_andn2_b64 exec, exec, s[2:3]
	s_cbranch_execnz .LBB99_223
; %bb.224:
	s_or_b64 exec, exec, s[2:3]
.LBB99_225:
	s_or_b64 exec, exec, s[8:9]
	v_mov_b32_e32 v78, 0
	ds_read_b64 v[78:79], v78 offset:96
	s_waitcnt lgkmcnt(0)
	v_mul_f64 v[76:77], v[76:77], v[78:79]
	scratch_store_dwordx2 off, v[76:77], off offset:96
.LBB99_226:
	s_or_b64 exec, exec, s[4:5]
	scratch_load_dwordx2 v[76:77], off, off offset:88
	v_cmp_lt_u32_e64 s[2:3], 11, v0
	s_waitcnt vmcnt(0)
	ds_write_b64 v1, v[76:77]
	s_waitcnt lgkmcnt(0)
	; wave barrier
	s_and_saveexec_b64 s[4:5], s[2:3]
	s_cbranch_execz .LBB99_236
; %bb.227:
	s_andn2_b64 vcc, exec, s[6:7]
	s_cbranch_vccnz .LBB99_229
; %bb.228:
	scratch_load_dwordx2 v[76:77], v19, off
	ds_read_b64 v[78:79], v1
	s_waitcnt vmcnt(0) lgkmcnt(0)
	v_mul_f64 v[76:77], v[76:77], v[78:79]
	s_cbranch_execz .LBB99_230
	s_branch .LBB99_231
.LBB99_229:
                                        ; implicit-def: $vgpr76_vgpr77
.LBB99_230:
	ds_read_b64 v[76:77], v1
.LBB99_231:
	s_and_saveexec_b64 s[8:9], s[0:1]
	s_cbranch_execz .LBB99_235
; %bb.232:
	v_add_u32_e32 v78, -12, v0
	s_movk_i32 s22, 0x180
	s_mov_b64 s[0:1], 0
.LBB99_233:                             ; =>This Inner Loop Header: Depth=1
	scratch_load_dwordx2 v[80:81], off, s21
	v_mov_b32_e32 v79, s22
	ds_read_b64 v[82:83], v79
	v_add_u32_e32 v78, -1, v78
	s_add_i32 s22, s22, 8
	s_add_i32 s21, s21, 8
	v_cmp_eq_u32_e32 vcc, 0, v78
	s_or_b64 s[0:1], vcc, s[0:1]
	s_waitcnt vmcnt(0) lgkmcnt(0)
	v_fmac_f64_e32 v[76:77], v[80:81], v[82:83]
	s_andn2_b64 exec, exec, s[0:1]
	s_cbranch_execnz .LBB99_233
; %bb.234:
	s_or_b64 exec, exec, s[0:1]
.LBB99_235:
	s_or_b64 exec, exec, s[8:9]
	v_mov_b32_e32 v78, 0
	ds_read_b64 v[78:79], v78 offset:88
	s_waitcnt lgkmcnt(0)
	v_mul_f64 v[76:77], v[76:77], v[78:79]
	scratch_store_dwordx2 off, v[76:77], off offset:88
.LBB99_236:
	s_or_b64 exec, exec, s[4:5]
	scratch_load_dwordx2 v[76:77], off, off offset:80
	v_cmp_lt_u32_e64 s[0:1], 10, v0
	s_waitcnt vmcnt(0)
	ds_write_b64 v1, v[76:77]
	s_waitcnt lgkmcnt(0)
	; wave barrier
	s_and_saveexec_b64 s[4:5], s[0:1]
	s_cbranch_execz .LBB99_246
; %bb.237:
	s_andn2_b64 vcc, exec, s[6:7]
	s_cbranch_vccnz .LBB99_239
; %bb.238:
	scratch_load_dwordx2 v[76:77], v19, off
	ds_read_b64 v[78:79], v1
	s_waitcnt vmcnt(0) lgkmcnt(0)
	v_mul_f64 v[76:77], v[76:77], v[78:79]
	s_cbranch_execz .LBB99_240
	s_branch .LBB99_241
.LBB99_239:
                                        ; implicit-def: $vgpr76_vgpr77
.LBB99_240:
	ds_read_b64 v[76:77], v1
.LBB99_241:
	s_and_saveexec_b64 s[8:9], s[2:3]
	s_cbranch_execz .LBB99_245
; %bb.242:
	v_add_u32_e32 v78, -11, v0
	s_movk_i32 s21, 0x178
	s_mov_b64 s[2:3], 0
.LBB99_243:                             ; =>This Inner Loop Header: Depth=1
	scratch_load_dwordx2 v[80:81], off, s20
	v_mov_b32_e32 v79, s21
	ds_read_b64 v[82:83], v79
	v_add_u32_e32 v78, -1, v78
	s_add_i32 s21, s21, 8
	s_add_i32 s20, s20, 8
	v_cmp_eq_u32_e32 vcc, 0, v78
	s_or_b64 s[2:3], vcc, s[2:3]
	s_waitcnt vmcnt(0) lgkmcnt(0)
	v_fmac_f64_e32 v[76:77], v[80:81], v[82:83]
	s_andn2_b64 exec, exec, s[2:3]
	s_cbranch_execnz .LBB99_243
; %bb.244:
	s_or_b64 exec, exec, s[2:3]
.LBB99_245:
	s_or_b64 exec, exec, s[8:9]
	v_mov_b32_e32 v78, 0
	ds_read_b64 v[78:79], v78 offset:80
	s_waitcnt lgkmcnt(0)
	v_mul_f64 v[76:77], v[76:77], v[78:79]
	scratch_store_dwordx2 off, v[76:77], off offset:80
.LBB99_246:
	s_or_b64 exec, exec, s[4:5]
	scratch_load_dwordx2 v[76:77], off, off offset:72
	v_cmp_lt_u32_e64 s[2:3], 9, v0
	s_waitcnt vmcnt(0)
	ds_write_b64 v1, v[76:77]
	s_waitcnt lgkmcnt(0)
	; wave barrier
	s_and_saveexec_b64 s[4:5], s[2:3]
	s_cbranch_execz .LBB99_256
; %bb.247:
	s_andn2_b64 vcc, exec, s[6:7]
	s_cbranch_vccnz .LBB99_249
; %bb.248:
	scratch_load_dwordx2 v[76:77], v19, off
	ds_read_b64 v[78:79], v1
	s_waitcnt vmcnt(0) lgkmcnt(0)
	v_mul_f64 v[76:77], v[76:77], v[78:79]
	s_cbranch_execz .LBB99_250
	s_branch .LBB99_251
.LBB99_249:
                                        ; implicit-def: $vgpr76_vgpr77
.LBB99_250:
	ds_read_b64 v[76:77], v1
.LBB99_251:
	s_and_saveexec_b64 s[8:9], s[0:1]
	s_cbranch_execz .LBB99_255
; %bb.252:
	v_add_u32_e32 v78, -10, v0
	s_movk_i32 s20, 0x170
	s_mov_b64 s[0:1], 0
.LBB99_253:                             ; =>This Inner Loop Header: Depth=1
	scratch_load_dwordx2 v[80:81], off, s19
	v_mov_b32_e32 v79, s20
	ds_read_b64 v[82:83], v79
	v_add_u32_e32 v78, -1, v78
	s_add_i32 s20, s20, 8
	s_add_i32 s19, s19, 8
	v_cmp_eq_u32_e32 vcc, 0, v78
	s_or_b64 s[0:1], vcc, s[0:1]
	s_waitcnt vmcnt(0) lgkmcnt(0)
	v_fmac_f64_e32 v[76:77], v[80:81], v[82:83]
	s_andn2_b64 exec, exec, s[0:1]
	s_cbranch_execnz .LBB99_253
; %bb.254:
	s_or_b64 exec, exec, s[0:1]
.LBB99_255:
	s_or_b64 exec, exec, s[8:9]
	v_mov_b32_e32 v78, 0
	ds_read_b64 v[78:79], v78 offset:72
	s_waitcnt lgkmcnt(0)
	v_mul_f64 v[76:77], v[76:77], v[78:79]
	scratch_store_dwordx2 off, v[76:77], off offset:72
.LBB99_256:
	s_or_b64 exec, exec, s[4:5]
	scratch_load_dwordx2 v[76:77], off, off offset:64
	v_cmp_lt_u32_e64 s[0:1], 8, v0
	s_waitcnt vmcnt(0)
	ds_write_b64 v1, v[76:77]
	s_waitcnt lgkmcnt(0)
	; wave barrier
	s_and_saveexec_b64 s[4:5], s[0:1]
	s_cbranch_execz .LBB99_266
; %bb.257:
	s_andn2_b64 vcc, exec, s[6:7]
	s_cbranch_vccnz .LBB99_259
; %bb.258:
	scratch_load_dwordx2 v[76:77], v19, off
	ds_read_b64 v[78:79], v1
	s_waitcnt vmcnt(0) lgkmcnt(0)
	v_mul_f64 v[76:77], v[76:77], v[78:79]
	s_cbranch_execz .LBB99_260
	s_branch .LBB99_261
.LBB99_259:
                                        ; implicit-def: $vgpr76_vgpr77
.LBB99_260:
	ds_read_b64 v[76:77], v1
.LBB99_261:
	s_and_saveexec_b64 s[8:9], s[2:3]
	s_cbranch_execz .LBB99_265
; %bb.262:
	v_add_u32_e32 v78, -9, v0
	s_movk_i32 s19, 0x168
	s_mov_b64 s[2:3], 0
.LBB99_263:                             ; =>This Inner Loop Header: Depth=1
	scratch_load_dwordx2 v[80:81], off, s18
	v_mov_b32_e32 v79, s19
	ds_read_b64 v[82:83], v79
	v_add_u32_e32 v78, -1, v78
	s_add_i32 s19, s19, 8
	s_add_i32 s18, s18, 8
	v_cmp_eq_u32_e32 vcc, 0, v78
	s_or_b64 s[2:3], vcc, s[2:3]
	s_waitcnt vmcnt(0) lgkmcnt(0)
	v_fmac_f64_e32 v[76:77], v[80:81], v[82:83]
	s_andn2_b64 exec, exec, s[2:3]
	s_cbranch_execnz .LBB99_263
; %bb.264:
	s_or_b64 exec, exec, s[2:3]
.LBB99_265:
	s_or_b64 exec, exec, s[8:9]
	v_mov_b32_e32 v78, 0
	ds_read_b64 v[78:79], v78 offset:64
	s_waitcnt lgkmcnt(0)
	v_mul_f64 v[76:77], v[76:77], v[78:79]
	scratch_store_dwordx2 off, v[76:77], off offset:64
.LBB99_266:
	s_or_b64 exec, exec, s[4:5]
	scratch_load_dwordx2 v[76:77], off, off offset:56
	v_cmp_lt_u32_e64 s[2:3], 7, v0
	s_waitcnt vmcnt(0)
	ds_write_b64 v1, v[76:77]
	s_waitcnt lgkmcnt(0)
	; wave barrier
	s_and_saveexec_b64 s[4:5], s[2:3]
	s_cbranch_execz .LBB99_276
; %bb.267:
	s_andn2_b64 vcc, exec, s[6:7]
	s_cbranch_vccnz .LBB99_269
; %bb.268:
	scratch_load_dwordx2 v[76:77], v19, off
	ds_read_b64 v[78:79], v1
	s_waitcnt vmcnt(0) lgkmcnt(0)
	v_mul_f64 v[76:77], v[76:77], v[78:79]
	s_cbranch_execz .LBB99_270
	s_branch .LBB99_271
.LBB99_269:
                                        ; implicit-def: $vgpr76_vgpr77
.LBB99_270:
	ds_read_b64 v[76:77], v1
.LBB99_271:
	s_and_saveexec_b64 s[8:9], s[0:1]
	s_cbranch_execz .LBB99_275
; %bb.272:
	v_add_u32_e32 v78, -8, v0
	s_movk_i32 s18, 0x160
	s_mov_b64 s[0:1], 0
.LBB99_273:                             ; =>This Inner Loop Header: Depth=1
	scratch_load_dwordx2 v[80:81], off, s17
	v_mov_b32_e32 v79, s18
	ds_read_b64 v[82:83], v79
	v_add_u32_e32 v78, -1, v78
	s_add_i32 s18, s18, 8
	s_add_i32 s17, s17, 8
	v_cmp_eq_u32_e32 vcc, 0, v78
	s_or_b64 s[0:1], vcc, s[0:1]
	s_waitcnt vmcnt(0) lgkmcnt(0)
	v_fmac_f64_e32 v[76:77], v[80:81], v[82:83]
	s_andn2_b64 exec, exec, s[0:1]
	s_cbranch_execnz .LBB99_273
; %bb.274:
	s_or_b64 exec, exec, s[0:1]
.LBB99_275:
	s_or_b64 exec, exec, s[8:9]
	v_mov_b32_e32 v78, 0
	ds_read_b64 v[78:79], v78 offset:56
	s_waitcnt lgkmcnt(0)
	v_mul_f64 v[76:77], v[76:77], v[78:79]
	scratch_store_dwordx2 off, v[76:77], off offset:56
.LBB99_276:
	s_or_b64 exec, exec, s[4:5]
	scratch_load_dwordx2 v[76:77], off, off offset:48
	v_cmp_lt_u32_e64 s[0:1], 6, v0
	s_waitcnt vmcnt(0)
	ds_write_b64 v1, v[76:77]
	s_waitcnt lgkmcnt(0)
	; wave barrier
	s_and_saveexec_b64 s[4:5], s[0:1]
	s_cbranch_execz .LBB99_286
; %bb.277:
	s_andn2_b64 vcc, exec, s[6:7]
	s_cbranch_vccnz .LBB99_279
; %bb.278:
	scratch_load_dwordx2 v[76:77], v19, off
	ds_read_b64 v[78:79], v1
	s_waitcnt vmcnt(0) lgkmcnt(0)
	v_mul_f64 v[76:77], v[76:77], v[78:79]
	s_cbranch_execz .LBB99_280
	s_branch .LBB99_281
.LBB99_279:
                                        ; implicit-def: $vgpr76_vgpr77
.LBB99_280:
	ds_read_b64 v[76:77], v1
.LBB99_281:
	s_and_saveexec_b64 s[8:9], s[2:3]
	s_cbranch_execz .LBB99_285
; %bb.282:
	v_add_u32_e32 v78, -7, v0
	s_movk_i32 s17, 0x158
	s_mov_b64 s[2:3], 0
.LBB99_283:                             ; =>This Inner Loop Header: Depth=1
	scratch_load_dwordx2 v[80:81], off, s16
	v_mov_b32_e32 v79, s17
	ds_read_b64 v[82:83], v79
	v_add_u32_e32 v78, -1, v78
	s_add_i32 s17, s17, 8
	s_add_i32 s16, s16, 8
	v_cmp_eq_u32_e32 vcc, 0, v78
	s_or_b64 s[2:3], vcc, s[2:3]
	s_waitcnt vmcnt(0) lgkmcnt(0)
	v_fmac_f64_e32 v[76:77], v[80:81], v[82:83]
	s_andn2_b64 exec, exec, s[2:3]
	s_cbranch_execnz .LBB99_283
; %bb.284:
	s_or_b64 exec, exec, s[2:3]
.LBB99_285:
	s_or_b64 exec, exec, s[8:9]
	v_mov_b32_e32 v78, 0
	ds_read_b64 v[78:79], v78 offset:48
	s_waitcnt lgkmcnt(0)
	v_mul_f64 v[76:77], v[76:77], v[78:79]
	scratch_store_dwordx2 off, v[76:77], off offset:48
.LBB99_286:
	s_or_b64 exec, exec, s[4:5]
	scratch_load_dwordx2 v[76:77], off, off offset:40
	v_cmp_lt_u32_e64 s[2:3], 5, v0
	s_waitcnt vmcnt(0)
	ds_write_b64 v1, v[76:77]
	s_waitcnt lgkmcnt(0)
	; wave barrier
	s_and_saveexec_b64 s[4:5], s[2:3]
	s_cbranch_execz .LBB99_296
; %bb.287:
	s_andn2_b64 vcc, exec, s[6:7]
	s_cbranch_vccnz .LBB99_289
; %bb.288:
	scratch_load_dwordx2 v[76:77], v19, off
	ds_read_b64 v[78:79], v1
	s_waitcnt vmcnt(0) lgkmcnt(0)
	v_mul_f64 v[76:77], v[76:77], v[78:79]
	s_cbranch_execz .LBB99_290
	s_branch .LBB99_291
.LBB99_289:
                                        ; implicit-def: $vgpr76_vgpr77
.LBB99_290:
	ds_read_b64 v[76:77], v1
.LBB99_291:
	s_and_saveexec_b64 s[8:9], s[0:1]
	s_cbranch_execz .LBB99_295
; %bb.292:
	v_add_u32_e32 v78, -6, v0
	s_movk_i32 s16, 0x150
	s_mov_b64 s[0:1], 0
.LBB99_293:                             ; =>This Inner Loop Header: Depth=1
	scratch_load_dwordx2 v[80:81], off, s15
	v_mov_b32_e32 v79, s16
	ds_read_b64 v[82:83], v79
	v_add_u32_e32 v78, -1, v78
	s_add_i32 s16, s16, 8
	s_add_i32 s15, s15, 8
	v_cmp_eq_u32_e32 vcc, 0, v78
	s_or_b64 s[0:1], vcc, s[0:1]
	s_waitcnt vmcnt(0) lgkmcnt(0)
	v_fmac_f64_e32 v[76:77], v[80:81], v[82:83]
	s_andn2_b64 exec, exec, s[0:1]
	s_cbranch_execnz .LBB99_293
; %bb.294:
	s_or_b64 exec, exec, s[0:1]
.LBB99_295:
	s_or_b64 exec, exec, s[8:9]
	v_mov_b32_e32 v78, 0
	ds_read_b64 v[78:79], v78 offset:40
	s_waitcnt lgkmcnt(0)
	v_mul_f64 v[76:77], v[76:77], v[78:79]
	scratch_store_dwordx2 off, v[76:77], off offset:40
.LBB99_296:
	s_or_b64 exec, exec, s[4:5]
	scratch_load_dwordx2 v[76:77], off, off offset:32
	v_cmp_lt_u32_e64 s[0:1], 4, v0
	s_waitcnt vmcnt(0)
	ds_write_b64 v1, v[76:77]
	s_waitcnt lgkmcnt(0)
	; wave barrier
	s_and_saveexec_b64 s[4:5], s[0:1]
	s_cbranch_execz .LBB99_306
; %bb.297:
	s_andn2_b64 vcc, exec, s[6:7]
	s_cbranch_vccnz .LBB99_299
; %bb.298:
	scratch_load_dwordx2 v[76:77], v19, off
	ds_read_b64 v[78:79], v1
	s_waitcnt vmcnt(0) lgkmcnt(0)
	v_mul_f64 v[76:77], v[76:77], v[78:79]
	s_cbranch_execz .LBB99_300
	s_branch .LBB99_301
.LBB99_299:
                                        ; implicit-def: $vgpr76_vgpr77
.LBB99_300:
	ds_read_b64 v[76:77], v1
.LBB99_301:
	s_and_saveexec_b64 s[8:9], s[2:3]
	s_cbranch_execz .LBB99_305
; %bb.302:
	v_add_u32_e32 v78, -5, v0
	s_movk_i32 s15, 0x148
	s_mov_b64 s[2:3], 0
.LBB99_303:                             ; =>This Inner Loop Header: Depth=1
	scratch_load_dwordx2 v[80:81], off, s14
	v_mov_b32_e32 v79, s15
	ds_read_b64 v[82:83], v79
	v_add_u32_e32 v78, -1, v78
	s_add_i32 s15, s15, 8
	s_add_i32 s14, s14, 8
	v_cmp_eq_u32_e32 vcc, 0, v78
	s_or_b64 s[2:3], vcc, s[2:3]
	s_waitcnt vmcnt(0) lgkmcnt(0)
	v_fmac_f64_e32 v[76:77], v[80:81], v[82:83]
	s_andn2_b64 exec, exec, s[2:3]
	s_cbranch_execnz .LBB99_303
; %bb.304:
	s_or_b64 exec, exec, s[2:3]
.LBB99_305:
	s_or_b64 exec, exec, s[8:9]
	v_mov_b32_e32 v78, 0
	ds_read_b64 v[78:79], v78 offset:32
	s_waitcnt lgkmcnt(0)
	v_mul_f64 v[76:77], v[76:77], v[78:79]
	scratch_store_dwordx2 off, v[76:77], off offset:32
.LBB99_306:
	s_or_b64 exec, exec, s[4:5]
	scratch_load_dwordx2 v[76:77], off, off offset:24
	v_cmp_lt_u32_e64 s[2:3], 3, v0
	s_waitcnt vmcnt(0)
	ds_write_b64 v1, v[76:77]
	s_waitcnt lgkmcnt(0)
	; wave barrier
	s_and_saveexec_b64 s[4:5], s[2:3]
	s_cbranch_execz .LBB99_316
; %bb.307:
	s_andn2_b64 vcc, exec, s[6:7]
	s_cbranch_vccnz .LBB99_309
; %bb.308:
	scratch_load_dwordx2 v[76:77], v19, off
	ds_read_b64 v[78:79], v1
	s_waitcnt vmcnt(0) lgkmcnt(0)
	v_mul_f64 v[76:77], v[76:77], v[78:79]
	s_cbranch_execz .LBB99_310
	s_branch .LBB99_311
.LBB99_309:
                                        ; implicit-def: $vgpr76_vgpr77
.LBB99_310:
	ds_read_b64 v[76:77], v1
.LBB99_311:
	s_and_saveexec_b64 s[8:9], s[0:1]
	s_cbranch_execz .LBB99_315
; %bb.312:
	v_add_u32_e32 v78, -4, v0
	s_movk_i32 s14, 0x140
	s_mov_b64 s[0:1], 0
.LBB99_313:                             ; =>This Inner Loop Header: Depth=1
	scratch_load_dwordx2 v[80:81], off, s13
	v_mov_b32_e32 v79, s14
	ds_read_b64 v[82:83], v79
	v_add_u32_e32 v78, -1, v78
	s_add_i32 s14, s14, 8
	s_add_i32 s13, s13, 8
	v_cmp_eq_u32_e32 vcc, 0, v78
	s_or_b64 s[0:1], vcc, s[0:1]
	s_waitcnt vmcnt(0) lgkmcnt(0)
	v_fmac_f64_e32 v[76:77], v[80:81], v[82:83]
	s_andn2_b64 exec, exec, s[0:1]
	s_cbranch_execnz .LBB99_313
; %bb.314:
	s_or_b64 exec, exec, s[0:1]
.LBB99_315:
	s_or_b64 exec, exec, s[8:9]
	v_mov_b32_e32 v78, 0
	ds_read_b64 v[78:79], v78 offset:24
	s_waitcnt lgkmcnt(0)
	v_mul_f64 v[76:77], v[76:77], v[78:79]
	scratch_store_dwordx2 off, v[76:77], off offset:24
.LBB99_316:
	s_or_b64 exec, exec, s[4:5]
	scratch_load_dwordx2 v[76:77], off, off offset:16
	v_cmp_lt_u32_e64 s[0:1], 2, v0
	s_waitcnt vmcnt(0)
	ds_write_b64 v1, v[76:77]
	s_waitcnt lgkmcnt(0)
	; wave barrier
	s_and_saveexec_b64 s[4:5], s[0:1]
	s_cbranch_execz .LBB99_326
; %bb.317:
	s_andn2_b64 vcc, exec, s[6:7]
	s_cbranch_vccnz .LBB99_319
; %bb.318:
	scratch_load_dwordx2 v[76:77], v19, off
	ds_read_b64 v[78:79], v1
	s_waitcnt vmcnt(0) lgkmcnt(0)
	v_mul_f64 v[76:77], v[76:77], v[78:79]
	s_cbranch_execz .LBB99_320
	s_branch .LBB99_321
.LBB99_319:
                                        ; implicit-def: $vgpr76_vgpr77
.LBB99_320:
	ds_read_b64 v[76:77], v1
.LBB99_321:
	s_and_saveexec_b64 s[8:9], s[2:3]
	s_cbranch_execz .LBB99_325
; %bb.322:
	v_add_u32_e32 v78, -3, v0
	s_movk_i32 s13, 0x138
	s_mov_b64 s[2:3], 0
.LBB99_323:                             ; =>This Inner Loop Header: Depth=1
	scratch_load_dwordx2 v[80:81], off, s12
	v_mov_b32_e32 v79, s13
	ds_read_b64 v[82:83], v79
	v_add_u32_e32 v78, -1, v78
	s_add_i32 s13, s13, 8
	s_add_i32 s12, s12, 8
	v_cmp_eq_u32_e32 vcc, 0, v78
	s_or_b64 s[2:3], vcc, s[2:3]
	s_waitcnt vmcnt(0) lgkmcnt(0)
	v_fmac_f64_e32 v[76:77], v[80:81], v[82:83]
	s_andn2_b64 exec, exec, s[2:3]
	s_cbranch_execnz .LBB99_323
; %bb.324:
	s_or_b64 exec, exec, s[2:3]
.LBB99_325:
	s_or_b64 exec, exec, s[8:9]
	v_mov_b32_e32 v78, 0
	ds_read_b64 v[78:79], v78 offset:16
	s_waitcnt lgkmcnt(0)
	v_mul_f64 v[76:77], v[76:77], v[78:79]
	scratch_store_dwordx2 off, v[76:77], off offset:16
.LBB99_326:
	s_or_b64 exec, exec, s[4:5]
	scratch_load_dwordx2 v[76:77], off, off offset:8
	v_cmp_lt_u32_e64 s[2:3], 1, v0
	s_waitcnt vmcnt(0)
	ds_write_b64 v1, v[76:77]
	s_waitcnt lgkmcnt(0)
	; wave barrier
	s_and_saveexec_b64 s[4:5], s[2:3]
	s_cbranch_execz .LBB99_336
; %bb.327:
	s_andn2_b64 vcc, exec, s[6:7]
	s_cbranch_vccnz .LBB99_329
; %bb.328:
	scratch_load_dwordx2 v[76:77], v19, off
	ds_read_b64 v[78:79], v1
	s_waitcnt vmcnt(0) lgkmcnt(0)
	v_mul_f64 v[76:77], v[76:77], v[78:79]
	s_cbranch_execz .LBB99_330
	s_branch .LBB99_331
.LBB99_329:
                                        ; implicit-def: $vgpr76_vgpr77
.LBB99_330:
	ds_read_b64 v[76:77], v1
.LBB99_331:
	s_and_saveexec_b64 s[8:9], s[0:1]
	s_cbranch_execz .LBB99_335
; %bb.332:
	v_add_u32_e32 v78, -2, v0
	s_movk_i32 s12, 0x130
	s_mov_b64 s[0:1], 0
.LBB99_333:                             ; =>This Inner Loop Header: Depth=1
	scratch_load_dwordx2 v[80:81], off, s11
	v_mov_b32_e32 v79, s12
	ds_read_b64 v[82:83], v79
	v_add_u32_e32 v78, -1, v78
	s_add_i32 s12, s12, 8
	s_add_i32 s11, s11, 8
	v_cmp_eq_u32_e32 vcc, 0, v78
	s_or_b64 s[0:1], vcc, s[0:1]
	s_waitcnt vmcnt(0) lgkmcnt(0)
	v_fmac_f64_e32 v[76:77], v[80:81], v[82:83]
	s_andn2_b64 exec, exec, s[0:1]
	s_cbranch_execnz .LBB99_333
; %bb.334:
	s_or_b64 exec, exec, s[0:1]
.LBB99_335:
	s_or_b64 exec, exec, s[8:9]
	v_mov_b32_e32 v78, 0
	ds_read_b64 v[78:79], v78 offset:8
	s_waitcnt lgkmcnt(0)
	v_mul_f64 v[76:77], v[76:77], v[78:79]
	scratch_store_dwordx2 off, v[76:77], off offset:8
.LBB99_336:
	s_or_b64 exec, exec, s[4:5]
	scratch_load_dwordx2 v[76:77], off, off
	v_cmp_ne_u32_e32 vcc, 0, v0
	s_waitcnt vmcnt(0)
	ds_write_b64 v1, v[76:77]
	s_waitcnt lgkmcnt(0)
	; wave barrier
	s_and_saveexec_b64 s[0:1], vcc
	s_cbranch_execz .LBB99_346
; %bb.337:
	s_andn2_b64 vcc, exec, s[6:7]
	s_cbranch_vccnz .LBB99_339
; %bb.338:
	scratch_load_dwordx2 v[76:77], v19, off
	ds_read_b64 v[78:79], v1
	s_waitcnt vmcnt(0) lgkmcnt(0)
	v_mul_f64 v[76:77], v[76:77], v[78:79]
	s_cbranch_execz .LBB99_340
	s_branch .LBB99_341
.LBB99_339:
                                        ; implicit-def: $vgpr76_vgpr77
.LBB99_340:
	ds_read_b64 v[76:77], v1
.LBB99_341:
	s_and_saveexec_b64 s[4:5], s[2:3]
	s_cbranch_execz .LBB99_345
; %bb.342:
	v_add_u32_e32 v78, -1, v0
	s_movk_i32 s8, 0x128
	s_mov_b64 s[2:3], 0
.LBB99_343:                             ; =>This Inner Loop Header: Depth=1
	scratch_load_dwordx2 v[80:81], off, s10
	v_mov_b32_e32 v79, s8
	ds_read_b64 v[82:83], v79
	v_add_u32_e32 v78, -1, v78
	s_add_i32 s8, s8, 8
	s_add_i32 s10, s10, 8
	v_cmp_eq_u32_e32 vcc, 0, v78
	s_or_b64 s[2:3], vcc, s[2:3]
	s_waitcnt vmcnt(0) lgkmcnt(0)
	v_fmac_f64_e32 v[76:77], v[80:81], v[82:83]
	s_andn2_b64 exec, exec, s[2:3]
	s_cbranch_execnz .LBB99_343
; %bb.344:
	s_or_b64 exec, exec, s[2:3]
.LBB99_345:
	s_or_b64 exec, exec, s[4:5]
	v_mov_b32_e32 v78, 0
	ds_read_b64 v[78:79], v78
	s_waitcnt lgkmcnt(0)
	v_mul_f64 v[76:77], v[76:77], v[78:79]
	scratch_store_dwordx2 off, v[76:77], off
.LBB99_346:
	s_or_b64 exec, exec, s[0:1]
	s_mov_b64 s[0:1], 0
.LBB99_347:
	s_and_b64 vcc, exec, s[0:1]
	s_cbranch_vccz .LBB99_689
; %bb.348:
	scratch_load_dwordx2 v[76:77], off, off offset:8
	v_cmp_eq_u32_e64 s[2:3], 0, v0
	s_waitcnt vmcnt(0)
	ds_write_b64 v1, v[76:77]
	s_waitcnt lgkmcnt(0)
	; wave barrier
	s_and_saveexec_b64 s[0:1], s[2:3]
	s_cbranch_execz .LBB99_354
; %bb.349:
	s_and_b64 vcc, exec, s[6:7]
	s_cbranch_vccz .LBB99_351
; %bb.350:
	scratch_load_dwordx2 v[76:77], v19, off
	ds_read_b64 v[78:79], v1
	s_waitcnt vmcnt(0) lgkmcnt(0)
	v_mul_f64 v[76:77], v[76:77], v[78:79]
	s_cbranch_execz .LBB99_352
	s_branch .LBB99_353
.LBB99_351:
                                        ; implicit-def: $vgpr76_vgpr77
.LBB99_352:
	ds_read_b64 v[76:77], v1
.LBB99_353:
	v_mov_b32_e32 v78, 0
	ds_read_b64 v[78:79], v78 offset:8
	s_waitcnt lgkmcnt(0)
	v_mul_f64 v[76:77], v[76:77], v[78:79]
	scratch_store_dwordx2 off, v[76:77], off offset:8
.LBB99_354:
	s_or_b64 exec, exec, s[0:1]
	scratch_load_dwordx2 v[76:77], off, off offset:16
	v_cndmask_b32_e64 v78, 0, 1, s[6:7]
	v_cmp_gt_u32_e32 vcc, 2, v0
	v_cmp_ne_u32_e64 s[0:1], 1, v78
	s_waitcnt vmcnt(0)
	ds_write_b64 v1, v[76:77]
	s_waitcnt lgkmcnt(0)
	; wave barrier
	s_and_saveexec_b64 s[4:5], vcc
	s_cbranch_execz .LBB99_360
; %bb.355:
	s_and_b64 vcc, exec, s[0:1]
	s_cbranch_vccnz .LBB99_357
; %bb.356:
	scratch_load_dwordx2 v[76:77], v19, off
	ds_read_b64 v[78:79], v1
	s_waitcnt vmcnt(0) lgkmcnt(0)
	v_mul_f64 v[76:77], v[76:77], v[78:79]
	s_cbranch_execz .LBB99_358
	s_branch .LBB99_359
.LBB99_357:
                                        ; implicit-def: $vgpr76_vgpr77
.LBB99_358:
	ds_read_b64 v[76:77], v1
.LBB99_359:
	scratch_load_dwordx2 v[82:83], off, off offset:8
	v_mov_b32_e32 v78, 0
	ds_read2_b64 v[78:81], v78 offset0:2 offset1:37
	s_waitcnt vmcnt(0) lgkmcnt(0)
	v_fma_f64 v[80:81], v[82:83], v[80:81], v[76:77]
	v_cndmask_b32_e64 v77, v77, v81, s[2:3]
	v_cndmask_b32_e64 v76, v76, v80, s[2:3]
	v_mul_f64 v[76:77], v[76:77], v[78:79]
	scratch_store_dwordx2 off, v[76:77], off offset:16
.LBB99_360:
	s_or_b64 exec, exec, s[4:5]
	scratch_load_dwordx2 v[76:77], off, off offset:24
	v_cmp_gt_u32_e32 vcc, 3, v0
	s_waitcnt vmcnt(0)
	ds_write_b64 v1, v[76:77]
	s_waitcnt lgkmcnt(0)
	; wave barrier
	s_and_saveexec_b64 s[4:5], vcc
	s_cbranch_execz .LBB99_368
; %bb.361:
	s_and_b64 vcc, exec, s[0:1]
	s_cbranch_vccnz .LBB99_363
; %bb.362:
	scratch_load_dwordx2 v[76:77], v19, off
	ds_read_b64 v[78:79], v1
	s_waitcnt vmcnt(0) lgkmcnt(0)
	v_mul_f64 v[76:77], v[76:77], v[78:79]
	s_cbranch_execz .LBB99_364
	s_branch .LBB99_365
.LBB99_363:
                                        ; implicit-def: $vgpr76_vgpr77
.LBB99_364:
	ds_read_b64 v[76:77], v1
.LBB99_365:
	v_cmp_ne_u32_e32 vcc, 2, v0
	s_and_saveexec_b64 s[6:7], vcc
	s_cbranch_execz .LBB99_367
; %bb.366:
	scratch_load_dwordx2 v[78:79], v19, off offset:8
	scratch_load_dwordx2 v[80:81], off, off offset:16
	ds_read_b64 v[82:83], v1 offset:8
	v_mov_b32_e32 v84, 0
	ds_read_b64 v[84:85], v84 offset:304
	s_waitcnt vmcnt(1) lgkmcnt(1)
	v_fmac_f64_e32 v[76:77], v[78:79], v[82:83]
	s_waitcnt vmcnt(0) lgkmcnt(0)
	v_fma_f64 v[78:79], v[80:81], v[84:85], v[76:77]
	v_cndmask_b32_e64 v77, v77, v79, s[2:3]
	v_cndmask_b32_e64 v76, v76, v78, s[2:3]
.LBB99_367:
	s_or_b64 exec, exec, s[6:7]
	v_mov_b32_e32 v78, 0
	ds_read_b64 v[78:79], v78 offset:24
	s_waitcnt lgkmcnt(0)
	v_mul_f64 v[76:77], v[76:77], v[78:79]
	scratch_store_dwordx2 off, v[76:77], off offset:24
.LBB99_368:
	s_or_b64 exec, exec, s[4:5]
	scratch_load_dwordx2 v[76:77], off, off offset:32
	v_cmp_gt_u32_e32 vcc, 4, v0
	s_waitcnt vmcnt(0)
	ds_write_b64 v1, v[76:77]
	s_waitcnt lgkmcnt(0)
	; wave barrier
	s_and_saveexec_b64 s[2:3], vcc
	s_cbranch_execz .LBB99_378
; %bb.369:
	s_and_b64 vcc, exec, s[0:1]
	s_cbranch_vccnz .LBB99_371
; %bb.370:
	scratch_load_dwordx2 v[76:77], v19, off
	ds_read_b64 v[78:79], v1
	s_waitcnt vmcnt(0) lgkmcnt(0)
	v_mul_f64 v[76:77], v[76:77], v[78:79]
	s_cbranch_execz .LBB99_372
	s_branch .LBB99_373
.LBB99_371:
                                        ; implicit-def: $vgpr76_vgpr77
.LBB99_372:
	ds_read_b64 v[76:77], v1
.LBB99_373:
	v_cmp_ne_u32_e32 vcc, 3, v0
	s_and_saveexec_b64 s[4:5], vcc
	s_cbranch_execz .LBB99_377
; %bb.374:
	s_mov_b32 s6, 0
	v_add_u32_e32 v78, 0x128, v18
	v_add3_u32 v79, v18, s6, 8
	s_mov_b64 s[6:7], 0
	v_mov_b32_e32 v80, v0
.LBB99_375:                             ; =>This Inner Loop Header: Depth=1
	scratch_load_dwordx2 v[82:83], v79, off
	ds_read_b64 v[84:85], v78
	v_add_u32_e32 v80, 1, v80
	v_cmp_lt_u32_e32 vcc, 2, v80
	v_add_u32_e32 v78, 8, v78
	v_add_u32_e32 v79, 8, v79
	s_or_b64 s[6:7], vcc, s[6:7]
	s_waitcnt vmcnt(0) lgkmcnt(0)
	v_fmac_f64_e32 v[76:77], v[82:83], v[84:85]
	s_andn2_b64 exec, exec, s[6:7]
	s_cbranch_execnz .LBB99_375
; %bb.376:
	s_or_b64 exec, exec, s[6:7]
.LBB99_377:
	s_or_b64 exec, exec, s[4:5]
	v_mov_b32_e32 v78, 0
	ds_read_b64 v[78:79], v78 offset:32
	s_waitcnt lgkmcnt(0)
	v_mul_f64 v[76:77], v[76:77], v[78:79]
	scratch_store_dwordx2 off, v[76:77], off offset:32
.LBB99_378:
	s_or_b64 exec, exec, s[2:3]
	scratch_load_dwordx2 v[76:77], off, off offset:40
	v_cmp_gt_u32_e32 vcc, 5, v0
	s_waitcnt vmcnt(0)
	ds_write_b64 v1, v[76:77]
	s_waitcnt lgkmcnt(0)
	; wave barrier
	s_and_saveexec_b64 s[2:3], vcc
	s_cbranch_execz .LBB99_388
; %bb.379:
	s_and_b64 vcc, exec, s[0:1]
	s_cbranch_vccnz .LBB99_381
; %bb.380:
	scratch_load_dwordx2 v[76:77], v19, off
	ds_read_b64 v[78:79], v1
	s_waitcnt vmcnt(0) lgkmcnt(0)
	v_mul_f64 v[76:77], v[76:77], v[78:79]
	s_cbranch_execz .LBB99_382
	s_branch .LBB99_383
.LBB99_381:
                                        ; implicit-def: $vgpr76_vgpr77
.LBB99_382:
	ds_read_b64 v[76:77], v1
.LBB99_383:
	v_cmp_ne_u32_e32 vcc, 4, v0
	s_and_saveexec_b64 s[4:5], vcc
	s_cbranch_execz .LBB99_387
; %bb.384:
	s_mov_b32 s6, 0
	v_add_u32_e32 v78, 0x128, v18
	v_add3_u32 v79, v18, s6, 8
	s_mov_b64 s[6:7], 0
	v_mov_b32_e32 v80, v0
.LBB99_385:                             ; =>This Inner Loop Header: Depth=1
	scratch_load_dwordx2 v[82:83], v79, off
	ds_read_b64 v[84:85], v78
	v_add_u32_e32 v80, 1, v80
	v_cmp_lt_u32_e32 vcc, 3, v80
	v_add_u32_e32 v78, 8, v78
	v_add_u32_e32 v79, 8, v79
	s_or_b64 s[6:7], vcc, s[6:7]
	s_waitcnt vmcnt(0) lgkmcnt(0)
	v_fmac_f64_e32 v[76:77], v[82:83], v[84:85]
	s_andn2_b64 exec, exec, s[6:7]
	s_cbranch_execnz .LBB99_385
; %bb.386:
	s_or_b64 exec, exec, s[6:7]
.LBB99_387:
	s_or_b64 exec, exec, s[4:5]
	v_mov_b32_e32 v78, 0
	ds_read_b64 v[78:79], v78 offset:40
	s_waitcnt lgkmcnt(0)
	v_mul_f64 v[76:77], v[76:77], v[78:79]
	scratch_store_dwordx2 off, v[76:77], off offset:40
.LBB99_388:
	;; [unrolled: 55-line block ×30, first 2 shown]
	s_or_b64 exec, exec, s[2:3]
	scratch_load_dwordx2 v[76:77], off, off offset:272
	v_cmp_gt_u32_e64 s[2:3], 34, v0
	s_waitcnt vmcnt(0)
	ds_write_b64 v1, v[76:77]
	s_waitcnt lgkmcnt(0)
	; wave barrier
	s_and_saveexec_b64 s[4:5], s[2:3]
	s_cbranch_execz .LBB99_678
; %bb.669:
	s_and_b64 vcc, exec, s[0:1]
	s_cbranch_vccnz .LBB99_671
; %bb.670:
	scratch_load_dwordx2 v[76:77], v19, off
	ds_read_b64 v[78:79], v1
	s_waitcnt vmcnt(0) lgkmcnt(0)
	v_mul_f64 v[76:77], v[76:77], v[78:79]
	s_cbranch_execz .LBB99_672
	s_branch .LBB99_673
.LBB99_671:
                                        ; implicit-def: $vgpr76_vgpr77
.LBB99_672:
	ds_read_b64 v[76:77], v1
.LBB99_673:
	v_cmp_ne_u32_e32 vcc, 33, v0
	s_and_saveexec_b64 s[6:7], vcc
	s_cbranch_execz .LBB99_677
; %bb.674:
	s_mov_b32 s8, 0
	v_add_u32_e32 v78, 0x128, v18
	v_add3_u32 v79, v18, s8, 8
	s_mov_b64 s[8:9], 0
	v_mov_b32_e32 v80, v0
.LBB99_675:                             ; =>This Inner Loop Header: Depth=1
	scratch_load_dwordx2 v[82:83], v79, off
	ds_read_b64 v[84:85], v78
	v_add_u32_e32 v80, 1, v80
	v_cmp_lt_u32_e32 vcc, 32, v80
	v_add_u32_e32 v78, 8, v78
	v_add_u32_e32 v79, 8, v79
	s_or_b64 s[8:9], vcc, s[8:9]
	s_waitcnt vmcnt(0) lgkmcnt(0)
	v_fmac_f64_e32 v[76:77], v[82:83], v[84:85]
	s_andn2_b64 exec, exec, s[8:9]
	s_cbranch_execnz .LBB99_675
; %bb.676:
	s_or_b64 exec, exec, s[8:9]
.LBB99_677:
	s_or_b64 exec, exec, s[6:7]
	v_mov_b32_e32 v78, 0
	ds_read_b64 v[78:79], v78 offset:272
	s_waitcnt lgkmcnt(0)
	v_mul_f64 v[76:77], v[76:77], v[78:79]
	scratch_store_dwordx2 off, v[76:77], off offset:272
.LBB99_678:
	s_or_b64 exec, exec, s[4:5]
	scratch_load_dwordx2 v[76:77], off, off offset:280
	v_cmp_ne_u32_e32 vcc, 35, v0
	s_waitcnt vmcnt(0)
	ds_write_b64 v1, v[76:77]
	s_waitcnt lgkmcnt(0)
	; wave barrier
	s_and_saveexec_b64 s[4:5], vcc
	s_cbranch_execz .LBB99_688
; %bb.679:
	s_and_b64 vcc, exec, s[0:1]
	s_cbranch_vccnz .LBB99_681
; %bb.680:
	scratch_load_dwordx2 v[76:77], v19, off
	ds_read_b64 v[78:79], v1
	s_waitcnt vmcnt(0) lgkmcnt(0)
	v_mul_f64 v[76:77], v[76:77], v[78:79]
	s_cbranch_execz .LBB99_682
	s_branch .LBB99_683
.LBB99_681:
                                        ; implicit-def: $vgpr76_vgpr77
.LBB99_682:
	ds_read_b64 v[76:77], v1
.LBB99_683:
	s_and_saveexec_b64 s[0:1], s[2:3]
	s_cbranch_execz .LBB99_687
; %bb.684:
	s_mov_b32 s2, 0
	v_add_u32_e32 v1, 0x128, v18
	v_add3_u32 v18, v18, s2, 8
	s_mov_b64 s[2:3], 0
.LBB99_685:                             ; =>This Inner Loop Header: Depth=1
	scratch_load_dwordx2 v[78:79], v18, off
	ds_read_b64 v[80:81], v1
	v_add_u32_e32 v0, 1, v0
	v_cmp_lt_u32_e32 vcc, 33, v0
	v_add_u32_e32 v1, 8, v1
	v_add_u32_e32 v18, 8, v18
	s_or_b64 s[2:3], vcc, s[2:3]
	s_waitcnt vmcnt(0) lgkmcnt(0)
	v_fmac_f64_e32 v[76:77], v[78:79], v[80:81]
	s_andn2_b64 exec, exec, s[2:3]
	s_cbranch_execnz .LBB99_685
; %bb.686:
	s_or_b64 exec, exec, s[2:3]
.LBB99_687:
	s_or_b64 exec, exec, s[0:1]
	v_mov_b32_e32 v0, 0
	ds_read_b64 v[0:1], v0 offset:280
	s_waitcnt lgkmcnt(0)
	v_mul_f64 v[0:1], v[76:77], v[0:1]
	scratch_store_dwordx2 off, v[0:1], off offset:280
.LBB99_688:
	s_or_b64 exec, exec, s[4:5]
.LBB99_689:
	scratch_load_dwordx2 v[0:1], off, off
	s_waitcnt vmcnt(0)
	flat_store_dwordx2 v[2:3], v[0:1]
	scratch_load_dwordx2 v[0:1], off, off offset:8
	s_waitcnt vmcnt(0)
	flat_store_dwordx2 v[4:5], v[0:1]
	scratch_load_dwordx2 v[0:1], off, off offset:16
	;; [unrolled: 3-line block ×35, first 2 shown]
	s_waitcnt vmcnt(0)
	flat_store_dwordx2 v[74:75], v[0:1]
.LBB99_690:
	s_endpgm
	.section	.rodata,"a",@progbits
	.p2align	6, 0x0
	.amdhsa_kernel _ZN9rocsolver6v33100L18trti2_kernel_smallILi36EdPKPdEEv13rocblas_fill_17rocblas_diagonal_T1_iil
		.amdhsa_group_segment_fixed_size 576
		.amdhsa_private_segment_fixed_size 304
		.amdhsa_kernarg_size 32
		.amdhsa_user_sgpr_count 2
		.amdhsa_user_sgpr_dispatch_ptr 0
		.amdhsa_user_sgpr_queue_ptr 0
		.amdhsa_user_sgpr_kernarg_segment_ptr 1
		.amdhsa_user_sgpr_dispatch_id 0
		.amdhsa_user_sgpr_kernarg_preload_length 0
		.amdhsa_user_sgpr_kernarg_preload_offset 0
		.amdhsa_user_sgpr_private_segment_size 0
		.amdhsa_uses_dynamic_stack 0
		.amdhsa_enable_private_segment 1
		.amdhsa_system_sgpr_workgroup_id_x 1
		.amdhsa_system_sgpr_workgroup_id_y 0
		.amdhsa_system_sgpr_workgroup_id_z 0
		.amdhsa_system_sgpr_workgroup_info 0
		.amdhsa_system_vgpr_workitem_id 0
		.amdhsa_next_free_vgpr 86
		.amdhsa_next_free_sgpr 45
		.amdhsa_accum_offset 88
		.amdhsa_reserve_vcc 1
		.amdhsa_float_round_mode_32 0
		.amdhsa_float_round_mode_16_64 0
		.amdhsa_float_denorm_mode_32 3
		.amdhsa_float_denorm_mode_16_64 3
		.amdhsa_dx10_clamp 1
		.amdhsa_ieee_mode 1
		.amdhsa_fp16_overflow 0
		.amdhsa_tg_split 0
		.amdhsa_exception_fp_ieee_invalid_op 0
		.amdhsa_exception_fp_denorm_src 0
		.amdhsa_exception_fp_ieee_div_zero 0
		.amdhsa_exception_fp_ieee_overflow 0
		.amdhsa_exception_fp_ieee_underflow 0
		.amdhsa_exception_fp_ieee_inexact 0
		.amdhsa_exception_int_div_zero 0
	.end_amdhsa_kernel
	.section	.text._ZN9rocsolver6v33100L18trti2_kernel_smallILi36EdPKPdEEv13rocblas_fill_17rocblas_diagonal_T1_iil,"axG",@progbits,_ZN9rocsolver6v33100L18trti2_kernel_smallILi36EdPKPdEEv13rocblas_fill_17rocblas_diagonal_T1_iil,comdat
.Lfunc_end99:
	.size	_ZN9rocsolver6v33100L18trti2_kernel_smallILi36EdPKPdEEv13rocblas_fill_17rocblas_diagonal_T1_iil, .Lfunc_end99-_ZN9rocsolver6v33100L18trti2_kernel_smallILi36EdPKPdEEv13rocblas_fill_17rocblas_diagonal_T1_iil
                                        ; -- End function
	.set _ZN9rocsolver6v33100L18trti2_kernel_smallILi36EdPKPdEEv13rocblas_fill_17rocblas_diagonal_T1_iil.num_vgpr, 86
	.set _ZN9rocsolver6v33100L18trti2_kernel_smallILi36EdPKPdEEv13rocblas_fill_17rocblas_diagonal_T1_iil.num_agpr, 0
	.set _ZN9rocsolver6v33100L18trti2_kernel_smallILi36EdPKPdEEv13rocblas_fill_17rocblas_diagonal_T1_iil.numbered_sgpr, 45
	.set _ZN9rocsolver6v33100L18trti2_kernel_smallILi36EdPKPdEEv13rocblas_fill_17rocblas_diagonal_T1_iil.num_named_barrier, 0
	.set _ZN9rocsolver6v33100L18trti2_kernel_smallILi36EdPKPdEEv13rocblas_fill_17rocblas_diagonal_T1_iil.private_seg_size, 304
	.set _ZN9rocsolver6v33100L18trti2_kernel_smallILi36EdPKPdEEv13rocblas_fill_17rocblas_diagonal_T1_iil.uses_vcc, 1
	.set _ZN9rocsolver6v33100L18trti2_kernel_smallILi36EdPKPdEEv13rocblas_fill_17rocblas_diagonal_T1_iil.uses_flat_scratch, 0
	.set _ZN9rocsolver6v33100L18trti2_kernel_smallILi36EdPKPdEEv13rocblas_fill_17rocblas_diagonal_T1_iil.has_dyn_sized_stack, 0
	.set _ZN9rocsolver6v33100L18trti2_kernel_smallILi36EdPKPdEEv13rocblas_fill_17rocblas_diagonal_T1_iil.has_recursion, 0
	.set _ZN9rocsolver6v33100L18trti2_kernel_smallILi36EdPKPdEEv13rocblas_fill_17rocblas_diagonal_T1_iil.has_indirect_call, 0
	.section	.AMDGPU.csdata,"",@progbits
; Kernel info:
; codeLenInByte = 17368
; TotalNumSgprs: 51
; NumVgprs: 86
; NumAgprs: 0
; TotalNumVgprs: 86
; ScratchSize: 304
; MemoryBound: 0
; FloatMode: 240
; IeeeMode: 1
; LDSByteSize: 576 bytes/workgroup (compile time only)
; SGPRBlocks: 6
; VGPRBlocks: 10
; NumSGPRsForWavesPerEU: 51
; NumVGPRsForWavesPerEU: 86
; AccumOffset: 88
; Occupancy: 5
; WaveLimiterHint : 1
; COMPUTE_PGM_RSRC2:SCRATCH_EN: 1
; COMPUTE_PGM_RSRC2:USER_SGPR: 2
; COMPUTE_PGM_RSRC2:TRAP_HANDLER: 0
; COMPUTE_PGM_RSRC2:TGID_X_EN: 1
; COMPUTE_PGM_RSRC2:TGID_Y_EN: 0
; COMPUTE_PGM_RSRC2:TGID_Z_EN: 0
; COMPUTE_PGM_RSRC2:TIDIG_COMP_CNT: 0
; COMPUTE_PGM_RSRC3_GFX90A:ACCUM_OFFSET: 21
; COMPUTE_PGM_RSRC3_GFX90A:TG_SPLIT: 0
	.section	.text._ZN9rocsolver6v33100L18trti2_kernel_smallILi37EdPKPdEEv13rocblas_fill_17rocblas_diagonal_T1_iil,"axG",@progbits,_ZN9rocsolver6v33100L18trti2_kernel_smallILi37EdPKPdEEv13rocblas_fill_17rocblas_diagonal_T1_iil,comdat
	.globl	_ZN9rocsolver6v33100L18trti2_kernel_smallILi37EdPKPdEEv13rocblas_fill_17rocblas_diagonal_T1_iil ; -- Begin function _ZN9rocsolver6v33100L18trti2_kernel_smallILi37EdPKPdEEv13rocblas_fill_17rocblas_diagonal_T1_iil
	.p2align	8
	.type	_ZN9rocsolver6v33100L18trti2_kernel_smallILi37EdPKPdEEv13rocblas_fill_17rocblas_diagonal_T1_iil,@function
_ZN9rocsolver6v33100L18trti2_kernel_smallILi37EdPKPdEEv13rocblas_fill_17rocblas_diagonal_T1_iil: ; @_ZN9rocsolver6v33100L18trti2_kernel_smallILi37EdPKPdEEv13rocblas_fill_17rocblas_diagonal_T1_iil
; %bb.0:
	v_cmp_gt_u32_e32 vcc, 37, v0
	s_and_saveexec_b64 s[4:5], vcc
	s_cbranch_execz .LBB100_710
; %bb.1:
	s_load_dwordx2 s[8:9], s[0:1], 0x10
	s_load_dwordx4 s[4:7], s[0:1], 0x0
	s_ashr_i32 s3, s2, 31
	s_lshl_b64 s[0:1], s[2:3], 3
	v_lshlrev_b32_e32 v18, 3, v0
	s_waitcnt lgkmcnt(0)
	s_ashr_i32 s3, s8, 31
	s_add_u32 s0, s6, s0
	s_addc_u32 s1, s7, s1
	s_load_dwordx2 s[0:1], s[0:1], 0x0
	s_mov_b32 s2, s8
	s_lshl_b64 s[2:3], s[2:3], 3
	v_mov_b32_e32 v19, 0
	s_waitcnt lgkmcnt(0)
	s_add_u32 s0, s0, s2
	s_addc_u32 s1, s1, s3
	v_lshl_add_u64 v[2:3], s[0:1], 0, v[18:19]
	flat_load_dwordx2 v[6:7], v[2:3]
	s_mov_b32 s2, s9
	s_ashr_i32 s3, s9, 31
	v_lshl_add_u64 v[4:5], s[2:3], 3, v[2:3]
	s_add_i32 s2, s9, s9
	v_add_u32_e32 v10, s2, v0
	v_ashrrev_i32_e32 v11, 31, v10
	s_cmpk_lg_i32 s5, 0x84
	s_cselect_b64 s[6:7], -1, 0
	s_cmpk_eq_i32 s5, 0x84
	s_waitcnt vmcnt(0) lgkmcnt(0)
	scratch_store_dwordx2 off, v[6:7], off
	flat_load_dwordx2 v[8:9], v[4:5]
	v_lshl_add_u64 v[6:7], v[10:11], 3, s[0:1]
	v_add_u32_e32 v10, s9, v10
	v_ashrrev_i32_e32 v11, 31, v10
	v_add_u32_e32 v14, s9, v10
	v_ashrrev_i32_e32 v15, 31, v14
	s_waitcnt vmcnt(0) lgkmcnt(0)
	scratch_store_dwordx2 off, v[8:9], off offset:8
	flat_load_dwordx2 v[12:13], v[6:7]
	v_lshl_add_u64 v[8:9], v[10:11], 3, s[0:1]
	v_lshl_add_u64 v[10:11], v[14:15], 3, s[0:1]
	v_add_u32_e32 v14, s9, v14
	v_ashrrev_i32_e32 v15, 31, v14
	v_add_u32_e32 v20, s9, v14
	v_ashrrev_i32_e32 v21, 31, v20
	s_waitcnt vmcnt(0) lgkmcnt(0)
	scratch_store_dwordx2 off, v[12:13], off offset:16
	flat_load_dwordx2 v[12:13], v[8:9]
	s_waitcnt vmcnt(0) lgkmcnt(0)
	scratch_store_dwordx2 off, v[12:13], off offset:24
	flat_load_dwordx2 v[16:17], v[10:11]
	v_lshl_add_u64 v[12:13], v[14:15], 3, s[0:1]
	v_lshl_add_u64 v[14:15], v[20:21], 3, s[0:1]
	v_add_u32_e32 v20, s9, v20
	v_ashrrev_i32_e32 v21, 31, v20
	v_add_u32_e32 v24, s9, v20
	v_ashrrev_i32_e32 v25, 31, v24
	s_waitcnt vmcnt(0) lgkmcnt(0)
	scratch_store_dwordx2 off, v[16:17], off offset:32
	flat_load_dwordx2 v[16:17], v[12:13]
	;; [unrolled: 12-line block ×15, first 2 shown]
	s_waitcnt vmcnt(0) lgkmcnt(0)
	scratch_store_dwordx2 off, v[70:71], off offset:248
	flat_load_dwordx2 v[74:75], v[68:69]
	v_lshl_add_u64 v[70:71], v[72:73], 3, s[0:1]
	v_lshl_add_u64 v[72:73], v[76:77], 3, s[0:1]
	v_add_u32_e32 v76, s9, v76
	v_ashrrev_i32_e32 v77, 31, v76
	s_waitcnt vmcnt(0) lgkmcnt(0)
	scratch_store_dwordx2 off, v[74:75], off offset:256
	flat_load_dwordx2 v[74:75], v[70:71]
	s_waitcnt vmcnt(0) lgkmcnt(0)
	scratch_store_dwordx2 off, v[74:75], off offset:264
	flat_load_dwordx2 v[78:79], v[72:73]
	v_lshl_add_u64 v[74:75], v[76:77], 3, s[0:1]
	v_add_u32_e32 v76, s9, v76
	v_ashrrev_i32_e32 v77, 31, v76
	v_lshl_add_u64 v[76:77], v[76:77], 3, s[0:1]
	s_waitcnt vmcnt(0) lgkmcnt(0)
	scratch_store_dwordx2 off, v[78:79], off offset:272
	flat_load_dwordx2 v[78:79], v[74:75]
	s_waitcnt vmcnt(0) lgkmcnt(0)
	scratch_store_dwordx2 off, v[78:79], off offset:280
	flat_load_dwordx2 v[78:79], v[76:77]
	s_waitcnt vmcnt(0) lgkmcnt(0)
	scratch_store_dwordx2 off, v[78:79], off offset:288
	v_mov_b64_e32 v[78:79], -1.0
	s_cbranch_scc1 .LBB100_3
; %bb.2:
	scratch_load_dwordx2 v[78:79], v18, off
	s_waitcnt vmcnt(0)
	v_div_scale_f64 v[80:81], s[0:1], v[78:79], v[78:79], 1.0
	v_rcp_f64_e32 v[82:83], v[80:81]
	v_div_scale_f64 v[84:85], vcc, 1.0, v[78:79], 1.0
	v_fma_f64 v[86:87], -v[80:81], v[82:83], 1.0
	v_fmac_f64_e32 v[82:83], v[82:83], v[86:87]
	v_fma_f64 v[86:87], -v[80:81], v[82:83], 1.0
	v_fmac_f64_e32 v[82:83], v[82:83], v[86:87]
	v_mul_f64 v[86:87], v[84:85], v[82:83]
	v_fma_f64 v[80:81], -v[80:81], v[86:87], v[84:85]
	v_div_fmas_f64 v[80:81], v[80:81], v[82:83], v[86:87]
	v_div_fixup_f64 v[78:79], v[80:81], v[78:79], 1.0
	scratch_store_dwordx2 v18, v[78:79], off
	v_xor_b32_e32 v79, 0x80000000, v79
.LBB100_3:
	s_cmpk_eq_i32 s4, 0x79
	v_add_u32_e32 v1, 0x130, v18
	v_mov_b32_e32 v19, v18
	s_mov_b64 s[0:1], -1
	ds_write_b64 v18, v[78:79]
	s_cbranch_scc1 .LBB100_357
; %bb.4:
	scratch_load_dwordx2 v[78:79], off, off offset:280
	s_movk_i32 s8, 0x48
	s_movk_i32 s9, 0x50
	;; [unrolled: 1-line block ×26, first 2 shown]
	v_cmp_eq_u32_e64 s[0:1], 36, v0
	s_waitcnt vmcnt(0)
	ds_write_b64 v1, v[78:79]
	s_waitcnt lgkmcnt(0)
	; wave barrier
	s_and_saveexec_b64 s[2:3], s[0:1]
	s_cbranch_execz .LBB100_10
; %bb.5:
	s_and_b64 vcc, exec, s[6:7]
	s_cbranch_vccz .LBB100_7
; %bb.6:
	scratch_load_dwordx2 v[78:79], v19, off
	ds_read_b64 v[80:81], v1
	s_waitcnt vmcnt(0) lgkmcnt(0)
	v_mul_f64 v[78:79], v[78:79], v[80:81]
	s_cbranch_execz .LBB100_8
	s_branch .LBB100_9
.LBB100_7:
                                        ; implicit-def: $vgpr78_vgpr79
.LBB100_8:
	ds_read_b64 v[78:79], v1
.LBB100_9:
	v_mov_b32_e32 v80, 0
	ds_read_b64 v[80:81], v80 offset:280
	s_waitcnt lgkmcnt(0)
	v_mul_f64 v[78:79], v[78:79], v[80:81]
	scratch_store_dwordx2 off, v[78:79], off offset:280
.LBB100_10:
	s_or_b64 exec, exec, s[2:3]
	scratch_load_dwordx2 v[78:79], off, off offset:272
	s_or_b32 s10, 0, 8
	s_mov_b32 s11, 16
	s_mov_b32 s12, 24
	s_mov_b32 s13, 32
	s_mov_b32 s14, 40
	s_mov_b32 s15, 48
	s_mov_b32 s16, 56
	s_mov_b32 s17, 64
	s_mov_b32 s18, s8
	s_mov_b32 s19, s9
	v_cmp_lt_u32_e64 s[2:3], 34, v0
	s_waitcnt vmcnt(0)
	ds_write_b64 v1, v[78:79]
	s_waitcnt lgkmcnt(0)
	; wave barrier
	s_and_saveexec_b64 s[4:5], s[2:3]
	s_cbranch_execz .LBB100_16
; %bb.11:
	s_andn2_b64 vcc, exec, s[6:7]
	s_cbranch_vccnz .LBB100_13
; %bb.12:
	scratch_load_dwordx2 v[78:79], v19, off
	ds_read_b64 v[80:81], v1
	s_waitcnt vmcnt(0) lgkmcnt(0)
	v_mul_f64 v[78:79], v[78:79], v[80:81]
	s_cbranch_execz .LBB100_14
	s_branch .LBB100_15
.LBB100_13:
                                        ; implicit-def: $vgpr78_vgpr79
.LBB100_14:
	ds_read_b64 v[78:79], v1
.LBB100_15:
	scratch_load_dwordx2 v[84:85], off, off offset:280
	v_mov_b32_e32 v80, 0
	ds_read2_b64 v[80:83], v80 offset0:34 offset1:73
	s_waitcnt vmcnt(0) lgkmcnt(0)
	v_fma_f64 v[82:83], v[84:85], v[82:83], v[78:79]
	v_cndmask_b32_e64 v79, v79, v83, s[0:1]
	v_cndmask_b32_e64 v78, v78, v82, s[0:1]
	v_mul_f64 v[78:79], v[78:79], v[80:81]
	scratch_store_dwordx2 off, v[78:79], off offset:272
.LBB100_16:
	s_or_b64 exec, exec, s[4:5]
	scratch_load_dwordx2 v[78:79], off, off offset:264
	v_cmp_lt_u32_e64 s[0:1], 33, v0
	s_waitcnt vmcnt(0)
	ds_write_b64 v1, v[78:79]
	s_waitcnt lgkmcnt(0)
	; wave barrier
	s_and_saveexec_b64 s[4:5], s[0:1]
	s_cbranch_execz .LBB100_26
; %bb.17:
	s_andn2_b64 vcc, exec, s[6:7]
	s_cbranch_vccnz .LBB100_19
; %bb.18:
	scratch_load_dwordx2 v[78:79], v19, off
	ds_read_b64 v[80:81], v1
	s_waitcnt vmcnt(0) lgkmcnt(0)
	v_mul_f64 v[78:79], v[78:79], v[80:81]
	s_cbranch_execz .LBB100_20
	s_branch .LBB100_21
.LBB100_19:
                                        ; implicit-def: $vgpr78_vgpr79
.LBB100_20:
	ds_read_b64 v[78:79], v1
.LBB100_21:
	s_and_saveexec_b64 s[8:9], s[2:3]
	s_cbranch_execz .LBB100_25
; %bb.22:
	v_subrev_u32_e32 v80, 34, v0
	s_movk_i32 s45, 0x240
	s_mov_b64 s[2:3], 0
.LBB100_23:                             ; =>This Inner Loop Header: Depth=1
	scratch_load_dwordx2 v[82:83], off, s44
	v_mov_b32_e32 v81, s45
	ds_read_b64 v[84:85], v81
	v_add_u32_e32 v80, -1, v80
	s_add_i32 s45, s45, 8
	s_add_i32 s44, s44, 8
	v_cmp_eq_u32_e32 vcc, 0, v80
	s_or_b64 s[2:3], vcc, s[2:3]
	s_waitcnt vmcnt(0) lgkmcnt(0)
	v_fmac_f64_e32 v[78:79], v[82:83], v[84:85]
	s_andn2_b64 exec, exec, s[2:3]
	s_cbranch_execnz .LBB100_23
; %bb.24:
	s_or_b64 exec, exec, s[2:3]
.LBB100_25:
	s_or_b64 exec, exec, s[8:9]
	v_mov_b32_e32 v80, 0
	ds_read_b64 v[80:81], v80 offset:264
	s_waitcnt lgkmcnt(0)
	v_mul_f64 v[78:79], v[78:79], v[80:81]
	scratch_store_dwordx2 off, v[78:79], off offset:264
.LBB100_26:
	s_or_b64 exec, exec, s[4:5]
	scratch_load_dwordx2 v[78:79], off, off offset:256
	v_cmp_lt_u32_e64 s[2:3], 32, v0
	s_waitcnt vmcnt(0)
	ds_write_b64 v1, v[78:79]
	s_waitcnt lgkmcnt(0)
	; wave barrier
	s_and_saveexec_b64 s[4:5], s[2:3]
	s_cbranch_execz .LBB100_36
; %bb.27:
	s_andn2_b64 vcc, exec, s[6:7]
	s_cbranch_vccnz .LBB100_29
; %bb.28:
	scratch_load_dwordx2 v[78:79], v19, off
	ds_read_b64 v[80:81], v1
	s_waitcnt vmcnt(0) lgkmcnt(0)
	v_mul_f64 v[78:79], v[78:79], v[80:81]
	s_cbranch_execz .LBB100_30
	s_branch .LBB100_31
.LBB100_29:
                                        ; implicit-def: $vgpr78_vgpr79
.LBB100_30:
	ds_read_b64 v[78:79], v1
.LBB100_31:
	s_and_saveexec_b64 s[8:9], s[0:1]
	s_cbranch_execz .LBB100_35
; %bb.32:
	v_subrev_u32_e32 v80, 33, v0
	s_movk_i32 s44, 0x238
	s_mov_b64 s[0:1], 0
.LBB100_33:                             ; =>This Inner Loop Header: Depth=1
	scratch_load_dwordx2 v[82:83], off, s43
	v_mov_b32_e32 v81, s44
	ds_read_b64 v[84:85], v81
	v_add_u32_e32 v80, -1, v80
	s_add_i32 s44, s44, 8
	s_add_i32 s43, s43, 8
	v_cmp_eq_u32_e32 vcc, 0, v80
	s_or_b64 s[0:1], vcc, s[0:1]
	s_waitcnt vmcnt(0) lgkmcnt(0)
	v_fmac_f64_e32 v[78:79], v[82:83], v[84:85]
	s_andn2_b64 exec, exec, s[0:1]
	s_cbranch_execnz .LBB100_33
; %bb.34:
	s_or_b64 exec, exec, s[0:1]
.LBB100_35:
	s_or_b64 exec, exec, s[8:9]
	v_mov_b32_e32 v80, 0
	ds_read_b64 v[80:81], v80 offset:256
	s_waitcnt lgkmcnt(0)
	v_mul_f64 v[78:79], v[78:79], v[80:81]
	scratch_store_dwordx2 off, v[78:79], off offset:256
.LBB100_36:
	;; [unrolled: 53-line block ×8, first 2 shown]
	s_or_b64 exec, exec, s[4:5]
	scratch_load_dwordx2 v[78:79], off, off offset:200
	v_cmp_lt_u32_e64 s[0:1], 25, v0
	s_waitcnt vmcnt(0)
	ds_write_b64 v1, v[78:79]
	s_waitcnt lgkmcnt(0)
	; wave barrier
	s_and_saveexec_b64 s[4:5], s[0:1]
	s_cbranch_execz .LBB100_106
; %bb.97:
	s_andn2_b64 vcc, exec, s[6:7]
	s_cbranch_vccnz .LBB100_99
; %bb.98:
	scratch_load_dwordx2 v[78:79], v19, off
	ds_read_b64 v[80:81], v1
	s_waitcnt vmcnt(0) lgkmcnt(0)
	v_mul_f64 v[78:79], v[78:79], v[80:81]
	s_cbranch_execz .LBB100_100
	s_branch .LBB100_101
.LBB100_99:
                                        ; implicit-def: $vgpr78_vgpr79
.LBB100_100:
	ds_read_b64 v[78:79], v1
.LBB100_101:
	s_and_saveexec_b64 s[8:9], s[2:3]
	s_cbranch_execz .LBB100_105
; %bb.102:
	v_subrev_u32_e32 v80, 26, v0
	s_movk_i32 s37, 0x200
	s_mov_b64 s[2:3], 0
.LBB100_103:                            ; =>This Inner Loop Header: Depth=1
	scratch_load_dwordx2 v[82:83], off, s36
	v_mov_b32_e32 v81, s37
	ds_read_b64 v[84:85], v81
	v_add_u32_e32 v80, -1, v80
	s_add_i32 s37, s37, 8
	s_add_i32 s36, s36, 8
	v_cmp_eq_u32_e32 vcc, 0, v80
	s_or_b64 s[2:3], vcc, s[2:3]
	s_waitcnt vmcnt(0) lgkmcnt(0)
	v_fmac_f64_e32 v[78:79], v[82:83], v[84:85]
	s_andn2_b64 exec, exec, s[2:3]
	s_cbranch_execnz .LBB100_103
; %bb.104:
	s_or_b64 exec, exec, s[2:3]
.LBB100_105:
	s_or_b64 exec, exec, s[8:9]
	v_mov_b32_e32 v80, 0
	ds_read_b64 v[80:81], v80 offset:200
	s_waitcnt lgkmcnt(0)
	v_mul_f64 v[78:79], v[78:79], v[80:81]
	scratch_store_dwordx2 off, v[78:79], off offset:200
.LBB100_106:
	s_or_b64 exec, exec, s[4:5]
	scratch_load_dwordx2 v[78:79], off, off offset:192
	v_cmp_lt_u32_e64 s[2:3], 24, v0
	s_waitcnt vmcnt(0)
	ds_write_b64 v1, v[78:79]
	s_waitcnt lgkmcnt(0)
	; wave barrier
	s_and_saveexec_b64 s[4:5], s[2:3]
	s_cbranch_execz .LBB100_116
; %bb.107:
	s_andn2_b64 vcc, exec, s[6:7]
	s_cbranch_vccnz .LBB100_109
; %bb.108:
	scratch_load_dwordx2 v[78:79], v19, off
	ds_read_b64 v[80:81], v1
	s_waitcnt vmcnt(0) lgkmcnt(0)
	v_mul_f64 v[78:79], v[78:79], v[80:81]
	s_cbranch_execz .LBB100_110
	s_branch .LBB100_111
.LBB100_109:
                                        ; implicit-def: $vgpr78_vgpr79
.LBB100_110:
	ds_read_b64 v[78:79], v1
.LBB100_111:
	s_and_saveexec_b64 s[8:9], s[0:1]
	s_cbranch_execz .LBB100_115
; %bb.112:
	v_subrev_u32_e32 v80, 25, v0
	s_movk_i32 s36, 0x1f8
	s_mov_b64 s[0:1], 0
.LBB100_113:                            ; =>This Inner Loop Header: Depth=1
	scratch_load_dwordx2 v[82:83], off, s35
	v_mov_b32_e32 v81, s36
	ds_read_b64 v[84:85], v81
	v_add_u32_e32 v80, -1, v80
	s_add_i32 s36, s36, 8
	s_add_i32 s35, s35, 8
	v_cmp_eq_u32_e32 vcc, 0, v80
	s_or_b64 s[0:1], vcc, s[0:1]
	s_waitcnt vmcnt(0) lgkmcnt(0)
	v_fmac_f64_e32 v[78:79], v[82:83], v[84:85]
	s_andn2_b64 exec, exec, s[0:1]
	s_cbranch_execnz .LBB100_113
; %bb.114:
	s_or_b64 exec, exec, s[0:1]
.LBB100_115:
	s_or_b64 exec, exec, s[8:9]
	v_mov_b32_e32 v80, 0
	ds_read_b64 v[80:81], v80 offset:192
	s_waitcnt lgkmcnt(0)
	v_mul_f64 v[78:79], v[78:79], v[80:81]
	scratch_store_dwordx2 off, v[78:79], off offset:192
.LBB100_116:
	;; [unrolled: 53-line block ×10, first 2 shown]
	s_or_b64 exec, exec, s[4:5]
	scratch_load_dwordx2 v[78:79], off, off offset:120
	v_cmp_lt_u32_e64 s[0:1], 15, v0
	s_waitcnt vmcnt(0)
	ds_write_b64 v1, v[78:79]
	s_waitcnt lgkmcnt(0)
	; wave barrier
	s_and_saveexec_b64 s[4:5], s[0:1]
	s_cbranch_execz .LBB100_206
; %bb.197:
	s_andn2_b64 vcc, exec, s[6:7]
	s_cbranch_vccnz .LBB100_199
; %bb.198:
	scratch_load_dwordx2 v[78:79], v19, off
	ds_read_b64 v[80:81], v1
	s_waitcnt vmcnt(0) lgkmcnt(0)
	v_mul_f64 v[78:79], v[78:79], v[80:81]
	s_cbranch_execz .LBB100_200
	s_branch .LBB100_201
.LBB100_199:
                                        ; implicit-def: $vgpr78_vgpr79
.LBB100_200:
	ds_read_b64 v[78:79], v1
.LBB100_201:
	s_and_saveexec_b64 s[8:9], s[2:3]
	s_cbranch_execz .LBB100_205
; %bb.202:
	v_add_u32_e32 v80, -16, v0
	s_movk_i32 s26, 0x1b0
	s_mov_b64 s[2:3], 0
.LBB100_203:                            ; =>This Inner Loop Header: Depth=1
	scratch_load_dwordx2 v[82:83], off, s25
	v_mov_b32_e32 v81, s26
	ds_read_b64 v[84:85], v81
	v_add_u32_e32 v80, -1, v80
	s_add_i32 s26, s26, 8
	s_add_i32 s25, s25, 8
	v_cmp_eq_u32_e32 vcc, 0, v80
	s_or_b64 s[2:3], vcc, s[2:3]
	s_waitcnt vmcnt(0) lgkmcnt(0)
	v_fmac_f64_e32 v[78:79], v[82:83], v[84:85]
	s_andn2_b64 exec, exec, s[2:3]
	s_cbranch_execnz .LBB100_203
; %bb.204:
	s_or_b64 exec, exec, s[2:3]
.LBB100_205:
	s_or_b64 exec, exec, s[8:9]
	v_mov_b32_e32 v80, 0
	ds_read_b64 v[80:81], v80 offset:120
	s_waitcnt lgkmcnt(0)
	v_mul_f64 v[78:79], v[78:79], v[80:81]
	scratch_store_dwordx2 off, v[78:79], off offset:120
.LBB100_206:
	s_or_b64 exec, exec, s[4:5]
	scratch_load_dwordx2 v[78:79], off, off offset:112
	v_cmp_lt_u32_e64 s[2:3], 14, v0
	s_waitcnt vmcnt(0)
	ds_write_b64 v1, v[78:79]
	s_waitcnt lgkmcnt(0)
	; wave barrier
	s_and_saveexec_b64 s[4:5], s[2:3]
	s_cbranch_execz .LBB100_216
; %bb.207:
	s_andn2_b64 vcc, exec, s[6:7]
	s_cbranch_vccnz .LBB100_209
; %bb.208:
	scratch_load_dwordx2 v[78:79], v19, off
	ds_read_b64 v[80:81], v1
	s_waitcnt vmcnt(0) lgkmcnt(0)
	v_mul_f64 v[78:79], v[78:79], v[80:81]
	s_cbranch_execz .LBB100_210
	s_branch .LBB100_211
.LBB100_209:
                                        ; implicit-def: $vgpr78_vgpr79
.LBB100_210:
	ds_read_b64 v[78:79], v1
.LBB100_211:
	s_and_saveexec_b64 s[8:9], s[0:1]
	s_cbranch_execz .LBB100_215
; %bb.212:
	v_add_u32_e32 v80, -15, v0
	s_movk_i32 s25, 0x1a8
	s_mov_b64 s[0:1], 0
.LBB100_213:                            ; =>This Inner Loop Header: Depth=1
	scratch_load_dwordx2 v[82:83], off, s24
	v_mov_b32_e32 v81, s25
	ds_read_b64 v[84:85], v81
	v_add_u32_e32 v80, -1, v80
	s_add_i32 s25, s25, 8
	s_add_i32 s24, s24, 8
	v_cmp_eq_u32_e32 vcc, 0, v80
	s_or_b64 s[0:1], vcc, s[0:1]
	s_waitcnt vmcnt(0) lgkmcnt(0)
	v_fmac_f64_e32 v[78:79], v[82:83], v[84:85]
	s_andn2_b64 exec, exec, s[0:1]
	s_cbranch_execnz .LBB100_213
; %bb.214:
	s_or_b64 exec, exec, s[0:1]
.LBB100_215:
	s_or_b64 exec, exec, s[8:9]
	v_mov_b32_e32 v80, 0
	ds_read_b64 v[80:81], v80 offset:112
	s_waitcnt lgkmcnt(0)
	v_mul_f64 v[78:79], v[78:79], v[80:81]
	scratch_store_dwordx2 off, v[78:79], off offset:112
.LBB100_216:
	;; [unrolled: 53-line block ×15, first 2 shown]
	s_or_b64 exec, exec, s[4:5]
	scratch_load_dwordx2 v[78:79], off, off
	v_cmp_ne_u32_e32 vcc, 0, v0
	s_waitcnt vmcnt(0)
	ds_write_b64 v1, v[78:79]
	s_waitcnt lgkmcnt(0)
	; wave barrier
	s_and_saveexec_b64 s[2:3], vcc
	s_cbranch_execz .LBB100_356
; %bb.347:
	s_andn2_b64 vcc, exec, s[6:7]
	s_cbranch_vccnz .LBB100_349
; %bb.348:
	scratch_load_dwordx2 v[78:79], v19, off
	ds_read_b64 v[80:81], v1
	s_waitcnt vmcnt(0) lgkmcnt(0)
	v_mul_f64 v[78:79], v[78:79], v[80:81]
	s_cbranch_execz .LBB100_350
	s_branch .LBB100_351
.LBB100_349:
                                        ; implicit-def: $vgpr78_vgpr79
.LBB100_350:
	ds_read_b64 v[78:79], v1
.LBB100_351:
	s_and_saveexec_b64 s[4:5], s[0:1]
	s_cbranch_execz .LBB100_355
; %bb.352:
	v_add_u32_e32 v80, -1, v0
	s_movk_i32 s8, 0x138
	s_mov_b64 s[0:1], 0
.LBB100_353:                            ; =>This Inner Loop Header: Depth=1
	scratch_load_dwordx2 v[82:83], off, s10
	v_mov_b32_e32 v81, s8
	ds_read_b64 v[84:85], v81
	v_add_u32_e32 v80, -1, v80
	s_add_i32 s8, s8, 8
	s_add_i32 s10, s10, 8
	v_cmp_eq_u32_e32 vcc, 0, v80
	s_or_b64 s[0:1], vcc, s[0:1]
	s_waitcnt vmcnt(0) lgkmcnt(0)
	v_fmac_f64_e32 v[78:79], v[82:83], v[84:85]
	s_andn2_b64 exec, exec, s[0:1]
	s_cbranch_execnz .LBB100_353
; %bb.354:
	s_or_b64 exec, exec, s[0:1]
.LBB100_355:
	s_or_b64 exec, exec, s[4:5]
	v_mov_b32_e32 v80, 0
	ds_read_b64 v[80:81], v80
	s_waitcnt lgkmcnt(0)
	v_mul_f64 v[78:79], v[78:79], v[80:81]
	scratch_store_dwordx2 off, v[78:79], off
.LBB100_356:
	s_or_b64 exec, exec, s[2:3]
	s_mov_b64 s[0:1], 0
.LBB100_357:
	s_and_b64 vcc, exec, s[0:1]
	s_cbranch_vccz .LBB100_709
; %bb.358:
	scratch_load_dwordx2 v[78:79], off, off offset:8
	v_cmp_eq_u32_e64 s[2:3], 0, v0
	s_waitcnt vmcnt(0)
	ds_write_b64 v1, v[78:79]
	s_waitcnt lgkmcnt(0)
	; wave barrier
	s_and_saveexec_b64 s[0:1], s[2:3]
	s_cbranch_execz .LBB100_364
; %bb.359:
	s_and_b64 vcc, exec, s[6:7]
	s_cbranch_vccz .LBB100_361
; %bb.360:
	scratch_load_dwordx2 v[78:79], v19, off
	ds_read_b64 v[80:81], v1
	s_waitcnt vmcnt(0) lgkmcnt(0)
	v_mul_f64 v[78:79], v[78:79], v[80:81]
	s_cbranch_execz .LBB100_362
	s_branch .LBB100_363
.LBB100_361:
                                        ; implicit-def: $vgpr78_vgpr79
.LBB100_362:
	ds_read_b64 v[78:79], v1
.LBB100_363:
	v_mov_b32_e32 v80, 0
	ds_read_b64 v[80:81], v80 offset:8
	s_waitcnt lgkmcnt(0)
	v_mul_f64 v[78:79], v[78:79], v[80:81]
	scratch_store_dwordx2 off, v[78:79], off offset:8
.LBB100_364:
	s_or_b64 exec, exec, s[0:1]
	scratch_load_dwordx2 v[78:79], off, off offset:16
	v_cndmask_b32_e64 v80, 0, 1, s[6:7]
	v_cmp_gt_u32_e32 vcc, 2, v0
	v_cmp_ne_u32_e64 s[0:1], 1, v80
	s_waitcnt vmcnt(0)
	ds_write_b64 v1, v[78:79]
	s_waitcnt lgkmcnt(0)
	; wave barrier
	s_and_saveexec_b64 s[4:5], vcc
	s_cbranch_execz .LBB100_370
; %bb.365:
	s_and_b64 vcc, exec, s[0:1]
	s_cbranch_vccnz .LBB100_367
; %bb.366:
	scratch_load_dwordx2 v[78:79], v19, off
	ds_read_b64 v[80:81], v1
	s_waitcnt vmcnt(0) lgkmcnt(0)
	v_mul_f64 v[78:79], v[78:79], v[80:81]
	s_cbranch_execz .LBB100_368
	s_branch .LBB100_369
.LBB100_367:
                                        ; implicit-def: $vgpr78_vgpr79
.LBB100_368:
	ds_read_b64 v[78:79], v1
.LBB100_369:
	scratch_load_dwordx2 v[84:85], off, off offset:8
	v_mov_b32_e32 v80, 0
	ds_read2_b64 v[80:83], v80 offset0:2 offset1:39
	s_waitcnt vmcnt(0) lgkmcnt(0)
	v_fma_f64 v[82:83], v[84:85], v[82:83], v[78:79]
	v_cndmask_b32_e64 v79, v79, v83, s[2:3]
	v_cndmask_b32_e64 v78, v78, v82, s[2:3]
	v_mul_f64 v[78:79], v[78:79], v[80:81]
	scratch_store_dwordx2 off, v[78:79], off offset:16
.LBB100_370:
	s_or_b64 exec, exec, s[4:5]
	scratch_load_dwordx2 v[78:79], off, off offset:24
	v_cmp_gt_u32_e32 vcc, 3, v0
	s_waitcnt vmcnt(0)
	ds_write_b64 v1, v[78:79]
	s_waitcnt lgkmcnt(0)
	; wave barrier
	s_and_saveexec_b64 s[4:5], vcc
	s_cbranch_execz .LBB100_378
; %bb.371:
	s_and_b64 vcc, exec, s[0:1]
	s_cbranch_vccnz .LBB100_373
; %bb.372:
	scratch_load_dwordx2 v[78:79], v19, off
	ds_read_b64 v[80:81], v1
	s_waitcnt vmcnt(0) lgkmcnt(0)
	v_mul_f64 v[78:79], v[78:79], v[80:81]
	s_cbranch_execz .LBB100_374
	s_branch .LBB100_375
.LBB100_373:
                                        ; implicit-def: $vgpr78_vgpr79
.LBB100_374:
	ds_read_b64 v[78:79], v1
.LBB100_375:
	v_cmp_ne_u32_e32 vcc, 2, v0
	s_and_saveexec_b64 s[6:7], vcc
	s_cbranch_execz .LBB100_377
; %bb.376:
	scratch_load_dwordx2 v[80:81], v19, off offset:8
	scratch_load_dwordx2 v[82:83], off, off offset:16
	ds_read_b64 v[84:85], v1 offset:8
	v_mov_b32_e32 v86, 0
	ds_read_b64 v[86:87], v86 offset:320
	s_waitcnt vmcnt(1) lgkmcnt(1)
	v_fmac_f64_e32 v[78:79], v[80:81], v[84:85]
	s_waitcnt vmcnt(0) lgkmcnt(0)
	v_fma_f64 v[80:81], v[82:83], v[86:87], v[78:79]
	v_cndmask_b32_e64 v79, v79, v81, s[2:3]
	v_cndmask_b32_e64 v78, v78, v80, s[2:3]
.LBB100_377:
	s_or_b64 exec, exec, s[6:7]
	v_mov_b32_e32 v80, 0
	ds_read_b64 v[80:81], v80 offset:24
	s_waitcnt lgkmcnt(0)
	v_mul_f64 v[78:79], v[78:79], v[80:81]
	scratch_store_dwordx2 off, v[78:79], off offset:24
.LBB100_378:
	s_or_b64 exec, exec, s[4:5]
	scratch_load_dwordx2 v[78:79], off, off offset:32
	v_cmp_gt_u32_e32 vcc, 4, v0
	s_waitcnt vmcnt(0)
	ds_write_b64 v1, v[78:79]
	s_waitcnt lgkmcnt(0)
	; wave barrier
	s_and_saveexec_b64 s[2:3], vcc
	s_cbranch_execz .LBB100_388
; %bb.379:
	s_and_b64 vcc, exec, s[0:1]
	s_cbranch_vccnz .LBB100_381
; %bb.380:
	scratch_load_dwordx2 v[78:79], v19, off
	ds_read_b64 v[80:81], v1
	s_waitcnt vmcnt(0) lgkmcnt(0)
	v_mul_f64 v[78:79], v[78:79], v[80:81]
	s_cbranch_execz .LBB100_382
	s_branch .LBB100_383
.LBB100_381:
                                        ; implicit-def: $vgpr78_vgpr79
.LBB100_382:
	ds_read_b64 v[78:79], v1
.LBB100_383:
	v_cmp_ne_u32_e32 vcc, 3, v0
	s_and_saveexec_b64 s[4:5], vcc
	s_cbranch_execz .LBB100_387
; %bb.384:
	s_mov_b32 s6, 0
	v_add_u32_e32 v80, 0x138, v18
	v_add3_u32 v81, v18, s6, 8
	s_mov_b64 s[6:7], 0
	v_mov_b32_e32 v82, v0
.LBB100_385:                            ; =>This Inner Loop Header: Depth=1
	scratch_load_dwordx2 v[84:85], v81, off
	ds_read_b64 v[86:87], v80
	v_add_u32_e32 v82, 1, v82
	v_cmp_lt_u32_e32 vcc, 2, v82
	v_add_u32_e32 v80, 8, v80
	v_add_u32_e32 v81, 8, v81
	s_or_b64 s[6:7], vcc, s[6:7]
	s_waitcnt vmcnt(0) lgkmcnt(0)
	v_fmac_f64_e32 v[78:79], v[84:85], v[86:87]
	s_andn2_b64 exec, exec, s[6:7]
	s_cbranch_execnz .LBB100_385
; %bb.386:
	s_or_b64 exec, exec, s[6:7]
.LBB100_387:
	s_or_b64 exec, exec, s[4:5]
	v_mov_b32_e32 v80, 0
	ds_read_b64 v[80:81], v80 offset:32
	s_waitcnt lgkmcnt(0)
	v_mul_f64 v[78:79], v[78:79], v[80:81]
	scratch_store_dwordx2 off, v[78:79], off offset:32
.LBB100_388:
	s_or_b64 exec, exec, s[2:3]
	scratch_load_dwordx2 v[78:79], off, off offset:40
	v_cmp_gt_u32_e32 vcc, 5, v0
	s_waitcnt vmcnt(0)
	ds_write_b64 v1, v[78:79]
	s_waitcnt lgkmcnt(0)
	; wave barrier
	s_and_saveexec_b64 s[2:3], vcc
	s_cbranch_execz .LBB100_398
; %bb.389:
	s_and_b64 vcc, exec, s[0:1]
	s_cbranch_vccnz .LBB100_391
; %bb.390:
	scratch_load_dwordx2 v[78:79], v19, off
	ds_read_b64 v[80:81], v1
	s_waitcnt vmcnt(0) lgkmcnt(0)
	v_mul_f64 v[78:79], v[78:79], v[80:81]
	s_cbranch_execz .LBB100_392
	s_branch .LBB100_393
.LBB100_391:
                                        ; implicit-def: $vgpr78_vgpr79
.LBB100_392:
	ds_read_b64 v[78:79], v1
.LBB100_393:
	v_cmp_ne_u32_e32 vcc, 4, v0
	s_and_saveexec_b64 s[4:5], vcc
	s_cbranch_execz .LBB100_397
; %bb.394:
	s_mov_b32 s6, 0
	v_add_u32_e32 v80, 0x138, v18
	v_add3_u32 v81, v18, s6, 8
	s_mov_b64 s[6:7], 0
	v_mov_b32_e32 v82, v0
.LBB100_395:                            ; =>This Inner Loop Header: Depth=1
	scratch_load_dwordx2 v[84:85], v81, off
	ds_read_b64 v[86:87], v80
	v_add_u32_e32 v82, 1, v82
	v_cmp_lt_u32_e32 vcc, 3, v82
	v_add_u32_e32 v80, 8, v80
	v_add_u32_e32 v81, 8, v81
	s_or_b64 s[6:7], vcc, s[6:7]
	s_waitcnt vmcnt(0) lgkmcnt(0)
	v_fmac_f64_e32 v[78:79], v[84:85], v[86:87]
	s_andn2_b64 exec, exec, s[6:7]
	s_cbranch_execnz .LBB100_395
; %bb.396:
	s_or_b64 exec, exec, s[6:7]
.LBB100_397:
	s_or_b64 exec, exec, s[4:5]
	v_mov_b32_e32 v80, 0
	ds_read_b64 v[80:81], v80 offset:40
	s_waitcnt lgkmcnt(0)
	v_mul_f64 v[78:79], v[78:79], v[80:81]
	scratch_store_dwordx2 off, v[78:79], off offset:40
.LBB100_398:
	;; [unrolled: 55-line block ×31, first 2 shown]
	s_or_b64 exec, exec, s[2:3]
	scratch_load_dwordx2 v[78:79], off, off offset:280
	v_cmp_gt_u32_e64 s[2:3], 35, v0
	s_waitcnt vmcnt(0)
	ds_write_b64 v1, v[78:79]
	s_waitcnt lgkmcnt(0)
	; wave barrier
	s_and_saveexec_b64 s[4:5], s[2:3]
	s_cbranch_execz .LBB100_698
; %bb.689:
	s_and_b64 vcc, exec, s[0:1]
	s_cbranch_vccnz .LBB100_691
; %bb.690:
	scratch_load_dwordx2 v[78:79], v19, off
	ds_read_b64 v[80:81], v1
	s_waitcnt vmcnt(0) lgkmcnt(0)
	v_mul_f64 v[78:79], v[78:79], v[80:81]
	s_cbranch_execz .LBB100_692
	s_branch .LBB100_693
.LBB100_691:
                                        ; implicit-def: $vgpr78_vgpr79
.LBB100_692:
	ds_read_b64 v[78:79], v1
.LBB100_693:
	v_cmp_ne_u32_e32 vcc, 34, v0
	s_and_saveexec_b64 s[6:7], vcc
	s_cbranch_execz .LBB100_697
; %bb.694:
	s_mov_b32 s8, 0
	v_add_u32_e32 v80, 0x138, v18
	v_add3_u32 v81, v18, s8, 8
	s_mov_b64 s[8:9], 0
	v_mov_b32_e32 v82, v0
.LBB100_695:                            ; =>This Inner Loop Header: Depth=1
	scratch_load_dwordx2 v[84:85], v81, off
	ds_read_b64 v[86:87], v80
	v_add_u32_e32 v82, 1, v82
	v_cmp_lt_u32_e32 vcc, 33, v82
	v_add_u32_e32 v80, 8, v80
	v_add_u32_e32 v81, 8, v81
	s_or_b64 s[8:9], vcc, s[8:9]
	s_waitcnt vmcnt(0) lgkmcnt(0)
	v_fmac_f64_e32 v[78:79], v[84:85], v[86:87]
	s_andn2_b64 exec, exec, s[8:9]
	s_cbranch_execnz .LBB100_695
; %bb.696:
	s_or_b64 exec, exec, s[8:9]
.LBB100_697:
	s_or_b64 exec, exec, s[6:7]
	v_mov_b32_e32 v80, 0
	ds_read_b64 v[80:81], v80 offset:280
	s_waitcnt lgkmcnt(0)
	v_mul_f64 v[78:79], v[78:79], v[80:81]
	scratch_store_dwordx2 off, v[78:79], off offset:280
.LBB100_698:
	s_or_b64 exec, exec, s[4:5]
	scratch_load_dwordx2 v[78:79], off, off offset:288
	v_cmp_ne_u32_e32 vcc, 36, v0
	s_waitcnt vmcnt(0)
	ds_write_b64 v1, v[78:79]
	s_waitcnt lgkmcnt(0)
	; wave barrier
	s_and_saveexec_b64 s[4:5], vcc
	s_cbranch_execz .LBB100_708
; %bb.699:
	s_and_b64 vcc, exec, s[0:1]
	s_cbranch_vccnz .LBB100_701
; %bb.700:
	scratch_load_dwordx2 v[78:79], v19, off
	ds_read_b64 v[80:81], v1
	s_waitcnt vmcnt(0) lgkmcnt(0)
	v_mul_f64 v[78:79], v[78:79], v[80:81]
	s_cbranch_execz .LBB100_702
	s_branch .LBB100_703
.LBB100_701:
                                        ; implicit-def: $vgpr78_vgpr79
.LBB100_702:
	ds_read_b64 v[78:79], v1
.LBB100_703:
	s_and_saveexec_b64 s[0:1], s[2:3]
	s_cbranch_execz .LBB100_707
; %bb.704:
	s_mov_b32 s2, 0
	v_add_u32_e32 v1, 0x138, v18
	v_add3_u32 v18, v18, s2, 8
	s_mov_b64 s[2:3], 0
.LBB100_705:                            ; =>This Inner Loop Header: Depth=1
	scratch_load_dwordx2 v[80:81], v18, off
	ds_read_b64 v[82:83], v1
	v_add_u32_e32 v0, 1, v0
	v_cmp_lt_u32_e32 vcc, 34, v0
	v_add_u32_e32 v1, 8, v1
	v_add_u32_e32 v18, 8, v18
	s_or_b64 s[2:3], vcc, s[2:3]
	s_waitcnt vmcnt(0) lgkmcnt(0)
	v_fmac_f64_e32 v[78:79], v[80:81], v[82:83]
	s_andn2_b64 exec, exec, s[2:3]
	s_cbranch_execnz .LBB100_705
; %bb.706:
	s_or_b64 exec, exec, s[2:3]
.LBB100_707:
	s_or_b64 exec, exec, s[0:1]
	v_mov_b32_e32 v0, 0
	ds_read_b64 v[0:1], v0 offset:288
	s_waitcnt lgkmcnt(0)
	v_mul_f64 v[0:1], v[78:79], v[0:1]
	scratch_store_dwordx2 off, v[0:1], off offset:288
.LBB100_708:
	s_or_b64 exec, exec, s[4:5]
.LBB100_709:
	scratch_load_dwordx2 v[0:1], off, off
	s_waitcnt vmcnt(0)
	flat_store_dwordx2 v[2:3], v[0:1]
	scratch_load_dwordx2 v[0:1], off, off offset:8
	s_waitcnt vmcnt(0)
	flat_store_dwordx2 v[4:5], v[0:1]
	scratch_load_dwordx2 v[0:1], off, off offset:16
	;; [unrolled: 3-line block ×36, first 2 shown]
	s_waitcnt vmcnt(0)
	flat_store_dwordx2 v[76:77], v[0:1]
.LBB100_710:
	s_endpgm
	.section	.rodata,"a",@progbits
	.p2align	6, 0x0
	.amdhsa_kernel _ZN9rocsolver6v33100L18trti2_kernel_smallILi37EdPKPdEEv13rocblas_fill_17rocblas_diagonal_T1_iil
		.amdhsa_group_segment_fixed_size 600
		.amdhsa_private_segment_fixed_size 304
		.amdhsa_kernarg_size 32
		.amdhsa_user_sgpr_count 2
		.amdhsa_user_sgpr_dispatch_ptr 0
		.amdhsa_user_sgpr_queue_ptr 0
		.amdhsa_user_sgpr_kernarg_segment_ptr 1
		.amdhsa_user_sgpr_dispatch_id 0
		.amdhsa_user_sgpr_kernarg_preload_length 0
		.amdhsa_user_sgpr_kernarg_preload_offset 0
		.amdhsa_user_sgpr_private_segment_size 0
		.amdhsa_uses_dynamic_stack 0
		.amdhsa_enable_private_segment 1
		.amdhsa_system_sgpr_workgroup_id_x 1
		.amdhsa_system_sgpr_workgroup_id_y 0
		.amdhsa_system_sgpr_workgroup_id_z 0
		.amdhsa_system_sgpr_workgroup_info 0
		.amdhsa_system_vgpr_workitem_id 0
		.amdhsa_next_free_vgpr 88
		.amdhsa_next_free_sgpr 46
		.amdhsa_accum_offset 88
		.amdhsa_reserve_vcc 1
		.amdhsa_float_round_mode_32 0
		.amdhsa_float_round_mode_16_64 0
		.amdhsa_float_denorm_mode_32 3
		.amdhsa_float_denorm_mode_16_64 3
		.amdhsa_dx10_clamp 1
		.amdhsa_ieee_mode 1
		.amdhsa_fp16_overflow 0
		.amdhsa_tg_split 0
		.amdhsa_exception_fp_ieee_invalid_op 0
		.amdhsa_exception_fp_denorm_src 0
		.amdhsa_exception_fp_ieee_div_zero 0
		.amdhsa_exception_fp_ieee_overflow 0
		.amdhsa_exception_fp_ieee_underflow 0
		.amdhsa_exception_fp_ieee_inexact 0
		.amdhsa_exception_int_div_zero 0
	.end_amdhsa_kernel
	.section	.text._ZN9rocsolver6v33100L18trti2_kernel_smallILi37EdPKPdEEv13rocblas_fill_17rocblas_diagonal_T1_iil,"axG",@progbits,_ZN9rocsolver6v33100L18trti2_kernel_smallILi37EdPKPdEEv13rocblas_fill_17rocblas_diagonal_T1_iil,comdat
.Lfunc_end100:
	.size	_ZN9rocsolver6v33100L18trti2_kernel_smallILi37EdPKPdEEv13rocblas_fill_17rocblas_diagonal_T1_iil, .Lfunc_end100-_ZN9rocsolver6v33100L18trti2_kernel_smallILi37EdPKPdEEv13rocblas_fill_17rocblas_diagonal_T1_iil
                                        ; -- End function
	.set _ZN9rocsolver6v33100L18trti2_kernel_smallILi37EdPKPdEEv13rocblas_fill_17rocblas_diagonal_T1_iil.num_vgpr, 88
	.set _ZN9rocsolver6v33100L18trti2_kernel_smallILi37EdPKPdEEv13rocblas_fill_17rocblas_diagonal_T1_iil.num_agpr, 0
	.set _ZN9rocsolver6v33100L18trti2_kernel_smallILi37EdPKPdEEv13rocblas_fill_17rocblas_diagonal_T1_iil.numbered_sgpr, 46
	.set _ZN9rocsolver6v33100L18trti2_kernel_smallILi37EdPKPdEEv13rocblas_fill_17rocblas_diagonal_T1_iil.num_named_barrier, 0
	.set _ZN9rocsolver6v33100L18trti2_kernel_smallILi37EdPKPdEEv13rocblas_fill_17rocblas_diagonal_T1_iil.private_seg_size, 304
	.set _ZN9rocsolver6v33100L18trti2_kernel_smallILi37EdPKPdEEv13rocblas_fill_17rocblas_diagonal_T1_iil.uses_vcc, 1
	.set _ZN9rocsolver6v33100L18trti2_kernel_smallILi37EdPKPdEEv13rocblas_fill_17rocblas_diagonal_T1_iil.uses_flat_scratch, 0
	.set _ZN9rocsolver6v33100L18trti2_kernel_smallILi37EdPKPdEEv13rocblas_fill_17rocblas_diagonal_T1_iil.has_dyn_sized_stack, 0
	.set _ZN9rocsolver6v33100L18trti2_kernel_smallILi37EdPKPdEEv13rocblas_fill_17rocblas_diagonal_T1_iil.has_recursion, 0
	.set _ZN9rocsolver6v33100L18trti2_kernel_smallILi37EdPKPdEEv13rocblas_fill_17rocblas_diagonal_T1_iil.has_indirect_call, 0
	.section	.AMDGPU.csdata,"",@progbits
; Kernel info:
; codeLenInByte = 17864
; TotalNumSgprs: 52
; NumVgprs: 88
; NumAgprs: 0
; TotalNumVgprs: 88
; ScratchSize: 304
; MemoryBound: 0
; FloatMode: 240
; IeeeMode: 1
; LDSByteSize: 600 bytes/workgroup (compile time only)
; SGPRBlocks: 6
; VGPRBlocks: 10
; NumSGPRsForWavesPerEU: 52
; NumVGPRsForWavesPerEU: 88
; AccumOffset: 88
; Occupancy: 5
; WaveLimiterHint : 1
; COMPUTE_PGM_RSRC2:SCRATCH_EN: 1
; COMPUTE_PGM_RSRC2:USER_SGPR: 2
; COMPUTE_PGM_RSRC2:TRAP_HANDLER: 0
; COMPUTE_PGM_RSRC2:TGID_X_EN: 1
; COMPUTE_PGM_RSRC2:TGID_Y_EN: 0
; COMPUTE_PGM_RSRC2:TGID_Z_EN: 0
; COMPUTE_PGM_RSRC2:TIDIG_COMP_CNT: 0
; COMPUTE_PGM_RSRC3_GFX90A:ACCUM_OFFSET: 21
; COMPUTE_PGM_RSRC3_GFX90A:TG_SPLIT: 0
	.section	.text._ZN9rocsolver6v33100L18trti2_kernel_smallILi38EdPKPdEEv13rocblas_fill_17rocblas_diagonal_T1_iil,"axG",@progbits,_ZN9rocsolver6v33100L18trti2_kernel_smallILi38EdPKPdEEv13rocblas_fill_17rocblas_diagonal_T1_iil,comdat
	.globl	_ZN9rocsolver6v33100L18trti2_kernel_smallILi38EdPKPdEEv13rocblas_fill_17rocblas_diagonal_T1_iil ; -- Begin function _ZN9rocsolver6v33100L18trti2_kernel_smallILi38EdPKPdEEv13rocblas_fill_17rocblas_diagonal_T1_iil
	.p2align	8
	.type	_ZN9rocsolver6v33100L18trti2_kernel_smallILi38EdPKPdEEv13rocblas_fill_17rocblas_diagonal_T1_iil,@function
_ZN9rocsolver6v33100L18trti2_kernel_smallILi38EdPKPdEEv13rocblas_fill_17rocblas_diagonal_T1_iil: ; @_ZN9rocsolver6v33100L18trti2_kernel_smallILi38EdPKPdEEv13rocblas_fill_17rocblas_diagonal_T1_iil
; %bb.0:
	v_cmp_gt_u32_e32 vcc, 38, v0
	s_and_saveexec_b64 s[4:5], vcc
	s_cbranch_execz .LBB101_730
; %bb.1:
	s_load_dwordx2 s[8:9], s[0:1], 0x10
	s_load_dwordx4 s[4:7], s[0:1], 0x0
	s_ashr_i32 s3, s2, 31
	s_lshl_b64 s[0:1], s[2:3], 3
	v_lshlrev_b32_e32 v18, 3, v0
	s_waitcnt lgkmcnt(0)
	s_ashr_i32 s3, s8, 31
	s_add_u32 s0, s6, s0
	s_addc_u32 s1, s7, s1
	s_load_dwordx2 s[0:1], s[0:1], 0x0
	s_mov_b32 s2, s8
	s_lshl_b64 s[2:3], s[2:3], 3
	v_mov_b32_e32 v19, 0
	s_waitcnt lgkmcnt(0)
	s_add_u32 s0, s0, s2
	s_addc_u32 s1, s1, s3
	v_lshl_add_u64 v[2:3], s[0:1], 0, v[18:19]
	flat_load_dwordx2 v[6:7], v[2:3]
	s_mov_b32 s2, s9
	s_ashr_i32 s3, s9, 31
	v_lshl_add_u64 v[4:5], s[2:3], 3, v[2:3]
	s_add_i32 s2, s9, s9
	v_add_u32_e32 v10, s2, v0
	v_ashrrev_i32_e32 v11, 31, v10
	s_cmpk_lg_i32 s5, 0x84
	s_cselect_b64 s[6:7], -1, 0
	s_cmpk_eq_i32 s5, 0x84
	s_waitcnt vmcnt(0) lgkmcnt(0)
	scratch_store_dwordx2 off, v[6:7], off
	flat_load_dwordx2 v[8:9], v[4:5]
	v_lshl_add_u64 v[6:7], v[10:11], 3, s[0:1]
	v_add_u32_e32 v10, s9, v10
	v_ashrrev_i32_e32 v11, 31, v10
	v_add_u32_e32 v14, s9, v10
	v_ashrrev_i32_e32 v15, 31, v14
	s_waitcnt vmcnt(0) lgkmcnt(0)
	scratch_store_dwordx2 off, v[8:9], off offset:8
	flat_load_dwordx2 v[12:13], v[6:7]
	v_lshl_add_u64 v[8:9], v[10:11], 3, s[0:1]
	v_lshl_add_u64 v[10:11], v[14:15], 3, s[0:1]
	v_add_u32_e32 v14, s9, v14
	v_ashrrev_i32_e32 v15, 31, v14
	v_add_u32_e32 v20, s9, v14
	v_ashrrev_i32_e32 v21, 31, v20
	s_waitcnt vmcnt(0) lgkmcnt(0)
	scratch_store_dwordx2 off, v[12:13], off offset:16
	flat_load_dwordx2 v[12:13], v[8:9]
	s_waitcnt vmcnt(0) lgkmcnt(0)
	scratch_store_dwordx2 off, v[12:13], off offset:24
	flat_load_dwordx2 v[16:17], v[10:11]
	v_lshl_add_u64 v[12:13], v[14:15], 3, s[0:1]
	v_lshl_add_u64 v[14:15], v[20:21], 3, s[0:1]
	v_add_u32_e32 v20, s9, v20
	v_ashrrev_i32_e32 v21, 31, v20
	v_add_u32_e32 v24, s9, v20
	v_ashrrev_i32_e32 v25, 31, v24
	s_waitcnt vmcnt(0) lgkmcnt(0)
	scratch_store_dwordx2 off, v[16:17], off offset:32
	flat_load_dwordx2 v[16:17], v[12:13]
	;; [unrolled: 12-line block ×16, first 2 shown]
	s_waitcnt vmcnt(0) lgkmcnt(0)
	scratch_store_dwordx2 off, v[74:75], off offset:264
	flat_load_dwordx2 v[78:79], v[72:73]
	v_lshl_add_u64 v[74:75], v[76:77], 3, s[0:1]
	v_lshl_add_u64 v[76:77], v[80:81], 3, s[0:1]
	s_waitcnt vmcnt(0) lgkmcnt(0)
	scratch_store_dwordx2 off, v[78:79], off offset:272
	flat_load_dwordx2 v[78:79], v[74:75]
	s_waitcnt vmcnt(0) lgkmcnt(0)
	scratch_store_dwordx2 off, v[78:79], off offset:280
	flat_load_dwordx2 v[82:83], v[76:77]
	v_add_u32_e32 v78, s9, v80
	v_ashrrev_i32_e32 v79, 31, v78
	v_lshl_add_u64 v[78:79], v[78:79], 3, s[0:1]
	s_waitcnt vmcnt(0) lgkmcnt(0)
	scratch_store_dwordx2 off, v[82:83], off offset:288
	flat_load_dwordx2 v[80:81], v[78:79]
	s_waitcnt vmcnt(0) lgkmcnt(0)
	scratch_store_dwordx2 off, v[80:81], off offset:296
	v_mov_b64_e32 v[80:81], -1.0
	s_cbranch_scc1 .LBB101_3
; %bb.2:
	scratch_load_dwordx2 v[80:81], v18, off
	s_waitcnt vmcnt(0)
	v_div_scale_f64 v[82:83], s[0:1], v[80:81], v[80:81], 1.0
	v_rcp_f64_e32 v[84:85], v[82:83]
	v_div_scale_f64 v[86:87], vcc, 1.0, v[80:81], 1.0
	v_fma_f64 v[88:89], -v[82:83], v[84:85], 1.0
	v_fmac_f64_e32 v[84:85], v[84:85], v[88:89]
	v_fma_f64 v[88:89], -v[82:83], v[84:85], 1.0
	v_fmac_f64_e32 v[84:85], v[84:85], v[88:89]
	v_mul_f64 v[88:89], v[86:87], v[84:85]
	v_fma_f64 v[82:83], -v[82:83], v[88:89], v[86:87]
	v_div_fmas_f64 v[82:83], v[82:83], v[84:85], v[88:89]
	v_div_fixup_f64 v[80:81], v[82:83], v[80:81], 1.0
	scratch_store_dwordx2 v18, v[80:81], off
	v_xor_b32_e32 v81, 0x80000000, v81
.LBB101_3:
	s_cmpk_eq_i32 s4, 0x79
	v_add_u32_e32 v1, 0x130, v18
	v_mov_b32_e32 v19, v18
	s_mov_b64 s[0:1], -1
	ds_write_b64 v18, v[80:81]
	s_cbranch_scc1 .LBB101_367
; %bb.4:
	scratch_load_dwordx2 v[80:81], off, off offset:288
	s_movk_i32 s8, 0x48
	s_movk_i32 s9, 0x50
	s_movk_i32 s20, 0x58
	s_movk_i32 s21, 0x60
	s_movk_i32 s22, 0x68
	s_movk_i32 s23, 0x70
	s_movk_i32 s24, 0x78
	s_movk_i32 s25, 0x80
	s_movk_i32 s26, 0x88
	s_movk_i32 s27, 0x90
	s_movk_i32 s28, 0x98
	s_movk_i32 s29, 0xa0
	s_movk_i32 s30, 0xa8
	s_movk_i32 s31, 0xb0
	s_movk_i32 s33, 0xb8
	s_movk_i32 s34, 0xc0
	s_movk_i32 s35, 0xc8
	s_movk_i32 s36, 0xd0
	s_movk_i32 s37, 0xd8
	s_movk_i32 s38, 0xe0
	s_movk_i32 s39, 0xe8
	s_movk_i32 s40, 0xf0
	s_movk_i32 s41, 0xf8
	s_movk_i32 s42, 0x100
	s_movk_i32 s43, 0x108
	s_movk_i32 s44, 0x110
	s_movk_i32 s45, 0x118
	v_cmp_eq_u32_e64 s[0:1], 37, v0
	s_waitcnt vmcnt(0)
	ds_write_b64 v1, v[80:81]
	s_waitcnt lgkmcnt(0)
	; wave barrier
	s_and_saveexec_b64 s[2:3], s[0:1]
	s_cbranch_execz .LBB101_10
; %bb.5:
	s_and_b64 vcc, exec, s[6:7]
	s_cbranch_vccz .LBB101_7
; %bb.6:
	scratch_load_dwordx2 v[80:81], v19, off
	ds_read_b64 v[82:83], v1
	s_waitcnt vmcnt(0) lgkmcnt(0)
	v_mul_f64 v[80:81], v[80:81], v[82:83]
	s_cbranch_execz .LBB101_8
	s_branch .LBB101_9
.LBB101_7:
                                        ; implicit-def: $vgpr80_vgpr81
.LBB101_8:
	ds_read_b64 v[80:81], v1
.LBB101_9:
	v_mov_b32_e32 v82, 0
	ds_read_b64 v[82:83], v82 offset:288
	s_waitcnt lgkmcnt(0)
	v_mul_f64 v[80:81], v[80:81], v[82:83]
	scratch_store_dwordx2 off, v[80:81], off offset:288
.LBB101_10:
	s_or_b64 exec, exec, s[2:3]
	scratch_load_dwordx2 v[80:81], off, off offset:280
	s_or_b32 s10, 0, 8
	s_mov_b32 s11, 16
	s_mov_b32 s12, 24
	s_mov_b32 s13, 32
	s_mov_b32 s14, 40
	s_mov_b32 s15, 48
	s_mov_b32 s16, 56
	s_mov_b32 s17, 64
	s_mov_b32 s18, s8
	s_mov_b32 s19, s9
	v_cmp_lt_u32_e64 s[2:3], 35, v0
	s_waitcnt vmcnt(0)
	ds_write_b64 v1, v[80:81]
	s_waitcnt lgkmcnt(0)
	; wave barrier
	s_and_saveexec_b64 s[4:5], s[2:3]
	s_cbranch_execz .LBB101_16
; %bb.11:
	s_andn2_b64 vcc, exec, s[6:7]
	s_cbranch_vccnz .LBB101_13
; %bb.12:
	scratch_load_dwordx2 v[80:81], v19, off
	ds_read_b64 v[82:83], v1
	s_waitcnt vmcnt(0) lgkmcnt(0)
	v_mul_f64 v[80:81], v[80:81], v[82:83]
	s_cbranch_execz .LBB101_14
	s_branch .LBB101_15
.LBB101_13:
                                        ; implicit-def: $vgpr80_vgpr81
.LBB101_14:
	ds_read_b64 v[80:81], v1
.LBB101_15:
	scratch_load_dwordx2 v[86:87], off, off offset:288
	v_mov_b32_e32 v82, 0
	ds_read2_b64 v[82:85], v82 offset0:35 offset1:74
	s_waitcnt vmcnt(0) lgkmcnt(0)
	v_fma_f64 v[84:85], v[86:87], v[84:85], v[80:81]
	v_cndmask_b32_e64 v81, v81, v85, s[0:1]
	v_cndmask_b32_e64 v80, v80, v84, s[0:1]
	v_mul_f64 v[80:81], v[80:81], v[82:83]
	scratch_store_dwordx2 off, v[80:81], off offset:280
.LBB101_16:
	s_or_b64 exec, exec, s[4:5]
	scratch_load_dwordx2 v[80:81], off, off offset:272
	v_cmp_lt_u32_e64 s[0:1], 34, v0
	s_waitcnt vmcnt(0)
	ds_write_b64 v1, v[80:81]
	s_waitcnt lgkmcnt(0)
	; wave barrier
	s_and_saveexec_b64 s[4:5], s[0:1]
	s_cbranch_execz .LBB101_26
; %bb.17:
	s_andn2_b64 vcc, exec, s[6:7]
	s_cbranch_vccnz .LBB101_19
; %bb.18:
	scratch_load_dwordx2 v[80:81], v19, off
	ds_read_b64 v[82:83], v1
	s_waitcnt vmcnt(0) lgkmcnt(0)
	v_mul_f64 v[80:81], v[80:81], v[82:83]
	s_cbranch_execz .LBB101_20
	s_branch .LBB101_21
.LBB101_19:
                                        ; implicit-def: $vgpr80_vgpr81
.LBB101_20:
	ds_read_b64 v[80:81], v1
.LBB101_21:
	s_and_saveexec_b64 s[8:9], s[2:3]
	s_cbranch_execz .LBB101_25
; %bb.22:
	v_subrev_u32_e32 v82, 35, v0
	s_movk_i32 s46, 0x248
	s_mov_b64 s[2:3], 0
.LBB101_23:                             ; =>This Inner Loop Header: Depth=1
	scratch_load_dwordx2 v[84:85], off, s45
	v_mov_b32_e32 v83, s46
	ds_read_b64 v[86:87], v83
	v_add_u32_e32 v82, -1, v82
	s_add_i32 s46, s46, 8
	s_add_i32 s45, s45, 8
	v_cmp_eq_u32_e32 vcc, 0, v82
	s_or_b64 s[2:3], vcc, s[2:3]
	s_waitcnt vmcnt(0) lgkmcnt(0)
	v_fmac_f64_e32 v[80:81], v[84:85], v[86:87]
	s_andn2_b64 exec, exec, s[2:3]
	s_cbranch_execnz .LBB101_23
; %bb.24:
	s_or_b64 exec, exec, s[2:3]
.LBB101_25:
	s_or_b64 exec, exec, s[8:9]
	v_mov_b32_e32 v82, 0
	ds_read_b64 v[82:83], v82 offset:272
	s_waitcnt lgkmcnt(0)
	v_mul_f64 v[80:81], v[80:81], v[82:83]
	scratch_store_dwordx2 off, v[80:81], off offset:272
.LBB101_26:
	s_or_b64 exec, exec, s[4:5]
	scratch_load_dwordx2 v[80:81], off, off offset:264
	v_cmp_lt_u32_e64 s[2:3], 33, v0
	s_waitcnt vmcnt(0)
	ds_write_b64 v1, v[80:81]
	s_waitcnt lgkmcnt(0)
	; wave barrier
	s_and_saveexec_b64 s[4:5], s[2:3]
	s_cbranch_execz .LBB101_36
; %bb.27:
	s_andn2_b64 vcc, exec, s[6:7]
	s_cbranch_vccnz .LBB101_29
; %bb.28:
	scratch_load_dwordx2 v[80:81], v19, off
	ds_read_b64 v[82:83], v1
	s_waitcnt vmcnt(0) lgkmcnt(0)
	v_mul_f64 v[80:81], v[80:81], v[82:83]
	s_cbranch_execz .LBB101_30
	s_branch .LBB101_31
.LBB101_29:
                                        ; implicit-def: $vgpr80_vgpr81
.LBB101_30:
	ds_read_b64 v[80:81], v1
.LBB101_31:
	s_and_saveexec_b64 s[8:9], s[0:1]
	s_cbranch_execz .LBB101_35
; %bb.32:
	v_subrev_u32_e32 v82, 34, v0
	s_movk_i32 s45, 0x240
	s_mov_b64 s[0:1], 0
.LBB101_33:                             ; =>This Inner Loop Header: Depth=1
	scratch_load_dwordx2 v[84:85], off, s44
	v_mov_b32_e32 v83, s45
	ds_read_b64 v[86:87], v83
	v_add_u32_e32 v82, -1, v82
	s_add_i32 s45, s45, 8
	s_add_i32 s44, s44, 8
	v_cmp_eq_u32_e32 vcc, 0, v82
	s_or_b64 s[0:1], vcc, s[0:1]
	s_waitcnt vmcnt(0) lgkmcnt(0)
	v_fmac_f64_e32 v[80:81], v[84:85], v[86:87]
	s_andn2_b64 exec, exec, s[0:1]
	s_cbranch_execnz .LBB101_33
; %bb.34:
	s_or_b64 exec, exec, s[0:1]
.LBB101_35:
	s_or_b64 exec, exec, s[8:9]
	v_mov_b32_e32 v82, 0
	ds_read_b64 v[82:83], v82 offset:264
	s_waitcnt lgkmcnt(0)
	v_mul_f64 v[80:81], v[80:81], v[82:83]
	scratch_store_dwordx2 off, v[80:81], off offset:264
.LBB101_36:
	s_or_b64 exec, exec, s[4:5]
	scratch_load_dwordx2 v[80:81], off, off offset:256
	v_cmp_lt_u32_e64 s[0:1], 32, v0
	s_waitcnt vmcnt(0)
	ds_write_b64 v1, v[80:81]
	s_waitcnt lgkmcnt(0)
	; wave barrier
	s_and_saveexec_b64 s[4:5], s[0:1]
	s_cbranch_execz .LBB101_46
; %bb.37:
	s_andn2_b64 vcc, exec, s[6:7]
	s_cbranch_vccnz .LBB101_39
; %bb.38:
	scratch_load_dwordx2 v[80:81], v19, off
	ds_read_b64 v[82:83], v1
	s_waitcnt vmcnt(0) lgkmcnt(0)
	v_mul_f64 v[80:81], v[80:81], v[82:83]
	s_cbranch_execz .LBB101_40
	s_branch .LBB101_41
.LBB101_39:
                                        ; implicit-def: $vgpr80_vgpr81
.LBB101_40:
	ds_read_b64 v[80:81], v1
.LBB101_41:
	s_and_saveexec_b64 s[8:9], s[2:3]
	s_cbranch_execz .LBB101_45
; %bb.42:
	v_subrev_u32_e32 v82, 33, v0
	s_movk_i32 s44, 0x238
	s_mov_b64 s[2:3], 0
.LBB101_43:                             ; =>This Inner Loop Header: Depth=1
	scratch_load_dwordx2 v[84:85], off, s43
	v_mov_b32_e32 v83, s44
	ds_read_b64 v[86:87], v83
	v_add_u32_e32 v82, -1, v82
	s_add_i32 s44, s44, 8
	s_add_i32 s43, s43, 8
	v_cmp_eq_u32_e32 vcc, 0, v82
	s_or_b64 s[2:3], vcc, s[2:3]
	s_waitcnt vmcnt(0) lgkmcnt(0)
	v_fmac_f64_e32 v[80:81], v[84:85], v[86:87]
	s_andn2_b64 exec, exec, s[2:3]
	s_cbranch_execnz .LBB101_43
; %bb.44:
	s_or_b64 exec, exec, s[2:3]
.LBB101_45:
	s_or_b64 exec, exec, s[8:9]
	v_mov_b32_e32 v82, 0
	ds_read_b64 v[82:83], v82 offset:256
	s_waitcnt lgkmcnt(0)
	v_mul_f64 v[80:81], v[80:81], v[82:83]
	scratch_store_dwordx2 off, v[80:81], off offset:256
.LBB101_46:
	s_or_b64 exec, exec, s[4:5]
	scratch_load_dwordx2 v[80:81], off, off offset:248
	v_cmp_lt_u32_e64 s[2:3], 31, v0
	s_waitcnt vmcnt(0)
	ds_write_b64 v1, v[80:81]
	s_waitcnt lgkmcnt(0)
	; wave barrier
	s_and_saveexec_b64 s[4:5], s[2:3]
	s_cbranch_execz .LBB101_56
; %bb.47:
	s_andn2_b64 vcc, exec, s[6:7]
	s_cbranch_vccnz .LBB101_49
; %bb.48:
	scratch_load_dwordx2 v[80:81], v19, off
	ds_read_b64 v[82:83], v1
	s_waitcnt vmcnt(0) lgkmcnt(0)
	v_mul_f64 v[80:81], v[80:81], v[82:83]
	s_cbranch_execz .LBB101_50
	s_branch .LBB101_51
.LBB101_49:
                                        ; implicit-def: $vgpr80_vgpr81
.LBB101_50:
	ds_read_b64 v[80:81], v1
.LBB101_51:
	s_and_saveexec_b64 s[8:9], s[0:1]
	s_cbranch_execz .LBB101_55
; %bb.52:
	v_subrev_u32_e32 v82, 32, v0
	s_movk_i32 s43, 0x230
	s_mov_b64 s[0:1], 0
.LBB101_53:                             ; =>This Inner Loop Header: Depth=1
	scratch_load_dwordx2 v[84:85], off, s42
	v_mov_b32_e32 v83, s43
	ds_read_b64 v[86:87], v83
	v_add_u32_e32 v82, -1, v82
	s_add_i32 s43, s43, 8
	s_add_i32 s42, s42, 8
	v_cmp_eq_u32_e32 vcc, 0, v82
	s_or_b64 s[0:1], vcc, s[0:1]
	s_waitcnt vmcnt(0) lgkmcnt(0)
	v_fmac_f64_e32 v[80:81], v[84:85], v[86:87]
	s_andn2_b64 exec, exec, s[0:1]
	s_cbranch_execnz .LBB101_53
; %bb.54:
	s_or_b64 exec, exec, s[0:1]
.LBB101_55:
	s_or_b64 exec, exec, s[8:9]
	v_mov_b32_e32 v82, 0
	ds_read_b64 v[82:83], v82 offset:248
	s_waitcnt lgkmcnt(0)
	v_mul_f64 v[80:81], v[80:81], v[82:83]
	scratch_store_dwordx2 off, v[80:81], off offset:248
.LBB101_56:
	s_or_b64 exec, exec, s[4:5]
	scratch_load_dwordx2 v[80:81], off, off offset:240
	v_cmp_lt_u32_e64 s[0:1], 30, v0
	s_waitcnt vmcnt(0)
	ds_write_b64 v1, v[80:81]
	s_waitcnt lgkmcnt(0)
	; wave barrier
	s_and_saveexec_b64 s[4:5], s[0:1]
	s_cbranch_execz .LBB101_66
; %bb.57:
	s_andn2_b64 vcc, exec, s[6:7]
	s_cbranch_vccnz .LBB101_59
; %bb.58:
	scratch_load_dwordx2 v[80:81], v19, off
	ds_read_b64 v[82:83], v1
	s_waitcnt vmcnt(0) lgkmcnt(0)
	v_mul_f64 v[80:81], v[80:81], v[82:83]
	s_cbranch_execz .LBB101_60
	s_branch .LBB101_61
.LBB101_59:
                                        ; implicit-def: $vgpr80_vgpr81
.LBB101_60:
	ds_read_b64 v[80:81], v1
.LBB101_61:
	s_and_saveexec_b64 s[8:9], s[2:3]
	s_cbranch_execz .LBB101_65
; %bb.62:
	v_subrev_u32_e32 v82, 31, v0
	s_movk_i32 s42, 0x228
	s_mov_b64 s[2:3], 0
.LBB101_63:                             ; =>This Inner Loop Header: Depth=1
	scratch_load_dwordx2 v[84:85], off, s41
	v_mov_b32_e32 v83, s42
	ds_read_b64 v[86:87], v83
	v_add_u32_e32 v82, -1, v82
	s_add_i32 s42, s42, 8
	s_add_i32 s41, s41, 8
	v_cmp_eq_u32_e32 vcc, 0, v82
	s_or_b64 s[2:3], vcc, s[2:3]
	s_waitcnt vmcnt(0) lgkmcnt(0)
	v_fmac_f64_e32 v[80:81], v[84:85], v[86:87]
	s_andn2_b64 exec, exec, s[2:3]
	s_cbranch_execnz .LBB101_63
; %bb.64:
	s_or_b64 exec, exec, s[2:3]
.LBB101_65:
	s_or_b64 exec, exec, s[8:9]
	v_mov_b32_e32 v82, 0
	ds_read_b64 v[82:83], v82 offset:240
	s_waitcnt lgkmcnt(0)
	v_mul_f64 v[80:81], v[80:81], v[82:83]
	scratch_store_dwordx2 off, v[80:81], off offset:240
.LBB101_66:
	s_or_b64 exec, exec, s[4:5]
	scratch_load_dwordx2 v[80:81], off, off offset:232
	v_cmp_lt_u32_e64 s[2:3], 29, v0
	s_waitcnt vmcnt(0)
	ds_write_b64 v1, v[80:81]
	s_waitcnt lgkmcnt(0)
	; wave barrier
	s_and_saveexec_b64 s[4:5], s[2:3]
	s_cbranch_execz .LBB101_76
; %bb.67:
	s_andn2_b64 vcc, exec, s[6:7]
	s_cbranch_vccnz .LBB101_69
; %bb.68:
	scratch_load_dwordx2 v[80:81], v19, off
	ds_read_b64 v[82:83], v1
	s_waitcnt vmcnt(0) lgkmcnt(0)
	v_mul_f64 v[80:81], v[80:81], v[82:83]
	s_cbranch_execz .LBB101_70
	s_branch .LBB101_71
.LBB101_69:
                                        ; implicit-def: $vgpr80_vgpr81
.LBB101_70:
	ds_read_b64 v[80:81], v1
.LBB101_71:
	s_and_saveexec_b64 s[8:9], s[0:1]
	s_cbranch_execz .LBB101_75
; %bb.72:
	v_subrev_u32_e32 v82, 30, v0
	s_movk_i32 s41, 0x220
	s_mov_b64 s[0:1], 0
.LBB101_73:                             ; =>This Inner Loop Header: Depth=1
	scratch_load_dwordx2 v[84:85], off, s40
	v_mov_b32_e32 v83, s41
	ds_read_b64 v[86:87], v83
	v_add_u32_e32 v82, -1, v82
	s_add_i32 s41, s41, 8
	s_add_i32 s40, s40, 8
	v_cmp_eq_u32_e32 vcc, 0, v82
	s_or_b64 s[0:1], vcc, s[0:1]
	s_waitcnt vmcnt(0) lgkmcnt(0)
	v_fmac_f64_e32 v[80:81], v[84:85], v[86:87]
	s_andn2_b64 exec, exec, s[0:1]
	s_cbranch_execnz .LBB101_73
; %bb.74:
	s_or_b64 exec, exec, s[0:1]
.LBB101_75:
	s_or_b64 exec, exec, s[8:9]
	v_mov_b32_e32 v82, 0
	ds_read_b64 v[82:83], v82 offset:232
	s_waitcnt lgkmcnt(0)
	v_mul_f64 v[80:81], v[80:81], v[82:83]
	scratch_store_dwordx2 off, v[80:81], off offset:232
.LBB101_76:
	s_or_b64 exec, exec, s[4:5]
	scratch_load_dwordx2 v[80:81], off, off offset:224
	v_cmp_lt_u32_e64 s[0:1], 28, v0
	s_waitcnt vmcnt(0)
	ds_write_b64 v1, v[80:81]
	s_waitcnt lgkmcnt(0)
	; wave barrier
	s_and_saveexec_b64 s[4:5], s[0:1]
	s_cbranch_execz .LBB101_86
; %bb.77:
	s_andn2_b64 vcc, exec, s[6:7]
	s_cbranch_vccnz .LBB101_79
; %bb.78:
	scratch_load_dwordx2 v[80:81], v19, off
	ds_read_b64 v[82:83], v1
	s_waitcnt vmcnt(0) lgkmcnt(0)
	v_mul_f64 v[80:81], v[80:81], v[82:83]
	s_cbranch_execz .LBB101_80
	s_branch .LBB101_81
.LBB101_79:
                                        ; implicit-def: $vgpr80_vgpr81
.LBB101_80:
	ds_read_b64 v[80:81], v1
.LBB101_81:
	s_and_saveexec_b64 s[8:9], s[2:3]
	s_cbranch_execz .LBB101_85
; %bb.82:
	v_subrev_u32_e32 v82, 29, v0
	s_movk_i32 s40, 0x218
	s_mov_b64 s[2:3], 0
.LBB101_83:                             ; =>This Inner Loop Header: Depth=1
	scratch_load_dwordx2 v[84:85], off, s39
	v_mov_b32_e32 v83, s40
	ds_read_b64 v[86:87], v83
	v_add_u32_e32 v82, -1, v82
	s_add_i32 s40, s40, 8
	s_add_i32 s39, s39, 8
	v_cmp_eq_u32_e32 vcc, 0, v82
	s_or_b64 s[2:3], vcc, s[2:3]
	s_waitcnt vmcnt(0) lgkmcnt(0)
	v_fmac_f64_e32 v[80:81], v[84:85], v[86:87]
	s_andn2_b64 exec, exec, s[2:3]
	s_cbranch_execnz .LBB101_83
; %bb.84:
	s_or_b64 exec, exec, s[2:3]
.LBB101_85:
	s_or_b64 exec, exec, s[8:9]
	v_mov_b32_e32 v82, 0
	ds_read_b64 v[82:83], v82 offset:224
	s_waitcnt lgkmcnt(0)
	v_mul_f64 v[80:81], v[80:81], v[82:83]
	scratch_store_dwordx2 off, v[80:81], off offset:224
.LBB101_86:
	s_or_b64 exec, exec, s[4:5]
	scratch_load_dwordx2 v[80:81], off, off offset:216
	v_cmp_lt_u32_e64 s[2:3], 27, v0
	s_waitcnt vmcnt(0)
	ds_write_b64 v1, v[80:81]
	s_waitcnt lgkmcnt(0)
	; wave barrier
	s_and_saveexec_b64 s[4:5], s[2:3]
	s_cbranch_execz .LBB101_96
; %bb.87:
	s_andn2_b64 vcc, exec, s[6:7]
	s_cbranch_vccnz .LBB101_89
; %bb.88:
	scratch_load_dwordx2 v[80:81], v19, off
	ds_read_b64 v[82:83], v1
	s_waitcnt vmcnt(0) lgkmcnt(0)
	v_mul_f64 v[80:81], v[80:81], v[82:83]
	s_cbranch_execz .LBB101_90
	s_branch .LBB101_91
.LBB101_89:
                                        ; implicit-def: $vgpr80_vgpr81
.LBB101_90:
	ds_read_b64 v[80:81], v1
.LBB101_91:
	s_and_saveexec_b64 s[8:9], s[0:1]
	s_cbranch_execz .LBB101_95
; %bb.92:
	v_subrev_u32_e32 v82, 28, v0
	s_movk_i32 s39, 0x210
	s_mov_b64 s[0:1], 0
.LBB101_93:                             ; =>This Inner Loop Header: Depth=1
	scratch_load_dwordx2 v[84:85], off, s38
	v_mov_b32_e32 v83, s39
	ds_read_b64 v[86:87], v83
	v_add_u32_e32 v82, -1, v82
	s_add_i32 s39, s39, 8
	s_add_i32 s38, s38, 8
	v_cmp_eq_u32_e32 vcc, 0, v82
	s_or_b64 s[0:1], vcc, s[0:1]
	s_waitcnt vmcnt(0) lgkmcnt(0)
	v_fmac_f64_e32 v[80:81], v[84:85], v[86:87]
	s_andn2_b64 exec, exec, s[0:1]
	s_cbranch_execnz .LBB101_93
; %bb.94:
	s_or_b64 exec, exec, s[0:1]
.LBB101_95:
	s_or_b64 exec, exec, s[8:9]
	v_mov_b32_e32 v82, 0
	ds_read_b64 v[82:83], v82 offset:216
	s_waitcnt lgkmcnt(0)
	v_mul_f64 v[80:81], v[80:81], v[82:83]
	scratch_store_dwordx2 off, v[80:81], off offset:216
.LBB101_96:
	s_or_b64 exec, exec, s[4:5]
	scratch_load_dwordx2 v[80:81], off, off offset:208
	v_cmp_lt_u32_e64 s[0:1], 26, v0
	s_waitcnt vmcnt(0)
	ds_write_b64 v1, v[80:81]
	s_waitcnt lgkmcnt(0)
	; wave barrier
	s_and_saveexec_b64 s[4:5], s[0:1]
	s_cbranch_execz .LBB101_106
; %bb.97:
	s_andn2_b64 vcc, exec, s[6:7]
	s_cbranch_vccnz .LBB101_99
; %bb.98:
	scratch_load_dwordx2 v[80:81], v19, off
	ds_read_b64 v[82:83], v1
	s_waitcnt vmcnt(0) lgkmcnt(0)
	v_mul_f64 v[80:81], v[80:81], v[82:83]
	s_cbranch_execz .LBB101_100
	s_branch .LBB101_101
.LBB101_99:
                                        ; implicit-def: $vgpr80_vgpr81
.LBB101_100:
	ds_read_b64 v[80:81], v1
.LBB101_101:
	s_and_saveexec_b64 s[8:9], s[2:3]
	s_cbranch_execz .LBB101_105
; %bb.102:
	v_subrev_u32_e32 v82, 27, v0
	s_movk_i32 s38, 0x208
	s_mov_b64 s[2:3], 0
.LBB101_103:                            ; =>This Inner Loop Header: Depth=1
	scratch_load_dwordx2 v[84:85], off, s37
	v_mov_b32_e32 v83, s38
	ds_read_b64 v[86:87], v83
	v_add_u32_e32 v82, -1, v82
	s_add_i32 s38, s38, 8
	s_add_i32 s37, s37, 8
	v_cmp_eq_u32_e32 vcc, 0, v82
	s_or_b64 s[2:3], vcc, s[2:3]
	s_waitcnt vmcnt(0) lgkmcnt(0)
	v_fmac_f64_e32 v[80:81], v[84:85], v[86:87]
	s_andn2_b64 exec, exec, s[2:3]
	s_cbranch_execnz .LBB101_103
; %bb.104:
	s_or_b64 exec, exec, s[2:3]
.LBB101_105:
	s_or_b64 exec, exec, s[8:9]
	v_mov_b32_e32 v82, 0
	ds_read_b64 v[82:83], v82 offset:208
	s_waitcnt lgkmcnt(0)
	v_mul_f64 v[80:81], v[80:81], v[82:83]
	scratch_store_dwordx2 off, v[80:81], off offset:208
.LBB101_106:
	s_or_b64 exec, exec, s[4:5]
	scratch_load_dwordx2 v[80:81], off, off offset:200
	v_cmp_lt_u32_e64 s[2:3], 25, v0
	s_waitcnt vmcnt(0)
	ds_write_b64 v1, v[80:81]
	s_waitcnt lgkmcnt(0)
	; wave barrier
	s_and_saveexec_b64 s[4:5], s[2:3]
	s_cbranch_execz .LBB101_116
; %bb.107:
	s_andn2_b64 vcc, exec, s[6:7]
	s_cbranch_vccnz .LBB101_109
; %bb.108:
	scratch_load_dwordx2 v[80:81], v19, off
	ds_read_b64 v[82:83], v1
	s_waitcnt vmcnt(0) lgkmcnt(0)
	v_mul_f64 v[80:81], v[80:81], v[82:83]
	s_cbranch_execz .LBB101_110
	s_branch .LBB101_111
.LBB101_109:
                                        ; implicit-def: $vgpr80_vgpr81
.LBB101_110:
	ds_read_b64 v[80:81], v1
.LBB101_111:
	s_and_saveexec_b64 s[8:9], s[0:1]
	s_cbranch_execz .LBB101_115
; %bb.112:
	v_subrev_u32_e32 v82, 26, v0
	s_movk_i32 s37, 0x200
	s_mov_b64 s[0:1], 0
.LBB101_113:                            ; =>This Inner Loop Header: Depth=1
	scratch_load_dwordx2 v[84:85], off, s36
	v_mov_b32_e32 v83, s37
	ds_read_b64 v[86:87], v83
	v_add_u32_e32 v82, -1, v82
	s_add_i32 s37, s37, 8
	s_add_i32 s36, s36, 8
	v_cmp_eq_u32_e32 vcc, 0, v82
	s_or_b64 s[0:1], vcc, s[0:1]
	s_waitcnt vmcnt(0) lgkmcnt(0)
	v_fmac_f64_e32 v[80:81], v[84:85], v[86:87]
	s_andn2_b64 exec, exec, s[0:1]
	s_cbranch_execnz .LBB101_113
; %bb.114:
	s_or_b64 exec, exec, s[0:1]
.LBB101_115:
	s_or_b64 exec, exec, s[8:9]
	v_mov_b32_e32 v82, 0
	ds_read_b64 v[82:83], v82 offset:200
	s_waitcnt lgkmcnt(0)
	v_mul_f64 v[80:81], v[80:81], v[82:83]
	scratch_store_dwordx2 off, v[80:81], off offset:200
.LBB101_116:
	s_or_b64 exec, exec, s[4:5]
	scratch_load_dwordx2 v[80:81], off, off offset:192
	v_cmp_lt_u32_e64 s[0:1], 24, v0
	s_waitcnt vmcnt(0)
	ds_write_b64 v1, v[80:81]
	s_waitcnt lgkmcnt(0)
	; wave barrier
	s_and_saveexec_b64 s[4:5], s[0:1]
	s_cbranch_execz .LBB101_126
; %bb.117:
	s_andn2_b64 vcc, exec, s[6:7]
	s_cbranch_vccnz .LBB101_119
; %bb.118:
	scratch_load_dwordx2 v[80:81], v19, off
	ds_read_b64 v[82:83], v1
	s_waitcnt vmcnt(0) lgkmcnt(0)
	v_mul_f64 v[80:81], v[80:81], v[82:83]
	s_cbranch_execz .LBB101_120
	s_branch .LBB101_121
.LBB101_119:
                                        ; implicit-def: $vgpr80_vgpr81
.LBB101_120:
	ds_read_b64 v[80:81], v1
.LBB101_121:
	s_and_saveexec_b64 s[8:9], s[2:3]
	s_cbranch_execz .LBB101_125
; %bb.122:
	v_subrev_u32_e32 v82, 25, v0
	s_movk_i32 s36, 0x1f8
	s_mov_b64 s[2:3], 0
.LBB101_123:                            ; =>This Inner Loop Header: Depth=1
	scratch_load_dwordx2 v[84:85], off, s35
	v_mov_b32_e32 v83, s36
	ds_read_b64 v[86:87], v83
	v_add_u32_e32 v82, -1, v82
	s_add_i32 s36, s36, 8
	s_add_i32 s35, s35, 8
	v_cmp_eq_u32_e32 vcc, 0, v82
	s_or_b64 s[2:3], vcc, s[2:3]
	s_waitcnt vmcnt(0) lgkmcnt(0)
	v_fmac_f64_e32 v[80:81], v[84:85], v[86:87]
	s_andn2_b64 exec, exec, s[2:3]
	s_cbranch_execnz .LBB101_123
; %bb.124:
	s_or_b64 exec, exec, s[2:3]
.LBB101_125:
	s_or_b64 exec, exec, s[8:9]
	v_mov_b32_e32 v82, 0
	ds_read_b64 v[82:83], v82 offset:192
	s_waitcnt lgkmcnt(0)
	v_mul_f64 v[80:81], v[80:81], v[82:83]
	scratch_store_dwordx2 off, v[80:81], off offset:192
.LBB101_126:
	s_or_b64 exec, exec, s[4:5]
	scratch_load_dwordx2 v[80:81], off, off offset:184
	v_cmp_lt_u32_e64 s[2:3], 23, v0
	s_waitcnt vmcnt(0)
	ds_write_b64 v1, v[80:81]
	s_waitcnt lgkmcnt(0)
	; wave barrier
	s_and_saveexec_b64 s[4:5], s[2:3]
	s_cbranch_execz .LBB101_136
; %bb.127:
	s_andn2_b64 vcc, exec, s[6:7]
	s_cbranch_vccnz .LBB101_129
; %bb.128:
	scratch_load_dwordx2 v[80:81], v19, off
	ds_read_b64 v[82:83], v1
	s_waitcnt vmcnt(0) lgkmcnt(0)
	v_mul_f64 v[80:81], v[80:81], v[82:83]
	s_cbranch_execz .LBB101_130
	s_branch .LBB101_131
.LBB101_129:
                                        ; implicit-def: $vgpr80_vgpr81
.LBB101_130:
	ds_read_b64 v[80:81], v1
.LBB101_131:
	s_and_saveexec_b64 s[8:9], s[0:1]
	s_cbranch_execz .LBB101_135
; %bb.132:
	v_subrev_u32_e32 v82, 24, v0
	s_movk_i32 s35, 0x1f0
	s_mov_b64 s[0:1], 0
.LBB101_133:                            ; =>This Inner Loop Header: Depth=1
	scratch_load_dwordx2 v[84:85], off, s34
	v_mov_b32_e32 v83, s35
	ds_read_b64 v[86:87], v83
	v_add_u32_e32 v82, -1, v82
	s_add_i32 s35, s35, 8
	s_add_i32 s34, s34, 8
	v_cmp_eq_u32_e32 vcc, 0, v82
	s_or_b64 s[0:1], vcc, s[0:1]
	s_waitcnt vmcnt(0) lgkmcnt(0)
	v_fmac_f64_e32 v[80:81], v[84:85], v[86:87]
	s_andn2_b64 exec, exec, s[0:1]
	s_cbranch_execnz .LBB101_133
; %bb.134:
	s_or_b64 exec, exec, s[0:1]
.LBB101_135:
	s_or_b64 exec, exec, s[8:9]
	v_mov_b32_e32 v82, 0
	ds_read_b64 v[82:83], v82 offset:184
	s_waitcnt lgkmcnt(0)
	v_mul_f64 v[80:81], v[80:81], v[82:83]
	scratch_store_dwordx2 off, v[80:81], off offset:184
.LBB101_136:
	s_or_b64 exec, exec, s[4:5]
	scratch_load_dwordx2 v[80:81], off, off offset:176
	v_cmp_lt_u32_e64 s[0:1], 22, v0
	s_waitcnt vmcnt(0)
	ds_write_b64 v1, v[80:81]
	s_waitcnt lgkmcnt(0)
	; wave barrier
	s_and_saveexec_b64 s[4:5], s[0:1]
	s_cbranch_execz .LBB101_146
; %bb.137:
	s_andn2_b64 vcc, exec, s[6:7]
	s_cbranch_vccnz .LBB101_139
; %bb.138:
	scratch_load_dwordx2 v[80:81], v19, off
	ds_read_b64 v[82:83], v1
	s_waitcnt vmcnt(0) lgkmcnt(0)
	v_mul_f64 v[80:81], v[80:81], v[82:83]
	s_cbranch_execz .LBB101_140
	s_branch .LBB101_141
.LBB101_139:
                                        ; implicit-def: $vgpr80_vgpr81
.LBB101_140:
	ds_read_b64 v[80:81], v1
.LBB101_141:
	s_and_saveexec_b64 s[8:9], s[2:3]
	s_cbranch_execz .LBB101_145
; %bb.142:
	v_subrev_u32_e32 v82, 23, v0
	s_movk_i32 s34, 0x1e8
	s_mov_b64 s[2:3], 0
.LBB101_143:                            ; =>This Inner Loop Header: Depth=1
	scratch_load_dwordx2 v[84:85], off, s33
	v_mov_b32_e32 v83, s34
	ds_read_b64 v[86:87], v83
	v_add_u32_e32 v82, -1, v82
	s_add_i32 s34, s34, 8
	s_add_i32 s33, s33, 8
	v_cmp_eq_u32_e32 vcc, 0, v82
	s_or_b64 s[2:3], vcc, s[2:3]
	s_waitcnt vmcnt(0) lgkmcnt(0)
	v_fmac_f64_e32 v[80:81], v[84:85], v[86:87]
	s_andn2_b64 exec, exec, s[2:3]
	s_cbranch_execnz .LBB101_143
; %bb.144:
	s_or_b64 exec, exec, s[2:3]
.LBB101_145:
	s_or_b64 exec, exec, s[8:9]
	v_mov_b32_e32 v82, 0
	ds_read_b64 v[82:83], v82 offset:176
	s_waitcnt lgkmcnt(0)
	v_mul_f64 v[80:81], v[80:81], v[82:83]
	scratch_store_dwordx2 off, v[80:81], off offset:176
.LBB101_146:
	s_or_b64 exec, exec, s[4:5]
	scratch_load_dwordx2 v[80:81], off, off offset:168
	v_cmp_lt_u32_e64 s[2:3], 21, v0
	s_waitcnt vmcnt(0)
	ds_write_b64 v1, v[80:81]
	s_waitcnt lgkmcnt(0)
	; wave barrier
	s_and_saveexec_b64 s[4:5], s[2:3]
	s_cbranch_execz .LBB101_156
; %bb.147:
	s_andn2_b64 vcc, exec, s[6:7]
	s_cbranch_vccnz .LBB101_149
; %bb.148:
	scratch_load_dwordx2 v[80:81], v19, off
	ds_read_b64 v[82:83], v1
	s_waitcnt vmcnt(0) lgkmcnt(0)
	v_mul_f64 v[80:81], v[80:81], v[82:83]
	s_cbranch_execz .LBB101_150
	s_branch .LBB101_151
.LBB101_149:
                                        ; implicit-def: $vgpr80_vgpr81
.LBB101_150:
	ds_read_b64 v[80:81], v1
.LBB101_151:
	s_and_saveexec_b64 s[8:9], s[0:1]
	s_cbranch_execz .LBB101_155
; %bb.152:
	v_subrev_u32_e32 v82, 22, v0
	s_movk_i32 s33, 0x1e0
	s_mov_b64 s[0:1], 0
.LBB101_153:                            ; =>This Inner Loop Header: Depth=1
	scratch_load_dwordx2 v[84:85], off, s31
	v_mov_b32_e32 v83, s33
	ds_read_b64 v[86:87], v83
	v_add_u32_e32 v82, -1, v82
	s_add_i32 s33, s33, 8
	s_add_i32 s31, s31, 8
	v_cmp_eq_u32_e32 vcc, 0, v82
	s_or_b64 s[0:1], vcc, s[0:1]
	s_waitcnt vmcnt(0) lgkmcnt(0)
	v_fmac_f64_e32 v[80:81], v[84:85], v[86:87]
	s_andn2_b64 exec, exec, s[0:1]
	s_cbranch_execnz .LBB101_153
; %bb.154:
	s_or_b64 exec, exec, s[0:1]
.LBB101_155:
	s_or_b64 exec, exec, s[8:9]
	v_mov_b32_e32 v82, 0
	ds_read_b64 v[82:83], v82 offset:168
	s_waitcnt lgkmcnt(0)
	v_mul_f64 v[80:81], v[80:81], v[82:83]
	scratch_store_dwordx2 off, v[80:81], off offset:168
.LBB101_156:
	s_or_b64 exec, exec, s[4:5]
	scratch_load_dwordx2 v[80:81], off, off offset:160
	v_cmp_lt_u32_e64 s[0:1], 20, v0
	s_waitcnt vmcnt(0)
	ds_write_b64 v1, v[80:81]
	s_waitcnt lgkmcnt(0)
	; wave barrier
	s_and_saveexec_b64 s[4:5], s[0:1]
	s_cbranch_execz .LBB101_166
; %bb.157:
	s_andn2_b64 vcc, exec, s[6:7]
	s_cbranch_vccnz .LBB101_159
; %bb.158:
	scratch_load_dwordx2 v[80:81], v19, off
	ds_read_b64 v[82:83], v1
	s_waitcnt vmcnt(0) lgkmcnt(0)
	v_mul_f64 v[80:81], v[80:81], v[82:83]
	s_cbranch_execz .LBB101_160
	s_branch .LBB101_161
.LBB101_159:
                                        ; implicit-def: $vgpr80_vgpr81
.LBB101_160:
	ds_read_b64 v[80:81], v1
.LBB101_161:
	s_and_saveexec_b64 s[8:9], s[2:3]
	s_cbranch_execz .LBB101_165
; %bb.162:
	v_subrev_u32_e32 v82, 21, v0
	s_movk_i32 s31, 0x1d8
	s_mov_b64 s[2:3], 0
.LBB101_163:                            ; =>This Inner Loop Header: Depth=1
	scratch_load_dwordx2 v[84:85], off, s30
	v_mov_b32_e32 v83, s31
	ds_read_b64 v[86:87], v83
	v_add_u32_e32 v82, -1, v82
	s_add_i32 s31, s31, 8
	s_add_i32 s30, s30, 8
	v_cmp_eq_u32_e32 vcc, 0, v82
	s_or_b64 s[2:3], vcc, s[2:3]
	s_waitcnt vmcnt(0) lgkmcnt(0)
	v_fmac_f64_e32 v[80:81], v[84:85], v[86:87]
	s_andn2_b64 exec, exec, s[2:3]
	s_cbranch_execnz .LBB101_163
; %bb.164:
	s_or_b64 exec, exec, s[2:3]
.LBB101_165:
	s_or_b64 exec, exec, s[8:9]
	v_mov_b32_e32 v82, 0
	ds_read_b64 v[82:83], v82 offset:160
	s_waitcnt lgkmcnt(0)
	v_mul_f64 v[80:81], v[80:81], v[82:83]
	scratch_store_dwordx2 off, v[80:81], off offset:160
.LBB101_166:
	s_or_b64 exec, exec, s[4:5]
	scratch_load_dwordx2 v[80:81], off, off offset:152
	v_cmp_lt_u32_e64 s[2:3], 19, v0
	s_waitcnt vmcnt(0)
	ds_write_b64 v1, v[80:81]
	s_waitcnt lgkmcnt(0)
	; wave barrier
	s_and_saveexec_b64 s[4:5], s[2:3]
	s_cbranch_execz .LBB101_176
; %bb.167:
	s_andn2_b64 vcc, exec, s[6:7]
	s_cbranch_vccnz .LBB101_169
; %bb.168:
	scratch_load_dwordx2 v[80:81], v19, off
	ds_read_b64 v[82:83], v1
	s_waitcnt vmcnt(0) lgkmcnt(0)
	v_mul_f64 v[80:81], v[80:81], v[82:83]
	s_cbranch_execz .LBB101_170
	s_branch .LBB101_171
.LBB101_169:
                                        ; implicit-def: $vgpr80_vgpr81
.LBB101_170:
	ds_read_b64 v[80:81], v1
.LBB101_171:
	s_and_saveexec_b64 s[8:9], s[0:1]
	s_cbranch_execz .LBB101_175
; %bb.172:
	v_subrev_u32_e32 v82, 20, v0
	s_movk_i32 s30, 0x1d0
	s_mov_b64 s[0:1], 0
.LBB101_173:                            ; =>This Inner Loop Header: Depth=1
	scratch_load_dwordx2 v[84:85], off, s29
	v_mov_b32_e32 v83, s30
	ds_read_b64 v[86:87], v83
	v_add_u32_e32 v82, -1, v82
	s_add_i32 s30, s30, 8
	s_add_i32 s29, s29, 8
	v_cmp_eq_u32_e32 vcc, 0, v82
	s_or_b64 s[0:1], vcc, s[0:1]
	s_waitcnt vmcnt(0) lgkmcnt(0)
	v_fmac_f64_e32 v[80:81], v[84:85], v[86:87]
	s_andn2_b64 exec, exec, s[0:1]
	s_cbranch_execnz .LBB101_173
; %bb.174:
	s_or_b64 exec, exec, s[0:1]
.LBB101_175:
	s_or_b64 exec, exec, s[8:9]
	v_mov_b32_e32 v82, 0
	ds_read_b64 v[82:83], v82 offset:152
	s_waitcnt lgkmcnt(0)
	v_mul_f64 v[80:81], v[80:81], v[82:83]
	scratch_store_dwordx2 off, v[80:81], off offset:152
.LBB101_176:
	s_or_b64 exec, exec, s[4:5]
	scratch_load_dwordx2 v[80:81], off, off offset:144
	v_cmp_lt_u32_e64 s[0:1], 18, v0
	s_waitcnt vmcnt(0)
	ds_write_b64 v1, v[80:81]
	s_waitcnt lgkmcnt(0)
	; wave barrier
	s_and_saveexec_b64 s[4:5], s[0:1]
	s_cbranch_execz .LBB101_186
; %bb.177:
	s_andn2_b64 vcc, exec, s[6:7]
	s_cbranch_vccnz .LBB101_179
; %bb.178:
	scratch_load_dwordx2 v[80:81], v19, off
	ds_read_b64 v[82:83], v1
	s_waitcnt vmcnt(0) lgkmcnt(0)
	v_mul_f64 v[80:81], v[80:81], v[82:83]
	s_cbranch_execz .LBB101_180
	s_branch .LBB101_181
.LBB101_179:
                                        ; implicit-def: $vgpr80_vgpr81
.LBB101_180:
	ds_read_b64 v[80:81], v1
.LBB101_181:
	s_and_saveexec_b64 s[8:9], s[2:3]
	s_cbranch_execz .LBB101_185
; %bb.182:
	v_subrev_u32_e32 v82, 19, v0
	s_movk_i32 s29, 0x1c8
	s_mov_b64 s[2:3], 0
.LBB101_183:                            ; =>This Inner Loop Header: Depth=1
	scratch_load_dwordx2 v[84:85], off, s28
	v_mov_b32_e32 v83, s29
	ds_read_b64 v[86:87], v83
	v_add_u32_e32 v82, -1, v82
	s_add_i32 s29, s29, 8
	s_add_i32 s28, s28, 8
	v_cmp_eq_u32_e32 vcc, 0, v82
	s_or_b64 s[2:3], vcc, s[2:3]
	s_waitcnt vmcnt(0) lgkmcnt(0)
	v_fmac_f64_e32 v[80:81], v[84:85], v[86:87]
	s_andn2_b64 exec, exec, s[2:3]
	s_cbranch_execnz .LBB101_183
; %bb.184:
	s_or_b64 exec, exec, s[2:3]
.LBB101_185:
	s_or_b64 exec, exec, s[8:9]
	v_mov_b32_e32 v82, 0
	ds_read_b64 v[82:83], v82 offset:144
	s_waitcnt lgkmcnt(0)
	v_mul_f64 v[80:81], v[80:81], v[82:83]
	scratch_store_dwordx2 off, v[80:81], off offset:144
.LBB101_186:
	s_or_b64 exec, exec, s[4:5]
	scratch_load_dwordx2 v[80:81], off, off offset:136
	v_cmp_lt_u32_e64 s[2:3], 17, v0
	s_waitcnt vmcnt(0)
	ds_write_b64 v1, v[80:81]
	s_waitcnt lgkmcnt(0)
	; wave barrier
	s_and_saveexec_b64 s[4:5], s[2:3]
	s_cbranch_execz .LBB101_196
; %bb.187:
	s_andn2_b64 vcc, exec, s[6:7]
	s_cbranch_vccnz .LBB101_189
; %bb.188:
	scratch_load_dwordx2 v[80:81], v19, off
	ds_read_b64 v[82:83], v1
	s_waitcnt vmcnt(0) lgkmcnt(0)
	v_mul_f64 v[80:81], v[80:81], v[82:83]
	s_cbranch_execz .LBB101_190
	s_branch .LBB101_191
.LBB101_189:
                                        ; implicit-def: $vgpr80_vgpr81
.LBB101_190:
	ds_read_b64 v[80:81], v1
.LBB101_191:
	s_and_saveexec_b64 s[8:9], s[0:1]
	s_cbranch_execz .LBB101_195
; %bb.192:
	v_subrev_u32_e32 v82, 18, v0
	s_movk_i32 s28, 0x1c0
	s_mov_b64 s[0:1], 0
.LBB101_193:                            ; =>This Inner Loop Header: Depth=1
	scratch_load_dwordx2 v[84:85], off, s27
	v_mov_b32_e32 v83, s28
	ds_read_b64 v[86:87], v83
	v_add_u32_e32 v82, -1, v82
	s_add_i32 s28, s28, 8
	s_add_i32 s27, s27, 8
	v_cmp_eq_u32_e32 vcc, 0, v82
	s_or_b64 s[0:1], vcc, s[0:1]
	s_waitcnt vmcnt(0) lgkmcnt(0)
	v_fmac_f64_e32 v[80:81], v[84:85], v[86:87]
	s_andn2_b64 exec, exec, s[0:1]
	s_cbranch_execnz .LBB101_193
; %bb.194:
	s_or_b64 exec, exec, s[0:1]
.LBB101_195:
	s_or_b64 exec, exec, s[8:9]
	v_mov_b32_e32 v82, 0
	ds_read_b64 v[82:83], v82 offset:136
	s_waitcnt lgkmcnt(0)
	v_mul_f64 v[80:81], v[80:81], v[82:83]
	scratch_store_dwordx2 off, v[80:81], off offset:136
.LBB101_196:
	s_or_b64 exec, exec, s[4:5]
	scratch_load_dwordx2 v[80:81], off, off offset:128
	v_cmp_lt_u32_e64 s[0:1], 16, v0
	s_waitcnt vmcnt(0)
	ds_write_b64 v1, v[80:81]
	s_waitcnt lgkmcnt(0)
	; wave barrier
	s_and_saveexec_b64 s[4:5], s[0:1]
	s_cbranch_execz .LBB101_206
; %bb.197:
	s_andn2_b64 vcc, exec, s[6:7]
	s_cbranch_vccnz .LBB101_199
; %bb.198:
	scratch_load_dwordx2 v[80:81], v19, off
	ds_read_b64 v[82:83], v1
	s_waitcnt vmcnt(0) lgkmcnt(0)
	v_mul_f64 v[80:81], v[80:81], v[82:83]
	s_cbranch_execz .LBB101_200
	s_branch .LBB101_201
.LBB101_199:
                                        ; implicit-def: $vgpr80_vgpr81
.LBB101_200:
	ds_read_b64 v[80:81], v1
.LBB101_201:
	s_and_saveexec_b64 s[8:9], s[2:3]
	s_cbranch_execz .LBB101_205
; %bb.202:
	v_subrev_u32_e32 v82, 17, v0
	s_movk_i32 s27, 0x1b8
	s_mov_b64 s[2:3], 0
.LBB101_203:                            ; =>This Inner Loop Header: Depth=1
	scratch_load_dwordx2 v[84:85], off, s26
	v_mov_b32_e32 v83, s27
	ds_read_b64 v[86:87], v83
	v_add_u32_e32 v82, -1, v82
	s_add_i32 s27, s27, 8
	s_add_i32 s26, s26, 8
	v_cmp_eq_u32_e32 vcc, 0, v82
	s_or_b64 s[2:3], vcc, s[2:3]
	s_waitcnt vmcnt(0) lgkmcnt(0)
	v_fmac_f64_e32 v[80:81], v[84:85], v[86:87]
	s_andn2_b64 exec, exec, s[2:3]
	s_cbranch_execnz .LBB101_203
; %bb.204:
	s_or_b64 exec, exec, s[2:3]
.LBB101_205:
	s_or_b64 exec, exec, s[8:9]
	v_mov_b32_e32 v82, 0
	ds_read_b64 v[82:83], v82 offset:128
	s_waitcnt lgkmcnt(0)
	v_mul_f64 v[80:81], v[80:81], v[82:83]
	scratch_store_dwordx2 off, v[80:81], off offset:128
.LBB101_206:
	s_or_b64 exec, exec, s[4:5]
	scratch_load_dwordx2 v[80:81], off, off offset:120
	v_cmp_lt_u32_e64 s[2:3], 15, v0
	s_waitcnt vmcnt(0)
	ds_write_b64 v1, v[80:81]
	s_waitcnt lgkmcnt(0)
	; wave barrier
	s_and_saveexec_b64 s[4:5], s[2:3]
	s_cbranch_execz .LBB101_216
; %bb.207:
	s_andn2_b64 vcc, exec, s[6:7]
	s_cbranch_vccnz .LBB101_209
; %bb.208:
	scratch_load_dwordx2 v[80:81], v19, off
	ds_read_b64 v[82:83], v1
	s_waitcnt vmcnt(0) lgkmcnt(0)
	v_mul_f64 v[80:81], v[80:81], v[82:83]
	s_cbranch_execz .LBB101_210
	s_branch .LBB101_211
.LBB101_209:
                                        ; implicit-def: $vgpr80_vgpr81
.LBB101_210:
	ds_read_b64 v[80:81], v1
.LBB101_211:
	s_and_saveexec_b64 s[8:9], s[0:1]
	s_cbranch_execz .LBB101_215
; %bb.212:
	v_add_u32_e32 v82, -16, v0
	s_movk_i32 s26, 0x1b0
	s_mov_b64 s[0:1], 0
.LBB101_213:                            ; =>This Inner Loop Header: Depth=1
	scratch_load_dwordx2 v[84:85], off, s25
	v_mov_b32_e32 v83, s26
	ds_read_b64 v[86:87], v83
	v_add_u32_e32 v82, -1, v82
	s_add_i32 s26, s26, 8
	s_add_i32 s25, s25, 8
	v_cmp_eq_u32_e32 vcc, 0, v82
	s_or_b64 s[0:1], vcc, s[0:1]
	s_waitcnt vmcnt(0) lgkmcnt(0)
	v_fmac_f64_e32 v[80:81], v[84:85], v[86:87]
	s_andn2_b64 exec, exec, s[0:1]
	s_cbranch_execnz .LBB101_213
; %bb.214:
	s_or_b64 exec, exec, s[0:1]
.LBB101_215:
	s_or_b64 exec, exec, s[8:9]
	v_mov_b32_e32 v82, 0
	ds_read_b64 v[82:83], v82 offset:120
	s_waitcnt lgkmcnt(0)
	v_mul_f64 v[80:81], v[80:81], v[82:83]
	scratch_store_dwordx2 off, v[80:81], off offset:120
.LBB101_216:
	s_or_b64 exec, exec, s[4:5]
	scratch_load_dwordx2 v[80:81], off, off offset:112
	v_cmp_lt_u32_e64 s[0:1], 14, v0
	s_waitcnt vmcnt(0)
	ds_write_b64 v1, v[80:81]
	s_waitcnt lgkmcnt(0)
	; wave barrier
	s_and_saveexec_b64 s[4:5], s[0:1]
	s_cbranch_execz .LBB101_226
; %bb.217:
	s_andn2_b64 vcc, exec, s[6:7]
	s_cbranch_vccnz .LBB101_219
; %bb.218:
	scratch_load_dwordx2 v[80:81], v19, off
	ds_read_b64 v[82:83], v1
	s_waitcnt vmcnt(0) lgkmcnt(0)
	v_mul_f64 v[80:81], v[80:81], v[82:83]
	s_cbranch_execz .LBB101_220
	s_branch .LBB101_221
.LBB101_219:
                                        ; implicit-def: $vgpr80_vgpr81
.LBB101_220:
	ds_read_b64 v[80:81], v1
.LBB101_221:
	s_and_saveexec_b64 s[8:9], s[2:3]
	s_cbranch_execz .LBB101_225
; %bb.222:
	v_add_u32_e32 v82, -15, v0
	s_movk_i32 s25, 0x1a8
	s_mov_b64 s[2:3], 0
.LBB101_223:                            ; =>This Inner Loop Header: Depth=1
	scratch_load_dwordx2 v[84:85], off, s24
	v_mov_b32_e32 v83, s25
	ds_read_b64 v[86:87], v83
	v_add_u32_e32 v82, -1, v82
	s_add_i32 s25, s25, 8
	s_add_i32 s24, s24, 8
	v_cmp_eq_u32_e32 vcc, 0, v82
	s_or_b64 s[2:3], vcc, s[2:3]
	s_waitcnt vmcnt(0) lgkmcnt(0)
	v_fmac_f64_e32 v[80:81], v[84:85], v[86:87]
	s_andn2_b64 exec, exec, s[2:3]
	s_cbranch_execnz .LBB101_223
; %bb.224:
	s_or_b64 exec, exec, s[2:3]
.LBB101_225:
	s_or_b64 exec, exec, s[8:9]
	v_mov_b32_e32 v82, 0
	ds_read_b64 v[82:83], v82 offset:112
	s_waitcnt lgkmcnt(0)
	v_mul_f64 v[80:81], v[80:81], v[82:83]
	scratch_store_dwordx2 off, v[80:81], off offset:112
.LBB101_226:
	s_or_b64 exec, exec, s[4:5]
	scratch_load_dwordx2 v[80:81], off, off offset:104
	v_cmp_lt_u32_e64 s[2:3], 13, v0
	s_waitcnt vmcnt(0)
	ds_write_b64 v1, v[80:81]
	s_waitcnt lgkmcnt(0)
	; wave barrier
	s_and_saveexec_b64 s[4:5], s[2:3]
	s_cbranch_execz .LBB101_236
; %bb.227:
	s_andn2_b64 vcc, exec, s[6:7]
	s_cbranch_vccnz .LBB101_229
; %bb.228:
	scratch_load_dwordx2 v[80:81], v19, off
	ds_read_b64 v[82:83], v1
	s_waitcnt vmcnt(0) lgkmcnt(0)
	v_mul_f64 v[80:81], v[80:81], v[82:83]
	s_cbranch_execz .LBB101_230
	s_branch .LBB101_231
.LBB101_229:
                                        ; implicit-def: $vgpr80_vgpr81
.LBB101_230:
	ds_read_b64 v[80:81], v1
.LBB101_231:
	s_and_saveexec_b64 s[8:9], s[0:1]
	s_cbranch_execz .LBB101_235
; %bb.232:
	v_add_u32_e32 v82, -14, v0
	s_movk_i32 s24, 0x1a0
	s_mov_b64 s[0:1], 0
.LBB101_233:                            ; =>This Inner Loop Header: Depth=1
	scratch_load_dwordx2 v[84:85], off, s23
	v_mov_b32_e32 v83, s24
	ds_read_b64 v[86:87], v83
	v_add_u32_e32 v82, -1, v82
	s_add_i32 s24, s24, 8
	s_add_i32 s23, s23, 8
	v_cmp_eq_u32_e32 vcc, 0, v82
	s_or_b64 s[0:1], vcc, s[0:1]
	s_waitcnt vmcnt(0) lgkmcnt(0)
	v_fmac_f64_e32 v[80:81], v[84:85], v[86:87]
	s_andn2_b64 exec, exec, s[0:1]
	s_cbranch_execnz .LBB101_233
; %bb.234:
	s_or_b64 exec, exec, s[0:1]
.LBB101_235:
	s_or_b64 exec, exec, s[8:9]
	v_mov_b32_e32 v82, 0
	ds_read_b64 v[82:83], v82 offset:104
	s_waitcnt lgkmcnt(0)
	v_mul_f64 v[80:81], v[80:81], v[82:83]
	scratch_store_dwordx2 off, v[80:81], off offset:104
.LBB101_236:
	s_or_b64 exec, exec, s[4:5]
	scratch_load_dwordx2 v[80:81], off, off offset:96
	v_cmp_lt_u32_e64 s[0:1], 12, v0
	s_waitcnt vmcnt(0)
	ds_write_b64 v1, v[80:81]
	s_waitcnt lgkmcnt(0)
	; wave barrier
	s_and_saveexec_b64 s[4:5], s[0:1]
	s_cbranch_execz .LBB101_246
; %bb.237:
	s_andn2_b64 vcc, exec, s[6:7]
	s_cbranch_vccnz .LBB101_239
; %bb.238:
	scratch_load_dwordx2 v[80:81], v19, off
	ds_read_b64 v[82:83], v1
	s_waitcnt vmcnt(0) lgkmcnt(0)
	v_mul_f64 v[80:81], v[80:81], v[82:83]
	s_cbranch_execz .LBB101_240
	s_branch .LBB101_241
.LBB101_239:
                                        ; implicit-def: $vgpr80_vgpr81
.LBB101_240:
	ds_read_b64 v[80:81], v1
.LBB101_241:
	s_and_saveexec_b64 s[8:9], s[2:3]
	s_cbranch_execz .LBB101_245
; %bb.242:
	v_add_u32_e32 v82, -13, v0
	s_movk_i32 s23, 0x198
	s_mov_b64 s[2:3], 0
.LBB101_243:                            ; =>This Inner Loop Header: Depth=1
	scratch_load_dwordx2 v[84:85], off, s22
	v_mov_b32_e32 v83, s23
	ds_read_b64 v[86:87], v83
	v_add_u32_e32 v82, -1, v82
	s_add_i32 s23, s23, 8
	s_add_i32 s22, s22, 8
	v_cmp_eq_u32_e32 vcc, 0, v82
	s_or_b64 s[2:3], vcc, s[2:3]
	s_waitcnt vmcnt(0) lgkmcnt(0)
	v_fmac_f64_e32 v[80:81], v[84:85], v[86:87]
	s_andn2_b64 exec, exec, s[2:3]
	s_cbranch_execnz .LBB101_243
; %bb.244:
	s_or_b64 exec, exec, s[2:3]
.LBB101_245:
	s_or_b64 exec, exec, s[8:9]
	v_mov_b32_e32 v82, 0
	ds_read_b64 v[82:83], v82 offset:96
	s_waitcnt lgkmcnt(0)
	v_mul_f64 v[80:81], v[80:81], v[82:83]
	scratch_store_dwordx2 off, v[80:81], off offset:96
.LBB101_246:
	s_or_b64 exec, exec, s[4:5]
	scratch_load_dwordx2 v[80:81], off, off offset:88
	v_cmp_lt_u32_e64 s[2:3], 11, v0
	s_waitcnt vmcnt(0)
	ds_write_b64 v1, v[80:81]
	s_waitcnt lgkmcnt(0)
	; wave barrier
	s_and_saveexec_b64 s[4:5], s[2:3]
	s_cbranch_execz .LBB101_256
; %bb.247:
	s_andn2_b64 vcc, exec, s[6:7]
	s_cbranch_vccnz .LBB101_249
; %bb.248:
	scratch_load_dwordx2 v[80:81], v19, off
	ds_read_b64 v[82:83], v1
	s_waitcnt vmcnt(0) lgkmcnt(0)
	v_mul_f64 v[80:81], v[80:81], v[82:83]
	s_cbranch_execz .LBB101_250
	s_branch .LBB101_251
.LBB101_249:
                                        ; implicit-def: $vgpr80_vgpr81
.LBB101_250:
	ds_read_b64 v[80:81], v1
.LBB101_251:
	s_and_saveexec_b64 s[8:9], s[0:1]
	s_cbranch_execz .LBB101_255
; %bb.252:
	v_add_u32_e32 v82, -12, v0
	s_movk_i32 s22, 0x190
	s_mov_b64 s[0:1], 0
.LBB101_253:                            ; =>This Inner Loop Header: Depth=1
	scratch_load_dwordx2 v[84:85], off, s21
	v_mov_b32_e32 v83, s22
	ds_read_b64 v[86:87], v83
	v_add_u32_e32 v82, -1, v82
	s_add_i32 s22, s22, 8
	s_add_i32 s21, s21, 8
	v_cmp_eq_u32_e32 vcc, 0, v82
	s_or_b64 s[0:1], vcc, s[0:1]
	s_waitcnt vmcnt(0) lgkmcnt(0)
	v_fmac_f64_e32 v[80:81], v[84:85], v[86:87]
	s_andn2_b64 exec, exec, s[0:1]
	s_cbranch_execnz .LBB101_253
; %bb.254:
	s_or_b64 exec, exec, s[0:1]
.LBB101_255:
	s_or_b64 exec, exec, s[8:9]
	v_mov_b32_e32 v82, 0
	ds_read_b64 v[82:83], v82 offset:88
	s_waitcnt lgkmcnt(0)
	v_mul_f64 v[80:81], v[80:81], v[82:83]
	scratch_store_dwordx2 off, v[80:81], off offset:88
.LBB101_256:
	s_or_b64 exec, exec, s[4:5]
	scratch_load_dwordx2 v[80:81], off, off offset:80
	v_cmp_lt_u32_e64 s[0:1], 10, v0
	s_waitcnt vmcnt(0)
	ds_write_b64 v1, v[80:81]
	s_waitcnt lgkmcnt(0)
	; wave barrier
	s_and_saveexec_b64 s[4:5], s[0:1]
	s_cbranch_execz .LBB101_266
; %bb.257:
	s_andn2_b64 vcc, exec, s[6:7]
	s_cbranch_vccnz .LBB101_259
; %bb.258:
	scratch_load_dwordx2 v[80:81], v19, off
	ds_read_b64 v[82:83], v1
	s_waitcnt vmcnt(0) lgkmcnt(0)
	v_mul_f64 v[80:81], v[80:81], v[82:83]
	s_cbranch_execz .LBB101_260
	s_branch .LBB101_261
.LBB101_259:
                                        ; implicit-def: $vgpr80_vgpr81
.LBB101_260:
	ds_read_b64 v[80:81], v1
.LBB101_261:
	s_and_saveexec_b64 s[8:9], s[2:3]
	s_cbranch_execz .LBB101_265
; %bb.262:
	v_add_u32_e32 v82, -11, v0
	s_movk_i32 s21, 0x188
	s_mov_b64 s[2:3], 0
.LBB101_263:                            ; =>This Inner Loop Header: Depth=1
	scratch_load_dwordx2 v[84:85], off, s20
	v_mov_b32_e32 v83, s21
	ds_read_b64 v[86:87], v83
	v_add_u32_e32 v82, -1, v82
	s_add_i32 s21, s21, 8
	s_add_i32 s20, s20, 8
	v_cmp_eq_u32_e32 vcc, 0, v82
	s_or_b64 s[2:3], vcc, s[2:3]
	s_waitcnt vmcnt(0) lgkmcnt(0)
	v_fmac_f64_e32 v[80:81], v[84:85], v[86:87]
	s_andn2_b64 exec, exec, s[2:3]
	s_cbranch_execnz .LBB101_263
; %bb.264:
	s_or_b64 exec, exec, s[2:3]
.LBB101_265:
	s_or_b64 exec, exec, s[8:9]
	v_mov_b32_e32 v82, 0
	ds_read_b64 v[82:83], v82 offset:80
	s_waitcnt lgkmcnt(0)
	v_mul_f64 v[80:81], v[80:81], v[82:83]
	scratch_store_dwordx2 off, v[80:81], off offset:80
.LBB101_266:
	s_or_b64 exec, exec, s[4:5]
	scratch_load_dwordx2 v[80:81], off, off offset:72
	v_cmp_lt_u32_e64 s[2:3], 9, v0
	s_waitcnt vmcnt(0)
	ds_write_b64 v1, v[80:81]
	s_waitcnt lgkmcnt(0)
	; wave barrier
	s_and_saveexec_b64 s[4:5], s[2:3]
	s_cbranch_execz .LBB101_276
; %bb.267:
	s_andn2_b64 vcc, exec, s[6:7]
	s_cbranch_vccnz .LBB101_269
; %bb.268:
	scratch_load_dwordx2 v[80:81], v19, off
	ds_read_b64 v[82:83], v1
	s_waitcnt vmcnt(0) lgkmcnt(0)
	v_mul_f64 v[80:81], v[80:81], v[82:83]
	s_cbranch_execz .LBB101_270
	s_branch .LBB101_271
.LBB101_269:
                                        ; implicit-def: $vgpr80_vgpr81
.LBB101_270:
	ds_read_b64 v[80:81], v1
.LBB101_271:
	s_and_saveexec_b64 s[8:9], s[0:1]
	s_cbranch_execz .LBB101_275
; %bb.272:
	v_add_u32_e32 v82, -10, v0
	s_movk_i32 s20, 0x180
	s_mov_b64 s[0:1], 0
.LBB101_273:                            ; =>This Inner Loop Header: Depth=1
	scratch_load_dwordx2 v[84:85], off, s19
	v_mov_b32_e32 v83, s20
	ds_read_b64 v[86:87], v83
	v_add_u32_e32 v82, -1, v82
	s_add_i32 s20, s20, 8
	s_add_i32 s19, s19, 8
	v_cmp_eq_u32_e32 vcc, 0, v82
	s_or_b64 s[0:1], vcc, s[0:1]
	s_waitcnt vmcnt(0) lgkmcnt(0)
	v_fmac_f64_e32 v[80:81], v[84:85], v[86:87]
	s_andn2_b64 exec, exec, s[0:1]
	s_cbranch_execnz .LBB101_273
; %bb.274:
	s_or_b64 exec, exec, s[0:1]
.LBB101_275:
	s_or_b64 exec, exec, s[8:9]
	v_mov_b32_e32 v82, 0
	ds_read_b64 v[82:83], v82 offset:72
	s_waitcnt lgkmcnt(0)
	v_mul_f64 v[80:81], v[80:81], v[82:83]
	scratch_store_dwordx2 off, v[80:81], off offset:72
.LBB101_276:
	s_or_b64 exec, exec, s[4:5]
	scratch_load_dwordx2 v[80:81], off, off offset:64
	v_cmp_lt_u32_e64 s[0:1], 8, v0
	s_waitcnt vmcnt(0)
	ds_write_b64 v1, v[80:81]
	s_waitcnt lgkmcnt(0)
	; wave barrier
	s_and_saveexec_b64 s[4:5], s[0:1]
	s_cbranch_execz .LBB101_286
; %bb.277:
	s_andn2_b64 vcc, exec, s[6:7]
	s_cbranch_vccnz .LBB101_279
; %bb.278:
	scratch_load_dwordx2 v[80:81], v19, off
	ds_read_b64 v[82:83], v1
	s_waitcnt vmcnt(0) lgkmcnt(0)
	v_mul_f64 v[80:81], v[80:81], v[82:83]
	s_cbranch_execz .LBB101_280
	s_branch .LBB101_281
.LBB101_279:
                                        ; implicit-def: $vgpr80_vgpr81
.LBB101_280:
	ds_read_b64 v[80:81], v1
.LBB101_281:
	s_and_saveexec_b64 s[8:9], s[2:3]
	s_cbranch_execz .LBB101_285
; %bb.282:
	v_add_u32_e32 v82, -9, v0
	s_movk_i32 s19, 0x178
	s_mov_b64 s[2:3], 0
.LBB101_283:                            ; =>This Inner Loop Header: Depth=1
	scratch_load_dwordx2 v[84:85], off, s18
	v_mov_b32_e32 v83, s19
	ds_read_b64 v[86:87], v83
	v_add_u32_e32 v82, -1, v82
	s_add_i32 s19, s19, 8
	s_add_i32 s18, s18, 8
	v_cmp_eq_u32_e32 vcc, 0, v82
	s_or_b64 s[2:3], vcc, s[2:3]
	s_waitcnt vmcnt(0) lgkmcnt(0)
	v_fmac_f64_e32 v[80:81], v[84:85], v[86:87]
	s_andn2_b64 exec, exec, s[2:3]
	s_cbranch_execnz .LBB101_283
; %bb.284:
	s_or_b64 exec, exec, s[2:3]
.LBB101_285:
	s_or_b64 exec, exec, s[8:9]
	v_mov_b32_e32 v82, 0
	ds_read_b64 v[82:83], v82 offset:64
	s_waitcnt lgkmcnt(0)
	v_mul_f64 v[80:81], v[80:81], v[82:83]
	scratch_store_dwordx2 off, v[80:81], off offset:64
.LBB101_286:
	s_or_b64 exec, exec, s[4:5]
	scratch_load_dwordx2 v[80:81], off, off offset:56
	v_cmp_lt_u32_e64 s[2:3], 7, v0
	s_waitcnt vmcnt(0)
	ds_write_b64 v1, v[80:81]
	s_waitcnt lgkmcnt(0)
	; wave barrier
	s_and_saveexec_b64 s[4:5], s[2:3]
	s_cbranch_execz .LBB101_296
; %bb.287:
	s_andn2_b64 vcc, exec, s[6:7]
	s_cbranch_vccnz .LBB101_289
; %bb.288:
	scratch_load_dwordx2 v[80:81], v19, off
	ds_read_b64 v[82:83], v1
	s_waitcnt vmcnt(0) lgkmcnt(0)
	v_mul_f64 v[80:81], v[80:81], v[82:83]
	s_cbranch_execz .LBB101_290
	s_branch .LBB101_291
.LBB101_289:
                                        ; implicit-def: $vgpr80_vgpr81
.LBB101_290:
	ds_read_b64 v[80:81], v1
.LBB101_291:
	s_and_saveexec_b64 s[8:9], s[0:1]
	s_cbranch_execz .LBB101_295
; %bb.292:
	v_add_u32_e32 v82, -8, v0
	s_movk_i32 s18, 0x170
	s_mov_b64 s[0:1], 0
.LBB101_293:                            ; =>This Inner Loop Header: Depth=1
	scratch_load_dwordx2 v[84:85], off, s17
	v_mov_b32_e32 v83, s18
	ds_read_b64 v[86:87], v83
	v_add_u32_e32 v82, -1, v82
	s_add_i32 s18, s18, 8
	s_add_i32 s17, s17, 8
	v_cmp_eq_u32_e32 vcc, 0, v82
	s_or_b64 s[0:1], vcc, s[0:1]
	s_waitcnt vmcnt(0) lgkmcnt(0)
	v_fmac_f64_e32 v[80:81], v[84:85], v[86:87]
	s_andn2_b64 exec, exec, s[0:1]
	s_cbranch_execnz .LBB101_293
; %bb.294:
	s_or_b64 exec, exec, s[0:1]
.LBB101_295:
	s_or_b64 exec, exec, s[8:9]
	v_mov_b32_e32 v82, 0
	ds_read_b64 v[82:83], v82 offset:56
	s_waitcnt lgkmcnt(0)
	v_mul_f64 v[80:81], v[80:81], v[82:83]
	scratch_store_dwordx2 off, v[80:81], off offset:56
.LBB101_296:
	s_or_b64 exec, exec, s[4:5]
	scratch_load_dwordx2 v[80:81], off, off offset:48
	v_cmp_lt_u32_e64 s[0:1], 6, v0
	s_waitcnt vmcnt(0)
	ds_write_b64 v1, v[80:81]
	s_waitcnt lgkmcnt(0)
	; wave barrier
	s_and_saveexec_b64 s[4:5], s[0:1]
	s_cbranch_execz .LBB101_306
; %bb.297:
	s_andn2_b64 vcc, exec, s[6:7]
	s_cbranch_vccnz .LBB101_299
; %bb.298:
	scratch_load_dwordx2 v[80:81], v19, off
	ds_read_b64 v[82:83], v1
	s_waitcnt vmcnt(0) lgkmcnt(0)
	v_mul_f64 v[80:81], v[80:81], v[82:83]
	s_cbranch_execz .LBB101_300
	s_branch .LBB101_301
.LBB101_299:
                                        ; implicit-def: $vgpr80_vgpr81
.LBB101_300:
	ds_read_b64 v[80:81], v1
.LBB101_301:
	s_and_saveexec_b64 s[8:9], s[2:3]
	s_cbranch_execz .LBB101_305
; %bb.302:
	v_add_u32_e32 v82, -7, v0
	s_movk_i32 s17, 0x168
	s_mov_b64 s[2:3], 0
.LBB101_303:                            ; =>This Inner Loop Header: Depth=1
	scratch_load_dwordx2 v[84:85], off, s16
	v_mov_b32_e32 v83, s17
	ds_read_b64 v[86:87], v83
	v_add_u32_e32 v82, -1, v82
	s_add_i32 s17, s17, 8
	s_add_i32 s16, s16, 8
	v_cmp_eq_u32_e32 vcc, 0, v82
	s_or_b64 s[2:3], vcc, s[2:3]
	s_waitcnt vmcnt(0) lgkmcnt(0)
	v_fmac_f64_e32 v[80:81], v[84:85], v[86:87]
	s_andn2_b64 exec, exec, s[2:3]
	s_cbranch_execnz .LBB101_303
; %bb.304:
	s_or_b64 exec, exec, s[2:3]
.LBB101_305:
	s_or_b64 exec, exec, s[8:9]
	v_mov_b32_e32 v82, 0
	ds_read_b64 v[82:83], v82 offset:48
	s_waitcnt lgkmcnt(0)
	v_mul_f64 v[80:81], v[80:81], v[82:83]
	scratch_store_dwordx2 off, v[80:81], off offset:48
.LBB101_306:
	s_or_b64 exec, exec, s[4:5]
	scratch_load_dwordx2 v[80:81], off, off offset:40
	v_cmp_lt_u32_e64 s[2:3], 5, v0
	s_waitcnt vmcnt(0)
	ds_write_b64 v1, v[80:81]
	s_waitcnt lgkmcnt(0)
	; wave barrier
	s_and_saveexec_b64 s[4:5], s[2:3]
	s_cbranch_execz .LBB101_316
; %bb.307:
	s_andn2_b64 vcc, exec, s[6:7]
	s_cbranch_vccnz .LBB101_309
; %bb.308:
	scratch_load_dwordx2 v[80:81], v19, off
	ds_read_b64 v[82:83], v1
	s_waitcnt vmcnt(0) lgkmcnt(0)
	v_mul_f64 v[80:81], v[80:81], v[82:83]
	s_cbranch_execz .LBB101_310
	s_branch .LBB101_311
.LBB101_309:
                                        ; implicit-def: $vgpr80_vgpr81
.LBB101_310:
	ds_read_b64 v[80:81], v1
.LBB101_311:
	s_and_saveexec_b64 s[8:9], s[0:1]
	s_cbranch_execz .LBB101_315
; %bb.312:
	v_add_u32_e32 v82, -6, v0
	s_movk_i32 s16, 0x160
	s_mov_b64 s[0:1], 0
.LBB101_313:                            ; =>This Inner Loop Header: Depth=1
	scratch_load_dwordx2 v[84:85], off, s15
	v_mov_b32_e32 v83, s16
	ds_read_b64 v[86:87], v83
	v_add_u32_e32 v82, -1, v82
	s_add_i32 s16, s16, 8
	s_add_i32 s15, s15, 8
	v_cmp_eq_u32_e32 vcc, 0, v82
	s_or_b64 s[0:1], vcc, s[0:1]
	s_waitcnt vmcnt(0) lgkmcnt(0)
	v_fmac_f64_e32 v[80:81], v[84:85], v[86:87]
	s_andn2_b64 exec, exec, s[0:1]
	s_cbranch_execnz .LBB101_313
; %bb.314:
	s_or_b64 exec, exec, s[0:1]
.LBB101_315:
	s_or_b64 exec, exec, s[8:9]
	v_mov_b32_e32 v82, 0
	ds_read_b64 v[82:83], v82 offset:40
	s_waitcnt lgkmcnt(0)
	v_mul_f64 v[80:81], v[80:81], v[82:83]
	scratch_store_dwordx2 off, v[80:81], off offset:40
.LBB101_316:
	s_or_b64 exec, exec, s[4:5]
	scratch_load_dwordx2 v[80:81], off, off offset:32
	v_cmp_lt_u32_e64 s[0:1], 4, v0
	s_waitcnt vmcnt(0)
	ds_write_b64 v1, v[80:81]
	s_waitcnt lgkmcnt(0)
	; wave barrier
	s_and_saveexec_b64 s[4:5], s[0:1]
	s_cbranch_execz .LBB101_326
; %bb.317:
	s_andn2_b64 vcc, exec, s[6:7]
	s_cbranch_vccnz .LBB101_319
; %bb.318:
	scratch_load_dwordx2 v[80:81], v19, off
	ds_read_b64 v[82:83], v1
	s_waitcnt vmcnt(0) lgkmcnt(0)
	v_mul_f64 v[80:81], v[80:81], v[82:83]
	s_cbranch_execz .LBB101_320
	s_branch .LBB101_321
.LBB101_319:
                                        ; implicit-def: $vgpr80_vgpr81
.LBB101_320:
	ds_read_b64 v[80:81], v1
.LBB101_321:
	s_and_saveexec_b64 s[8:9], s[2:3]
	s_cbranch_execz .LBB101_325
; %bb.322:
	v_add_u32_e32 v82, -5, v0
	s_movk_i32 s15, 0x158
	s_mov_b64 s[2:3], 0
.LBB101_323:                            ; =>This Inner Loop Header: Depth=1
	scratch_load_dwordx2 v[84:85], off, s14
	v_mov_b32_e32 v83, s15
	ds_read_b64 v[86:87], v83
	v_add_u32_e32 v82, -1, v82
	s_add_i32 s15, s15, 8
	s_add_i32 s14, s14, 8
	v_cmp_eq_u32_e32 vcc, 0, v82
	s_or_b64 s[2:3], vcc, s[2:3]
	s_waitcnt vmcnt(0) lgkmcnt(0)
	v_fmac_f64_e32 v[80:81], v[84:85], v[86:87]
	s_andn2_b64 exec, exec, s[2:3]
	s_cbranch_execnz .LBB101_323
; %bb.324:
	s_or_b64 exec, exec, s[2:3]
.LBB101_325:
	s_or_b64 exec, exec, s[8:9]
	v_mov_b32_e32 v82, 0
	ds_read_b64 v[82:83], v82 offset:32
	s_waitcnt lgkmcnt(0)
	v_mul_f64 v[80:81], v[80:81], v[82:83]
	scratch_store_dwordx2 off, v[80:81], off offset:32
.LBB101_326:
	s_or_b64 exec, exec, s[4:5]
	scratch_load_dwordx2 v[80:81], off, off offset:24
	v_cmp_lt_u32_e64 s[2:3], 3, v0
	s_waitcnt vmcnt(0)
	ds_write_b64 v1, v[80:81]
	s_waitcnt lgkmcnt(0)
	; wave barrier
	s_and_saveexec_b64 s[4:5], s[2:3]
	s_cbranch_execz .LBB101_336
; %bb.327:
	s_andn2_b64 vcc, exec, s[6:7]
	s_cbranch_vccnz .LBB101_329
; %bb.328:
	scratch_load_dwordx2 v[80:81], v19, off
	ds_read_b64 v[82:83], v1
	s_waitcnt vmcnt(0) lgkmcnt(0)
	v_mul_f64 v[80:81], v[80:81], v[82:83]
	s_cbranch_execz .LBB101_330
	s_branch .LBB101_331
.LBB101_329:
                                        ; implicit-def: $vgpr80_vgpr81
.LBB101_330:
	ds_read_b64 v[80:81], v1
.LBB101_331:
	s_and_saveexec_b64 s[8:9], s[0:1]
	s_cbranch_execz .LBB101_335
; %bb.332:
	v_add_u32_e32 v82, -4, v0
	s_movk_i32 s14, 0x150
	s_mov_b64 s[0:1], 0
.LBB101_333:                            ; =>This Inner Loop Header: Depth=1
	scratch_load_dwordx2 v[84:85], off, s13
	v_mov_b32_e32 v83, s14
	ds_read_b64 v[86:87], v83
	v_add_u32_e32 v82, -1, v82
	s_add_i32 s14, s14, 8
	s_add_i32 s13, s13, 8
	v_cmp_eq_u32_e32 vcc, 0, v82
	s_or_b64 s[0:1], vcc, s[0:1]
	s_waitcnt vmcnt(0) lgkmcnt(0)
	v_fmac_f64_e32 v[80:81], v[84:85], v[86:87]
	s_andn2_b64 exec, exec, s[0:1]
	s_cbranch_execnz .LBB101_333
; %bb.334:
	s_or_b64 exec, exec, s[0:1]
.LBB101_335:
	s_or_b64 exec, exec, s[8:9]
	v_mov_b32_e32 v82, 0
	ds_read_b64 v[82:83], v82 offset:24
	s_waitcnt lgkmcnt(0)
	v_mul_f64 v[80:81], v[80:81], v[82:83]
	scratch_store_dwordx2 off, v[80:81], off offset:24
.LBB101_336:
	s_or_b64 exec, exec, s[4:5]
	scratch_load_dwordx2 v[80:81], off, off offset:16
	v_cmp_lt_u32_e64 s[0:1], 2, v0
	s_waitcnt vmcnt(0)
	ds_write_b64 v1, v[80:81]
	s_waitcnt lgkmcnt(0)
	; wave barrier
	s_and_saveexec_b64 s[4:5], s[0:1]
	s_cbranch_execz .LBB101_346
; %bb.337:
	s_andn2_b64 vcc, exec, s[6:7]
	s_cbranch_vccnz .LBB101_339
; %bb.338:
	scratch_load_dwordx2 v[80:81], v19, off
	ds_read_b64 v[82:83], v1
	s_waitcnt vmcnt(0) lgkmcnt(0)
	v_mul_f64 v[80:81], v[80:81], v[82:83]
	s_cbranch_execz .LBB101_340
	s_branch .LBB101_341
.LBB101_339:
                                        ; implicit-def: $vgpr80_vgpr81
.LBB101_340:
	ds_read_b64 v[80:81], v1
.LBB101_341:
	s_and_saveexec_b64 s[8:9], s[2:3]
	s_cbranch_execz .LBB101_345
; %bb.342:
	v_add_u32_e32 v82, -3, v0
	s_movk_i32 s13, 0x148
	s_mov_b64 s[2:3], 0
.LBB101_343:                            ; =>This Inner Loop Header: Depth=1
	scratch_load_dwordx2 v[84:85], off, s12
	v_mov_b32_e32 v83, s13
	ds_read_b64 v[86:87], v83
	v_add_u32_e32 v82, -1, v82
	s_add_i32 s13, s13, 8
	s_add_i32 s12, s12, 8
	v_cmp_eq_u32_e32 vcc, 0, v82
	s_or_b64 s[2:3], vcc, s[2:3]
	s_waitcnt vmcnt(0) lgkmcnt(0)
	v_fmac_f64_e32 v[80:81], v[84:85], v[86:87]
	s_andn2_b64 exec, exec, s[2:3]
	s_cbranch_execnz .LBB101_343
; %bb.344:
	s_or_b64 exec, exec, s[2:3]
.LBB101_345:
	s_or_b64 exec, exec, s[8:9]
	v_mov_b32_e32 v82, 0
	ds_read_b64 v[82:83], v82 offset:16
	s_waitcnt lgkmcnt(0)
	v_mul_f64 v[80:81], v[80:81], v[82:83]
	scratch_store_dwordx2 off, v[80:81], off offset:16
.LBB101_346:
	s_or_b64 exec, exec, s[4:5]
	scratch_load_dwordx2 v[80:81], off, off offset:8
	v_cmp_lt_u32_e64 s[2:3], 1, v0
	s_waitcnt vmcnt(0)
	ds_write_b64 v1, v[80:81]
	s_waitcnt lgkmcnt(0)
	; wave barrier
	s_and_saveexec_b64 s[4:5], s[2:3]
	s_cbranch_execz .LBB101_356
; %bb.347:
	s_andn2_b64 vcc, exec, s[6:7]
	s_cbranch_vccnz .LBB101_349
; %bb.348:
	scratch_load_dwordx2 v[80:81], v19, off
	ds_read_b64 v[82:83], v1
	s_waitcnt vmcnt(0) lgkmcnt(0)
	v_mul_f64 v[80:81], v[80:81], v[82:83]
	s_cbranch_execz .LBB101_350
	s_branch .LBB101_351
.LBB101_349:
                                        ; implicit-def: $vgpr80_vgpr81
.LBB101_350:
	ds_read_b64 v[80:81], v1
.LBB101_351:
	s_and_saveexec_b64 s[8:9], s[0:1]
	s_cbranch_execz .LBB101_355
; %bb.352:
	v_add_u32_e32 v82, -2, v0
	s_movk_i32 s12, 0x140
	s_mov_b64 s[0:1], 0
.LBB101_353:                            ; =>This Inner Loop Header: Depth=1
	scratch_load_dwordx2 v[84:85], off, s11
	v_mov_b32_e32 v83, s12
	ds_read_b64 v[86:87], v83
	v_add_u32_e32 v82, -1, v82
	s_add_i32 s12, s12, 8
	s_add_i32 s11, s11, 8
	v_cmp_eq_u32_e32 vcc, 0, v82
	s_or_b64 s[0:1], vcc, s[0:1]
	s_waitcnt vmcnt(0) lgkmcnt(0)
	v_fmac_f64_e32 v[80:81], v[84:85], v[86:87]
	s_andn2_b64 exec, exec, s[0:1]
	s_cbranch_execnz .LBB101_353
; %bb.354:
	s_or_b64 exec, exec, s[0:1]
.LBB101_355:
	s_or_b64 exec, exec, s[8:9]
	v_mov_b32_e32 v82, 0
	ds_read_b64 v[82:83], v82 offset:8
	s_waitcnt lgkmcnt(0)
	v_mul_f64 v[80:81], v[80:81], v[82:83]
	scratch_store_dwordx2 off, v[80:81], off offset:8
.LBB101_356:
	s_or_b64 exec, exec, s[4:5]
	scratch_load_dwordx2 v[80:81], off, off
	v_cmp_ne_u32_e32 vcc, 0, v0
	s_waitcnt vmcnt(0)
	ds_write_b64 v1, v[80:81]
	s_waitcnt lgkmcnt(0)
	; wave barrier
	s_and_saveexec_b64 s[0:1], vcc
	s_cbranch_execz .LBB101_366
; %bb.357:
	s_andn2_b64 vcc, exec, s[6:7]
	s_cbranch_vccnz .LBB101_359
; %bb.358:
	scratch_load_dwordx2 v[80:81], v19, off
	ds_read_b64 v[82:83], v1
	s_waitcnt vmcnt(0) lgkmcnt(0)
	v_mul_f64 v[80:81], v[80:81], v[82:83]
	s_cbranch_execz .LBB101_360
	s_branch .LBB101_361
.LBB101_359:
                                        ; implicit-def: $vgpr80_vgpr81
.LBB101_360:
	ds_read_b64 v[80:81], v1
.LBB101_361:
	s_and_saveexec_b64 s[4:5], s[2:3]
	s_cbranch_execz .LBB101_365
; %bb.362:
	v_add_u32_e32 v82, -1, v0
	s_movk_i32 s8, 0x138
	s_mov_b64 s[2:3], 0
.LBB101_363:                            ; =>This Inner Loop Header: Depth=1
	scratch_load_dwordx2 v[84:85], off, s10
	v_mov_b32_e32 v83, s8
	ds_read_b64 v[86:87], v83
	v_add_u32_e32 v82, -1, v82
	s_add_i32 s8, s8, 8
	s_add_i32 s10, s10, 8
	v_cmp_eq_u32_e32 vcc, 0, v82
	s_or_b64 s[2:3], vcc, s[2:3]
	s_waitcnt vmcnt(0) lgkmcnt(0)
	v_fmac_f64_e32 v[80:81], v[84:85], v[86:87]
	s_andn2_b64 exec, exec, s[2:3]
	s_cbranch_execnz .LBB101_363
; %bb.364:
	s_or_b64 exec, exec, s[2:3]
.LBB101_365:
	s_or_b64 exec, exec, s[4:5]
	v_mov_b32_e32 v82, 0
	ds_read_b64 v[82:83], v82
	s_waitcnt lgkmcnt(0)
	v_mul_f64 v[80:81], v[80:81], v[82:83]
	scratch_store_dwordx2 off, v[80:81], off
.LBB101_366:
	s_or_b64 exec, exec, s[0:1]
	s_mov_b64 s[0:1], 0
.LBB101_367:
	s_and_b64 vcc, exec, s[0:1]
	s_cbranch_vccz .LBB101_729
; %bb.368:
	scratch_load_dwordx2 v[80:81], off, off offset:8
	v_cmp_eq_u32_e64 s[2:3], 0, v0
	s_waitcnt vmcnt(0)
	ds_write_b64 v1, v[80:81]
	s_waitcnt lgkmcnt(0)
	; wave barrier
	s_and_saveexec_b64 s[0:1], s[2:3]
	s_cbranch_execz .LBB101_374
; %bb.369:
	s_and_b64 vcc, exec, s[6:7]
	s_cbranch_vccz .LBB101_371
; %bb.370:
	scratch_load_dwordx2 v[80:81], v19, off
	ds_read_b64 v[82:83], v1
	s_waitcnt vmcnt(0) lgkmcnt(0)
	v_mul_f64 v[80:81], v[80:81], v[82:83]
	s_cbranch_execz .LBB101_372
	s_branch .LBB101_373
.LBB101_371:
                                        ; implicit-def: $vgpr80_vgpr81
.LBB101_372:
	ds_read_b64 v[80:81], v1
.LBB101_373:
	v_mov_b32_e32 v82, 0
	ds_read_b64 v[82:83], v82 offset:8
	s_waitcnt lgkmcnt(0)
	v_mul_f64 v[80:81], v[80:81], v[82:83]
	scratch_store_dwordx2 off, v[80:81], off offset:8
.LBB101_374:
	s_or_b64 exec, exec, s[0:1]
	scratch_load_dwordx2 v[80:81], off, off offset:16
	v_cndmask_b32_e64 v82, 0, 1, s[6:7]
	v_cmp_gt_u32_e32 vcc, 2, v0
	v_cmp_ne_u32_e64 s[0:1], 1, v82
	s_waitcnt vmcnt(0)
	ds_write_b64 v1, v[80:81]
	s_waitcnt lgkmcnt(0)
	; wave barrier
	s_and_saveexec_b64 s[4:5], vcc
	s_cbranch_execz .LBB101_380
; %bb.375:
	s_and_b64 vcc, exec, s[0:1]
	s_cbranch_vccnz .LBB101_377
; %bb.376:
	scratch_load_dwordx2 v[80:81], v19, off
	ds_read_b64 v[82:83], v1
	s_waitcnt vmcnt(0) lgkmcnt(0)
	v_mul_f64 v[80:81], v[80:81], v[82:83]
	s_cbranch_execz .LBB101_378
	s_branch .LBB101_379
.LBB101_377:
                                        ; implicit-def: $vgpr80_vgpr81
.LBB101_378:
	ds_read_b64 v[80:81], v1
.LBB101_379:
	scratch_load_dwordx2 v[86:87], off, off offset:8
	v_mov_b32_e32 v82, 0
	ds_read2_b64 v[82:85], v82 offset0:2 offset1:39
	s_waitcnt vmcnt(0) lgkmcnt(0)
	v_fma_f64 v[84:85], v[86:87], v[84:85], v[80:81]
	v_cndmask_b32_e64 v81, v81, v85, s[2:3]
	v_cndmask_b32_e64 v80, v80, v84, s[2:3]
	v_mul_f64 v[80:81], v[80:81], v[82:83]
	scratch_store_dwordx2 off, v[80:81], off offset:16
.LBB101_380:
	s_or_b64 exec, exec, s[4:5]
	scratch_load_dwordx2 v[80:81], off, off offset:24
	v_cmp_gt_u32_e32 vcc, 3, v0
	s_waitcnt vmcnt(0)
	ds_write_b64 v1, v[80:81]
	s_waitcnt lgkmcnt(0)
	; wave barrier
	s_and_saveexec_b64 s[4:5], vcc
	s_cbranch_execz .LBB101_388
; %bb.381:
	s_and_b64 vcc, exec, s[0:1]
	s_cbranch_vccnz .LBB101_383
; %bb.382:
	scratch_load_dwordx2 v[80:81], v19, off
	ds_read_b64 v[82:83], v1
	s_waitcnt vmcnt(0) lgkmcnt(0)
	v_mul_f64 v[80:81], v[80:81], v[82:83]
	s_cbranch_execz .LBB101_384
	s_branch .LBB101_385
.LBB101_383:
                                        ; implicit-def: $vgpr80_vgpr81
.LBB101_384:
	ds_read_b64 v[80:81], v1
.LBB101_385:
	v_cmp_ne_u32_e32 vcc, 2, v0
	s_and_saveexec_b64 s[6:7], vcc
	s_cbranch_execz .LBB101_387
; %bb.386:
	scratch_load_dwordx2 v[82:83], v19, off offset:8
	scratch_load_dwordx2 v[84:85], off, off offset:16
	ds_read_b64 v[86:87], v1 offset:8
	v_mov_b32_e32 v88, 0
	ds_read_b64 v[88:89], v88 offset:320
	s_waitcnt vmcnt(1) lgkmcnt(1)
	v_fmac_f64_e32 v[80:81], v[82:83], v[86:87]
	s_waitcnt vmcnt(0) lgkmcnt(0)
	v_fma_f64 v[82:83], v[84:85], v[88:89], v[80:81]
	v_cndmask_b32_e64 v81, v81, v83, s[2:3]
	v_cndmask_b32_e64 v80, v80, v82, s[2:3]
.LBB101_387:
	s_or_b64 exec, exec, s[6:7]
	v_mov_b32_e32 v82, 0
	ds_read_b64 v[82:83], v82 offset:24
	s_waitcnt lgkmcnt(0)
	v_mul_f64 v[80:81], v[80:81], v[82:83]
	scratch_store_dwordx2 off, v[80:81], off offset:24
.LBB101_388:
	s_or_b64 exec, exec, s[4:5]
	scratch_load_dwordx2 v[80:81], off, off offset:32
	v_cmp_gt_u32_e32 vcc, 4, v0
	s_waitcnt vmcnt(0)
	ds_write_b64 v1, v[80:81]
	s_waitcnt lgkmcnt(0)
	; wave barrier
	s_and_saveexec_b64 s[2:3], vcc
	s_cbranch_execz .LBB101_398
; %bb.389:
	s_and_b64 vcc, exec, s[0:1]
	s_cbranch_vccnz .LBB101_391
; %bb.390:
	scratch_load_dwordx2 v[80:81], v19, off
	ds_read_b64 v[82:83], v1
	s_waitcnt vmcnt(0) lgkmcnt(0)
	v_mul_f64 v[80:81], v[80:81], v[82:83]
	s_cbranch_execz .LBB101_392
	s_branch .LBB101_393
.LBB101_391:
                                        ; implicit-def: $vgpr80_vgpr81
.LBB101_392:
	ds_read_b64 v[80:81], v1
.LBB101_393:
	v_cmp_ne_u32_e32 vcc, 3, v0
	s_and_saveexec_b64 s[4:5], vcc
	s_cbranch_execz .LBB101_397
; %bb.394:
	s_mov_b32 s6, 0
	v_add_u32_e32 v82, 0x138, v18
	v_add3_u32 v83, v18, s6, 8
	s_mov_b64 s[6:7], 0
	v_mov_b32_e32 v84, v0
.LBB101_395:                            ; =>This Inner Loop Header: Depth=1
	scratch_load_dwordx2 v[86:87], v83, off
	ds_read_b64 v[88:89], v82
	v_add_u32_e32 v84, 1, v84
	v_cmp_lt_u32_e32 vcc, 2, v84
	v_add_u32_e32 v82, 8, v82
	v_add_u32_e32 v83, 8, v83
	s_or_b64 s[6:7], vcc, s[6:7]
	s_waitcnt vmcnt(0) lgkmcnt(0)
	v_fmac_f64_e32 v[80:81], v[86:87], v[88:89]
	s_andn2_b64 exec, exec, s[6:7]
	s_cbranch_execnz .LBB101_395
; %bb.396:
	s_or_b64 exec, exec, s[6:7]
.LBB101_397:
	s_or_b64 exec, exec, s[4:5]
	v_mov_b32_e32 v82, 0
	ds_read_b64 v[82:83], v82 offset:32
	s_waitcnt lgkmcnt(0)
	v_mul_f64 v[80:81], v[80:81], v[82:83]
	scratch_store_dwordx2 off, v[80:81], off offset:32
.LBB101_398:
	s_or_b64 exec, exec, s[2:3]
	scratch_load_dwordx2 v[80:81], off, off offset:40
	v_cmp_gt_u32_e32 vcc, 5, v0
	s_waitcnt vmcnt(0)
	ds_write_b64 v1, v[80:81]
	s_waitcnt lgkmcnt(0)
	; wave barrier
	s_and_saveexec_b64 s[2:3], vcc
	s_cbranch_execz .LBB101_408
; %bb.399:
	s_and_b64 vcc, exec, s[0:1]
	s_cbranch_vccnz .LBB101_401
; %bb.400:
	scratch_load_dwordx2 v[80:81], v19, off
	ds_read_b64 v[82:83], v1
	s_waitcnt vmcnt(0) lgkmcnt(0)
	v_mul_f64 v[80:81], v[80:81], v[82:83]
	s_cbranch_execz .LBB101_402
	s_branch .LBB101_403
.LBB101_401:
                                        ; implicit-def: $vgpr80_vgpr81
.LBB101_402:
	ds_read_b64 v[80:81], v1
.LBB101_403:
	v_cmp_ne_u32_e32 vcc, 4, v0
	s_and_saveexec_b64 s[4:5], vcc
	s_cbranch_execz .LBB101_407
; %bb.404:
	s_mov_b32 s6, 0
	v_add_u32_e32 v82, 0x138, v18
	v_add3_u32 v83, v18, s6, 8
	s_mov_b64 s[6:7], 0
	v_mov_b32_e32 v84, v0
.LBB101_405:                            ; =>This Inner Loop Header: Depth=1
	scratch_load_dwordx2 v[86:87], v83, off
	ds_read_b64 v[88:89], v82
	v_add_u32_e32 v84, 1, v84
	v_cmp_lt_u32_e32 vcc, 3, v84
	v_add_u32_e32 v82, 8, v82
	v_add_u32_e32 v83, 8, v83
	s_or_b64 s[6:7], vcc, s[6:7]
	s_waitcnt vmcnt(0) lgkmcnt(0)
	v_fmac_f64_e32 v[80:81], v[86:87], v[88:89]
	s_andn2_b64 exec, exec, s[6:7]
	s_cbranch_execnz .LBB101_405
; %bb.406:
	s_or_b64 exec, exec, s[6:7]
.LBB101_407:
	s_or_b64 exec, exec, s[4:5]
	v_mov_b32_e32 v82, 0
	ds_read_b64 v[82:83], v82 offset:40
	s_waitcnt lgkmcnt(0)
	v_mul_f64 v[80:81], v[80:81], v[82:83]
	scratch_store_dwordx2 off, v[80:81], off offset:40
.LBB101_408:
	;; [unrolled: 55-line block ×32, first 2 shown]
	s_or_b64 exec, exec, s[2:3]
	scratch_load_dwordx2 v[80:81], off, off offset:288
	v_cmp_gt_u32_e64 s[2:3], 36, v0
	s_waitcnt vmcnt(0)
	ds_write_b64 v1, v[80:81]
	s_waitcnt lgkmcnt(0)
	; wave barrier
	s_and_saveexec_b64 s[4:5], s[2:3]
	s_cbranch_execz .LBB101_718
; %bb.709:
	s_and_b64 vcc, exec, s[0:1]
	s_cbranch_vccnz .LBB101_711
; %bb.710:
	scratch_load_dwordx2 v[80:81], v19, off
	ds_read_b64 v[82:83], v1
	s_waitcnt vmcnt(0) lgkmcnt(0)
	v_mul_f64 v[80:81], v[80:81], v[82:83]
	s_cbranch_execz .LBB101_712
	s_branch .LBB101_713
.LBB101_711:
                                        ; implicit-def: $vgpr80_vgpr81
.LBB101_712:
	ds_read_b64 v[80:81], v1
.LBB101_713:
	v_cmp_ne_u32_e32 vcc, 35, v0
	s_and_saveexec_b64 s[6:7], vcc
	s_cbranch_execz .LBB101_717
; %bb.714:
	s_mov_b32 s8, 0
	v_add_u32_e32 v82, 0x138, v18
	v_add3_u32 v83, v18, s8, 8
	s_mov_b64 s[8:9], 0
	v_mov_b32_e32 v84, v0
.LBB101_715:                            ; =>This Inner Loop Header: Depth=1
	scratch_load_dwordx2 v[86:87], v83, off
	ds_read_b64 v[88:89], v82
	v_add_u32_e32 v84, 1, v84
	v_cmp_lt_u32_e32 vcc, 34, v84
	v_add_u32_e32 v82, 8, v82
	v_add_u32_e32 v83, 8, v83
	s_or_b64 s[8:9], vcc, s[8:9]
	s_waitcnt vmcnt(0) lgkmcnt(0)
	v_fmac_f64_e32 v[80:81], v[86:87], v[88:89]
	s_andn2_b64 exec, exec, s[8:9]
	s_cbranch_execnz .LBB101_715
; %bb.716:
	s_or_b64 exec, exec, s[8:9]
.LBB101_717:
	s_or_b64 exec, exec, s[6:7]
	v_mov_b32_e32 v82, 0
	ds_read_b64 v[82:83], v82 offset:288
	s_waitcnt lgkmcnt(0)
	v_mul_f64 v[80:81], v[80:81], v[82:83]
	scratch_store_dwordx2 off, v[80:81], off offset:288
.LBB101_718:
	s_or_b64 exec, exec, s[4:5]
	scratch_load_dwordx2 v[80:81], off, off offset:296
	v_cmp_ne_u32_e32 vcc, 37, v0
	s_waitcnt vmcnt(0)
	ds_write_b64 v1, v[80:81]
	s_waitcnt lgkmcnt(0)
	; wave barrier
	s_and_saveexec_b64 s[4:5], vcc
	s_cbranch_execz .LBB101_728
; %bb.719:
	s_and_b64 vcc, exec, s[0:1]
	s_cbranch_vccnz .LBB101_721
; %bb.720:
	scratch_load_dwordx2 v[80:81], v19, off
	ds_read_b64 v[82:83], v1
	s_waitcnt vmcnt(0) lgkmcnt(0)
	v_mul_f64 v[80:81], v[80:81], v[82:83]
	s_cbranch_execz .LBB101_722
	s_branch .LBB101_723
.LBB101_721:
                                        ; implicit-def: $vgpr80_vgpr81
.LBB101_722:
	ds_read_b64 v[80:81], v1
.LBB101_723:
	s_and_saveexec_b64 s[0:1], s[2:3]
	s_cbranch_execz .LBB101_727
; %bb.724:
	s_mov_b32 s2, 0
	v_add_u32_e32 v1, 0x138, v18
	v_add3_u32 v18, v18, s2, 8
	s_mov_b64 s[2:3], 0
.LBB101_725:                            ; =>This Inner Loop Header: Depth=1
	scratch_load_dwordx2 v[82:83], v18, off
	ds_read_b64 v[84:85], v1
	v_add_u32_e32 v0, 1, v0
	v_cmp_lt_u32_e32 vcc, 35, v0
	v_add_u32_e32 v1, 8, v1
	v_add_u32_e32 v18, 8, v18
	s_or_b64 s[2:3], vcc, s[2:3]
	s_waitcnt vmcnt(0) lgkmcnt(0)
	v_fmac_f64_e32 v[80:81], v[82:83], v[84:85]
	s_andn2_b64 exec, exec, s[2:3]
	s_cbranch_execnz .LBB101_725
; %bb.726:
	s_or_b64 exec, exec, s[2:3]
.LBB101_727:
	s_or_b64 exec, exec, s[0:1]
	v_mov_b32_e32 v0, 0
	ds_read_b64 v[0:1], v0 offset:296
	s_waitcnt lgkmcnt(0)
	v_mul_f64 v[0:1], v[80:81], v[0:1]
	scratch_store_dwordx2 off, v[0:1], off offset:296
.LBB101_728:
	s_or_b64 exec, exec, s[4:5]
.LBB101_729:
	scratch_load_dwordx2 v[0:1], off, off
	s_waitcnt vmcnt(0)
	flat_store_dwordx2 v[2:3], v[0:1]
	scratch_load_dwordx2 v[0:1], off, off offset:8
	s_waitcnt vmcnt(0)
	flat_store_dwordx2 v[4:5], v[0:1]
	scratch_load_dwordx2 v[0:1], off, off offset:16
	;; [unrolled: 3-line block ×37, first 2 shown]
	s_waitcnt vmcnt(0)
	flat_store_dwordx2 v[78:79], v[0:1]
.LBB101_730:
	s_endpgm
	.section	.rodata,"a",@progbits
	.p2align	6, 0x0
	.amdhsa_kernel _ZN9rocsolver6v33100L18trti2_kernel_smallILi38EdPKPdEEv13rocblas_fill_17rocblas_diagonal_T1_iil
		.amdhsa_group_segment_fixed_size 608
		.amdhsa_private_segment_fixed_size 320
		.amdhsa_kernarg_size 32
		.amdhsa_user_sgpr_count 2
		.amdhsa_user_sgpr_dispatch_ptr 0
		.amdhsa_user_sgpr_queue_ptr 0
		.amdhsa_user_sgpr_kernarg_segment_ptr 1
		.amdhsa_user_sgpr_dispatch_id 0
		.amdhsa_user_sgpr_kernarg_preload_length 0
		.amdhsa_user_sgpr_kernarg_preload_offset 0
		.amdhsa_user_sgpr_private_segment_size 0
		.amdhsa_uses_dynamic_stack 0
		.amdhsa_enable_private_segment 1
		.amdhsa_system_sgpr_workgroup_id_x 1
		.amdhsa_system_sgpr_workgroup_id_y 0
		.amdhsa_system_sgpr_workgroup_id_z 0
		.amdhsa_system_sgpr_workgroup_info 0
		.amdhsa_system_vgpr_workitem_id 0
		.amdhsa_next_free_vgpr 90
		.amdhsa_next_free_sgpr 47
		.amdhsa_accum_offset 92
		.amdhsa_reserve_vcc 1
		.amdhsa_float_round_mode_32 0
		.amdhsa_float_round_mode_16_64 0
		.amdhsa_float_denorm_mode_32 3
		.amdhsa_float_denorm_mode_16_64 3
		.amdhsa_dx10_clamp 1
		.amdhsa_ieee_mode 1
		.amdhsa_fp16_overflow 0
		.amdhsa_tg_split 0
		.amdhsa_exception_fp_ieee_invalid_op 0
		.amdhsa_exception_fp_denorm_src 0
		.amdhsa_exception_fp_ieee_div_zero 0
		.amdhsa_exception_fp_ieee_overflow 0
		.amdhsa_exception_fp_ieee_underflow 0
		.amdhsa_exception_fp_ieee_inexact 0
		.amdhsa_exception_int_div_zero 0
	.end_amdhsa_kernel
	.section	.text._ZN9rocsolver6v33100L18trti2_kernel_smallILi38EdPKPdEEv13rocblas_fill_17rocblas_diagonal_T1_iil,"axG",@progbits,_ZN9rocsolver6v33100L18trti2_kernel_smallILi38EdPKPdEEv13rocblas_fill_17rocblas_diagonal_T1_iil,comdat
.Lfunc_end101:
	.size	_ZN9rocsolver6v33100L18trti2_kernel_smallILi38EdPKPdEEv13rocblas_fill_17rocblas_diagonal_T1_iil, .Lfunc_end101-_ZN9rocsolver6v33100L18trti2_kernel_smallILi38EdPKPdEEv13rocblas_fill_17rocblas_diagonal_T1_iil
                                        ; -- End function
	.set _ZN9rocsolver6v33100L18trti2_kernel_smallILi38EdPKPdEEv13rocblas_fill_17rocblas_diagonal_T1_iil.num_vgpr, 90
	.set _ZN9rocsolver6v33100L18trti2_kernel_smallILi38EdPKPdEEv13rocblas_fill_17rocblas_diagonal_T1_iil.num_agpr, 0
	.set _ZN9rocsolver6v33100L18trti2_kernel_smallILi38EdPKPdEEv13rocblas_fill_17rocblas_diagonal_T1_iil.numbered_sgpr, 47
	.set _ZN9rocsolver6v33100L18trti2_kernel_smallILi38EdPKPdEEv13rocblas_fill_17rocblas_diagonal_T1_iil.num_named_barrier, 0
	.set _ZN9rocsolver6v33100L18trti2_kernel_smallILi38EdPKPdEEv13rocblas_fill_17rocblas_diagonal_T1_iil.private_seg_size, 320
	.set _ZN9rocsolver6v33100L18trti2_kernel_smallILi38EdPKPdEEv13rocblas_fill_17rocblas_diagonal_T1_iil.uses_vcc, 1
	.set _ZN9rocsolver6v33100L18trti2_kernel_smallILi38EdPKPdEEv13rocblas_fill_17rocblas_diagonal_T1_iil.uses_flat_scratch, 0
	.set _ZN9rocsolver6v33100L18trti2_kernel_smallILi38EdPKPdEEv13rocblas_fill_17rocblas_diagonal_T1_iil.has_dyn_sized_stack, 0
	.set _ZN9rocsolver6v33100L18trti2_kernel_smallILi38EdPKPdEEv13rocblas_fill_17rocblas_diagonal_T1_iil.has_recursion, 0
	.set _ZN9rocsolver6v33100L18trti2_kernel_smallILi38EdPKPdEEv13rocblas_fill_17rocblas_diagonal_T1_iil.has_indirect_call, 0
	.section	.AMDGPU.csdata,"",@progbits
; Kernel info:
; codeLenInByte = 18360
; TotalNumSgprs: 53
; NumVgprs: 90
; NumAgprs: 0
; TotalNumVgprs: 90
; ScratchSize: 320
; MemoryBound: 0
; FloatMode: 240
; IeeeMode: 1
; LDSByteSize: 608 bytes/workgroup (compile time only)
; SGPRBlocks: 6
; VGPRBlocks: 11
; NumSGPRsForWavesPerEU: 53
; NumVGPRsForWavesPerEU: 90
; AccumOffset: 92
; Occupancy: 5
; WaveLimiterHint : 1
; COMPUTE_PGM_RSRC2:SCRATCH_EN: 1
; COMPUTE_PGM_RSRC2:USER_SGPR: 2
; COMPUTE_PGM_RSRC2:TRAP_HANDLER: 0
; COMPUTE_PGM_RSRC2:TGID_X_EN: 1
; COMPUTE_PGM_RSRC2:TGID_Y_EN: 0
; COMPUTE_PGM_RSRC2:TGID_Z_EN: 0
; COMPUTE_PGM_RSRC2:TIDIG_COMP_CNT: 0
; COMPUTE_PGM_RSRC3_GFX90A:ACCUM_OFFSET: 22
; COMPUTE_PGM_RSRC3_GFX90A:TG_SPLIT: 0
	.section	.text._ZN9rocsolver6v33100L18trti2_kernel_smallILi39EdPKPdEEv13rocblas_fill_17rocblas_diagonal_T1_iil,"axG",@progbits,_ZN9rocsolver6v33100L18trti2_kernel_smallILi39EdPKPdEEv13rocblas_fill_17rocblas_diagonal_T1_iil,comdat
	.globl	_ZN9rocsolver6v33100L18trti2_kernel_smallILi39EdPKPdEEv13rocblas_fill_17rocblas_diagonal_T1_iil ; -- Begin function _ZN9rocsolver6v33100L18trti2_kernel_smallILi39EdPKPdEEv13rocblas_fill_17rocblas_diagonal_T1_iil
	.p2align	8
	.type	_ZN9rocsolver6v33100L18trti2_kernel_smallILi39EdPKPdEEv13rocblas_fill_17rocblas_diagonal_T1_iil,@function
_ZN9rocsolver6v33100L18trti2_kernel_smallILi39EdPKPdEEv13rocblas_fill_17rocblas_diagonal_T1_iil: ; @_ZN9rocsolver6v33100L18trti2_kernel_smallILi39EdPKPdEEv13rocblas_fill_17rocblas_diagonal_T1_iil
; %bb.0:
	v_cmp_gt_u32_e32 vcc, 39, v0
	s_and_saveexec_b64 s[4:5], vcc
	s_cbranch_execz .LBB102_750
; %bb.1:
	s_load_dwordx2 s[8:9], s[0:1], 0x10
	s_load_dwordx4 s[4:7], s[0:1], 0x0
	s_ashr_i32 s3, s2, 31
	s_lshl_b64 s[0:1], s[2:3], 3
	v_lshlrev_b32_e32 v18, 3, v0
	s_waitcnt lgkmcnt(0)
	s_ashr_i32 s3, s8, 31
	s_add_u32 s0, s6, s0
	s_addc_u32 s1, s7, s1
	s_load_dwordx2 s[0:1], s[0:1], 0x0
	s_mov_b32 s2, s8
	s_lshl_b64 s[2:3], s[2:3], 3
	v_mov_b32_e32 v19, 0
	s_waitcnt lgkmcnt(0)
	s_add_u32 s0, s0, s2
	s_addc_u32 s1, s1, s3
	v_lshl_add_u64 v[2:3], s[0:1], 0, v[18:19]
	flat_load_dwordx2 v[6:7], v[2:3]
	s_mov_b32 s2, s9
	s_ashr_i32 s3, s9, 31
	v_lshl_add_u64 v[4:5], s[2:3], 3, v[2:3]
	s_add_i32 s2, s9, s9
	v_add_u32_e32 v10, s2, v0
	v_ashrrev_i32_e32 v11, 31, v10
	s_cmpk_lg_i32 s5, 0x84
	s_cselect_b64 s[6:7], -1, 0
	s_cmpk_eq_i32 s5, 0x84
	s_waitcnt vmcnt(0) lgkmcnt(0)
	scratch_store_dwordx2 off, v[6:7], off
	flat_load_dwordx2 v[8:9], v[4:5]
	v_lshl_add_u64 v[6:7], v[10:11], 3, s[0:1]
	v_add_u32_e32 v10, s9, v10
	v_ashrrev_i32_e32 v11, 31, v10
	v_add_u32_e32 v14, s9, v10
	v_ashrrev_i32_e32 v15, 31, v14
	s_waitcnt vmcnt(0) lgkmcnt(0)
	scratch_store_dwordx2 off, v[8:9], off offset:8
	flat_load_dwordx2 v[12:13], v[6:7]
	v_lshl_add_u64 v[8:9], v[10:11], 3, s[0:1]
	v_lshl_add_u64 v[10:11], v[14:15], 3, s[0:1]
	v_add_u32_e32 v14, s9, v14
	v_ashrrev_i32_e32 v15, 31, v14
	v_add_u32_e32 v20, s9, v14
	v_ashrrev_i32_e32 v21, 31, v20
	s_waitcnt vmcnt(0) lgkmcnt(0)
	scratch_store_dwordx2 off, v[12:13], off offset:16
	flat_load_dwordx2 v[12:13], v[8:9]
	s_waitcnt vmcnt(0) lgkmcnt(0)
	scratch_store_dwordx2 off, v[12:13], off offset:24
	flat_load_dwordx2 v[16:17], v[10:11]
	v_lshl_add_u64 v[12:13], v[14:15], 3, s[0:1]
	v_lshl_add_u64 v[14:15], v[20:21], 3, s[0:1]
	v_add_u32_e32 v20, s9, v20
	v_ashrrev_i32_e32 v21, 31, v20
	v_add_u32_e32 v24, s9, v20
	v_ashrrev_i32_e32 v25, 31, v24
	s_waitcnt vmcnt(0) lgkmcnt(0)
	scratch_store_dwordx2 off, v[16:17], off offset:32
	flat_load_dwordx2 v[16:17], v[12:13]
	;; [unrolled: 12-line block ×16, first 2 shown]
	s_waitcnt vmcnt(0) lgkmcnt(0)
	scratch_store_dwordx2 off, v[74:75], off offset:264
	flat_load_dwordx2 v[78:79], v[72:73]
	v_lshl_add_u64 v[74:75], v[76:77], 3, s[0:1]
	v_lshl_add_u64 v[76:77], v[80:81], 3, s[0:1]
	v_add_u32_e32 v80, s9, v80
	v_ashrrev_i32_e32 v81, 31, v80
	s_waitcnt vmcnt(0) lgkmcnt(0)
	scratch_store_dwordx2 off, v[78:79], off offset:272
	flat_load_dwordx2 v[78:79], v[74:75]
	s_waitcnt vmcnt(0) lgkmcnt(0)
	scratch_store_dwordx2 off, v[78:79], off offset:280
	flat_load_dwordx2 v[82:83], v[76:77]
	v_lshl_add_u64 v[78:79], v[80:81], 3, s[0:1]
	v_add_u32_e32 v80, s9, v80
	v_ashrrev_i32_e32 v81, 31, v80
	v_lshl_add_u64 v[80:81], v[80:81], 3, s[0:1]
	s_waitcnt vmcnt(0) lgkmcnt(0)
	scratch_store_dwordx2 off, v[82:83], off offset:288
	flat_load_dwordx2 v[82:83], v[78:79]
	s_waitcnt vmcnt(0) lgkmcnt(0)
	scratch_store_dwordx2 off, v[82:83], off offset:296
	flat_load_dwordx2 v[82:83], v[80:81]
	s_waitcnt vmcnt(0) lgkmcnt(0)
	scratch_store_dwordx2 off, v[82:83], off offset:304
	v_mov_b64_e32 v[82:83], -1.0
	s_cbranch_scc1 .LBB102_3
; %bb.2:
	scratch_load_dwordx2 v[82:83], v18, off
	s_waitcnt vmcnt(0)
	v_div_scale_f64 v[84:85], s[0:1], v[82:83], v[82:83], 1.0
	v_rcp_f64_e32 v[86:87], v[84:85]
	v_div_scale_f64 v[88:89], vcc, 1.0, v[82:83], 1.0
	v_fma_f64 v[90:91], -v[84:85], v[86:87], 1.0
	v_fmac_f64_e32 v[86:87], v[86:87], v[90:91]
	v_fma_f64 v[90:91], -v[84:85], v[86:87], 1.0
	v_fmac_f64_e32 v[86:87], v[86:87], v[90:91]
	v_mul_f64 v[90:91], v[88:89], v[86:87]
	v_fma_f64 v[84:85], -v[84:85], v[90:91], v[88:89]
	v_div_fmas_f64 v[84:85], v[84:85], v[86:87], v[90:91]
	v_div_fixup_f64 v[82:83], v[84:85], v[82:83], 1.0
	scratch_store_dwordx2 v18, v[82:83], off
	v_xor_b32_e32 v83, 0x80000000, v83
.LBB102_3:
	s_cmpk_eq_i32 s4, 0x79
	v_add_u32_e32 v1, 0x140, v18
	v_mov_b32_e32 v19, v18
	s_mov_b64 s[0:1], -1
	ds_write_b64 v18, v[82:83]
	s_cbranch_scc1 .LBB102_377
; %bb.4:
	scratch_load_dwordx2 v[82:83], off, off offset:296
	s_movk_i32 s8, 0x48
	s_movk_i32 s9, 0x50
	;; [unrolled: 1-line block ×28, first 2 shown]
	v_cmp_eq_u32_e64 s[0:1], 38, v0
	s_waitcnt vmcnt(0)
	ds_write_b64 v1, v[82:83]
	s_waitcnt lgkmcnt(0)
	; wave barrier
	s_and_saveexec_b64 s[2:3], s[0:1]
	s_cbranch_execz .LBB102_10
; %bb.5:
	s_and_b64 vcc, exec, s[6:7]
	s_cbranch_vccz .LBB102_7
; %bb.6:
	scratch_load_dwordx2 v[82:83], v19, off
	ds_read_b64 v[84:85], v1
	s_waitcnt vmcnt(0) lgkmcnt(0)
	v_mul_f64 v[82:83], v[82:83], v[84:85]
	s_cbranch_execz .LBB102_8
	s_branch .LBB102_9
.LBB102_7:
                                        ; implicit-def: $vgpr82_vgpr83
.LBB102_8:
	ds_read_b64 v[82:83], v1
.LBB102_9:
	v_mov_b32_e32 v84, 0
	ds_read_b64 v[84:85], v84 offset:296
	s_waitcnt lgkmcnt(0)
	v_mul_f64 v[82:83], v[82:83], v[84:85]
	scratch_store_dwordx2 off, v[82:83], off offset:296
.LBB102_10:
	s_or_b64 exec, exec, s[2:3]
	scratch_load_dwordx2 v[82:83], off, off offset:288
	s_or_b32 s10, 0, 8
	s_mov_b32 s11, 16
	s_mov_b32 s12, 24
	s_mov_b32 s13, 32
	s_mov_b32 s14, 40
	s_mov_b32 s15, 48
	s_mov_b32 s16, 56
	s_mov_b32 s17, 64
	s_mov_b32 s18, s8
	s_mov_b32 s19, s9
	v_cmp_lt_u32_e64 s[2:3], 36, v0
	s_waitcnt vmcnt(0)
	ds_write_b64 v1, v[82:83]
	s_waitcnt lgkmcnt(0)
	; wave barrier
	s_and_saveexec_b64 s[4:5], s[2:3]
	s_cbranch_execz .LBB102_16
; %bb.11:
	s_andn2_b64 vcc, exec, s[6:7]
	s_cbranch_vccnz .LBB102_13
; %bb.12:
	scratch_load_dwordx2 v[82:83], v19, off
	ds_read_b64 v[84:85], v1
	s_waitcnt vmcnt(0) lgkmcnt(0)
	v_mul_f64 v[82:83], v[82:83], v[84:85]
	s_cbranch_execz .LBB102_14
	s_branch .LBB102_15
.LBB102_13:
                                        ; implicit-def: $vgpr82_vgpr83
.LBB102_14:
	ds_read_b64 v[82:83], v1
.LBB102_15:
	scratch_load_dwordx2 v[88:89], off, off offset:296
	v_mov_b32_e32 v84, 0
	ds_read2_b64 v[84:87], v84 offset0:36 offset1:77
	s_waitcnt vmcnt(0) lgkmcnt(0)
	v_fma_f64 v[86:87], v[88:89], v[86:87], v[82:83]
	v_cndmask_b32_e64 v83, v83, v87, s[0:1]
	v_cndmask_b32_e64 v82, v82, v86, s[0:1]
	v_mul_f64 v[82:83], v[82:83], v[84:85]
	scratch_store_dwordx2 off, v[82:83], off offset:288
.LBB102_16:
	s_or_b64 exec, exec, s[4:5]
	scratch_load_dwordx2 v[82:83], off, off offset:280
	v_cmp_lt_u32_e64 s[0:1], 35, v0
	s_waitcnt vmcnt(0)
	ds_write_b64 v1, v[82:83]
	s_waitcnt lgkmcnt(0)
	; wave barrier
	s_and_saveexec_b64 s[4:5], s[0:1]
	s_cbranch_execz .LBB102_26
; %bb.17:
	s_andn2_b64 vcc, exec, s[6:7]
	s_cbranch_vccnz .LBB102_19
; %bb.18:
	scratch_load_dwordx2 v[82:83], v19, off
	ds_read_b64 v[84:85], v1
	s_waitcnt vmcnt(0) lgkmcnt(0)
	v_mul_f64 v[82:83], v[82:83], v[84:85]
	s_cbranch_execz .LBB102_20
	s_branch .LBB102_21
.LBB102_19:
                                        ; implicit-def: $vgpr82_vgpr83
.LBB102_20:
	ds_read_b64 v[82:83], v1
.LBB102_21:
	s_and_saveexec_b64 s[8:9], s[2:3]
	s_cbranch_execz .LBB102_25
; %bb.22:
	v_subrev_u32_e32 v84, 36, v0
	s_movk_i32 s47, 0x260
	s_mov_b64 s[2:3], 0
.LBB102_23:                             ; =>This Inner Loop Header: Depth=1
	scratch_load_dwordx2 v[86:87], off, s46
	v_mov_b32_e32 v85, s47
	ds_read_b64 v[88:89], v85
	v_add_u32_e32 v84, -1, v84
	s_add_i32 s47, s47, 8
	s_add_i32 s46, s46, 8
	v_cmp_eq_u32_e32 vcc, 0, v84
	s_or_b64 s[2:3], vcc, s[2:3]
	s_waitcnt vmcnt(0) lgkmcnt(0)
	v_fmac_f64_e32 v[82:83], v[86:87], v[88:89]
	s_andn2_b64 exec, exec, s[2:3]
	s_cbranch_execnz .LBB102_23
; %bb.24:
	s_or_b64 exec, exec, s[2:3]
.LBB102_25:
	s_or_b64 exec, exec, s[8:9]
	v_mov_b32_e32 v84, 0
	ds_read_b64 v[84:85], v84 offset:280
	s_waitcnt lgkmcnt(0)
	v_mul_f64 v[82:83], v[82:83], v[84:85]
	scratch_store_dwordx2 off, v[82:83], off offset:280
.LBB102_26:
	s_or_b64 exec, exec, s[4:5]
	scratch_load_dwordx2 v[82:83], off, off offset:272
	v_cmp_lt_u32_e64 s[2:3], 34, v0
	s_waitcnt vmcnt(0)
	ds_write_b64 v1, v[82:83]
	s_waitcnt lgkmcnt(0)
	; wave barrier
	s_and_saveexec_b64 s[4:5], s[2:3]
	s_cbranch_execz .LBB102_36
; %bb.27:
	s_andn2_b64 vcc, exec, s[6:7]
	s_cbranch_vccnz .LBB102_29
; %bb.28:
	scratch_load_dwordx2 v[82:83], v19, off
	ds_read_b64 v[84:85], v1
	s_waitcnt vmcnt(0) lgkmcnt(0)
	v_mul_f64 v[82:83], v[82:83], v[84:85]
	s_cbranch_execz .LBB102_30
	s_branch .LBB102_31
.LBB102_29:
                                        ; implicit-def: $vgpr82_vgpr83
.LBB102_30:
	ds_read_b64 v[82:83], v1
.LBB102_31:
	s_and_saveexec_b64 s[8:9], s[0:1]
	s_cbranch_execz .LBB102_35
; %bb.32:
	v_subrev_u32_e32 v84, 35, v0
	s_movk_i32 s46, 0x258
	s_mov_b64 s[0:1], 0
.LBB102_33:                             ; =>This Inner Loop Header: Depth=1
	scratch_load_dwordx2 v[86:87], off, s45
	v_mov_b32_e32 v85, s46
	ds_read_b64 v[88:89], v85
	v_add_u32_e32 v84, -1, v84
	s_add_i32 s46, s46, 8
	s_add_i32 s45, s45, 8
	v_cmp_eq_u32_e32 vcc, 0, v84
	s_or_b64 s[0:1], vcc, s[0:1]
	s_waitcnt vmcnt(0) lgkmcnt(0)
	v_fmac_f64_e32 v[82:83], v[86:87], v[88:89]
	s_andn2_b64 exec, exec, s[0:1]
	s_cbranch_execnz .LBB102_33
; %bb.34:
	s_or_b64 exec, exec, s[0:1]
.LBB102_35:
	s_or_b64 exec, exec, s[8:9]
	v_mov_b32_e32 v84, 0
	ds_read_b64 v[84:85], v84 offset:272
	s_waitcnt lgkmcnt(0)
	v_mul_f64 v[82:83], v[82:83], v[84:85]
	scratch_store_dwordx2 off, v[82:83], off offset:272
.LBB102_36:
	;; [unrolled: 53-line block ×8, first 2 shown]
	s_or_b64 exec, exec, s[4:5]
	scratch_load_dwordx2 v[82:83], off, off offset:216
	v_cmp_lt_u32_e64 s[0:1], 27, v0
	s_waitcnt vmcnt(0)
	ds_write_b64 v1, v[82:83]
	s_waitcnt lgkmcnt(0)
	; wave barrier
	s_and_saveexec_b64 s[4:5], s[0:1]
	s_cbranch_execz .LBB102_106
; %bb.97:
	s_andn2_b64 vcc, exec, s[6:7]
	s_cbranch_vccnz .LBB102_99
; %bb.98:
	scratch_load_dwordx2 v[82:83], v19, off
	ds_read_b64 v[84:85], v1
	s_waitcnt vmcnt(0) lgkmcnt(0)
	v_mul_f64 v[82:83], v[82:83], v[84:85]
	s_cbranch_execz .LBB102_100
	s_branch .LBB102_101
.LBB102_99:
                                        ; implicit-def: $vgpr82_vgpr83
.LBB102_100:
	ds_read_b64 v[82:83], v1
.LBB102_101:
	s_and_saveexec_b64 s[8:9], s[2:3]
	s_cbranch_execz .LBB102_105
; %bb.102:
	v_subrev_u32_e32 v84, 28, v0
	s_movk_i32 s39, 0x220
	s_mov_b64 s[2:3], 0
.LBB102_103:                            ; =>This Inner Loop Header: Depth=1
	scratch_load_dwordx2 v[86:87], off, s38
	v_mov_b32_e32 v85, s39
	ds_read_b64 v[88:89], v85
	v_add_u32_e32 v84, -1, v84
	s_add_i32 s39, s39, 8
	s_add_i32 s38, s38, 8
	v_cmp_eq_u32_e32 vcc, 0, v84
	s_or_b64 s[2:3], vcc, s[2:3]
	s_waitcnt vmcnt(0) lgkmcnt(0)
	v_fmac_f64_e32 v[82:83], v[86:87], v[88:89]
	s_andn2_b64 exec, exec, s[2:3]
	s_cbranch_execnz .LBB102_103
; %bb.104:
	s_or_b64 exec, exec, s[2:3]
.LBB102_105:
	s_or_b64 exec, exec, s[8:9]
	v_mov_b32_e32 v84, 0
	ds_read_b64 v[84:85], v84 offset:216
	s_waitcnt lgkmcnt(0)
	v_mul_f64 v[82:83], v[82:83], v[84:85]
	scratch_store_dwordx2 off, v[82:83], off offset:216
.LBB102_106:
	s_or_b64 exec, exec, s[4:5]
	scratch_load_dwordx2 v[82:83], off, off offset:208
	v_cmp_lt_u32_e64 s[2:3], 26, v0
	s_waitcnt vmcnt(0)
	ds_write_b64 v1, v[82:83]
	s_waitcnt lgkmcnt(0)
	; wave barrier
	s_and_saveexec_b64 s[4:5], s[2:3]
	s_cbranch_execz .LBB102_116
; %bb.107:
	s_andn2_b64 vcc, exec, s[6:7]
	s_cbranch_vccnz .LBB102_109
; %bb.108:
	scratch_load_dwordx2 v[82:83], v19, off
	ds_read_b64 v[84:85], v1
	s_waitcnt vmcnt(0) lgkmcnt(0)
	v_mul_f64 v[82:83], v[82:83], v[84:85]
	s_cbranch_execz .LBB102_110
	s_branch .LBB102_111
.LBB102_109:
                                        ; implicit-def: $vgpr82_vgpr83
.LBB102_110:
	ds_read_b64 v[82:83], v1
.LBB102_111:
	s_and_saveexec_b64 s[8:9], s[0:1]
	s_cbranch_execz .LBB102_115
; %bb.112:
	v_subrev_u32_e32 v84, 27, v0
	s_movk_i32 s38, 0x218
	s_mov_b64 s[0:1], 0
.LBB102_113:                            ; =>This Inner Loop Header: Depth=1
	scratch_load_dwordx2 v[86:87], off, s37
	v_mov_b32_e32 v85, s38
	ds_read_b64 v[88:89], v85
	v_add_u32_e32 v84, -1, v84
	s_add_i32 s38, s38, 8
	s_add_i32 s37, s37, 8
	v_cmp_eq_u32_e32 vcc, 0, v84
	s_or_b64 s[0:1], vcc, s[0:1]
	s_waitcnt vmcnt(0) lgkmcnt(0)
	v_fmac_f64_e32 v[82:83], v[86:87], v[88:89]
	s_andn2_b64 exec, exec, s[0:1]
	s_cbranch_execnz .LBB102_113
; %bb.114:
	s_or_b64 exec, exec, s[0:1]
.LBB102_115:
	s_or_b64 exec, exec, s[8:9]
	v_mov_b32_e32 v84, 0
	ds_read_b64 v[84:85], v84 offset:208
	s_waitcnt lgkmcnt(0)
	v_mul_f64 v[82:83], v[82:83], v[84:85]
	scratch_store_dwordx2 off, v[82:83], off offset:208
.LBB102_116:
	;; [unrolled: 53-line block ×12, first 2 shown]
	s_or_b64 exec, exec, s[4:5]
	scratch_load_dwordx2 v[82:83], off, off offset:120
	v_cmp_lt_u32_e64 s[0:1], 15, v0
	s_waitcnt vmcnt(0)
	ds_write_b64 v1, v[82:83]
	s_waitcnt lgkmcnt(0)
	; wave barrier
	s_and_saveexec_b64 s[4:5], s[0:1]
	s_cbranch_execz .LBB102_226
; %bb.217:
	s_andn2_b64 vcc, exec, s[6:7]
	s_cbranch_vccnz .LBB102_219
; %bb.218:
	scratch_load_dwordx2 v[82:83], v19, off
	ds_read_b64 v[84:85], v1
	s_waitcnt vmcnt(0) lgkmcnt(0)
	v_mul_f64 v[82:83], v[82:83], v[84:85]
	s_cbranch_execz .LBB102_220
	s_branch .LBB102_221
.LBB102_219:
                                        ; implicit-def: $vgpr82_vgpr83
.LBB102_220:
	ds_read_b64 v[82:83], v1
.LBB102_221:
	s_and_saveexec_b64 s[8:9], s[2:3]
	s_cbranch_execz .LBB102_225
; %bb.222:
	v_add_u32_e32 v84, -16, v0
	s_movk_i32 s26, 0x1c0
	s_mov_b64 s[2:3], 0
.LBB102_223:                            ; =>This Inner Loop Header: Depth=1
	scratch_load_dwordx2 v[86:87], off, s25
	v_mov_b32_e32 v85, s26
	ds_read_b64 v[88:89], v85
	v_add_u32_e32 v84, -1, v84
	s_add_i32 s26, s26, 8
	s_add_i32 s25, s25, 8
	v_cmp_eq_u32_e32 vcc, 0, v84
	s_or_b64 s[2:3], vcc, s[2:3]
	s_waitcnt vmcnt(0) lgkmcnt(0)
	v_fmac_f64_e32 v[82:83], v[86:87], v[88:89]
	s_andn2_b64 exec, exec, s[2:3]
	s_cbranch_execnz .LBB102_223
; %bb.224:
	s_or_b64 exec, exec, s[2:3]
.LBB102_225:
	s_or_b64 exec, exec, s[8:9]
	v_mov_b32_e32 v84, 0
	ds_read_b64 v[84:85], v84 offset:120
	s_waitcnt lgkmcnt(0)
	v_mul_f64 v[82:83], v[82:83], v[84:85]
	scratch_store_dwordx2 off, v[82:83], off offset:120
.LBB102_226:
	s_or_b64 exec, exec, s[4:5]
	scratch_load_dwordx2 v[82:83], off, off offset:112
	v_cmp_lt_u32_e64 s[2:3], 14, v0
	s_waitcnt vmcnt(0)
	ds_write_b64 v1, v[82:83]
	s_waitcnt lgkmcnt(0)
	; wave barrier
	s_and_saveexec_b64 s[4:5], s[2:3]
	s_cbranch_execz .LBB102_236
; %bb.227:
	s_andn2_b64 vcc, exec, s[6:7]
	s_cbranch_vccnz .LBB102_229
; %bb.228:
	scratch_load_dwordx2 v[82:83], v19, off
	ds_read_b64 v[84:85], v1
	s_waitcnt vmcnt(0) lgkmcnt(0)
	v_mul_f64 v[82:83], v[82:83], v[84:85]
	s_cbranch_execz .LBB102_230
	s_branch .LBB102_231
.LBB102_229:
                                        ; implicit-def: $vgpr82_vgpr83
.LBB102_230:
	ds_read_b64 v[82:83], v1
.LBB102_231:
	s_and_saveexec_b64 s[8:9], s[0:1]
	s_cbranch_execz .LBB102_235
; %bb.232:
	v_add_u32_e32 v84, -15, v0
	s_movk_i32 s25, 0x1b8
	s_mov_b64 s[0:1], 0
.LBB102_233:                            ; =>This Inner Loop Header: Depth=1
	scratch_load_dwordx2 v[86:87], off, s24
	v_mov_b32_e32 v85, s25
	ds_read_b64 v[88:89], v85
	v_add_u32_e32 v84, -1, v84
	s_add_i32 s25, s25, 8
	s_add_i32 s24, s24, 8
	v_cmp_eq_u32_e32 vcc, 0, v84
	s_or_b64 s[0:1], vcc, s[0:1]
	s_waitcnt vmcnt(0) lgkmcnt(0)
	v_fmac_f64_e32 v[82:83], v[86:87], v[88:89]
	s_andn2_b64 exec, exec, s[0:1]
	s_cbranch_execnz .LBB102_233
; %bb.234:
	s_or_b64 exec, exec, s[0:1]
.LBB102_235:
	s_or_b64 exec, exec, s[8:9]
	v_mov_b32_e32 v84, 0
	ds_read_b64 v[84:85], v84 offset:112
	s_waitcnt lgkmcnt(0)
	v_mul_f64 v[82:83], v[82:83], v[84:85]
	scratch_store_dwordx2 off, v[82:83], off offset:112
.LBB102_236:
	;; [unrolled: 53-line block ×15, first 2 shown]
	s_or_b64 exec, exec, s[4:5]
	scratch_load_dwordx2 v[82:83], off, off
	v_cmp_ne_u32_e32 vcc, 0, v0
	s_waitcnt vmcnt(0)
	ds_write_b64 v1, v[82:83]
	s_waitcnt lgkmcnt(0)
	; wave barrier
	s_and_saveexec_b64 s[2:3], vcc
	s_cbranch_execz .LBB102_376
; %bb.367:
	s_andn2_b64 vcc, exec, s[6:7]
	s_cbranch_vccnz .LBB102_369
; %bb.368:
	scratch_load_dwordx2 v[82:83], v19, off
	ds_read_b64 v[84:85], v1
	s_waitcnt vmcnt(0) lgkmcnt(0)
	v_mul_f64 v[82:83], v[82:83], v[84:85]
	s_cbranch_execz .LBB102_370
	s_branch .LBB102_371
.LBB102_369:
                                        ; implicit-def: $vgpr82_vgpr83
.LBB102_370:
	ds_read_b64 v[82:83], v1
.LBB102_371:
	s_and_saveexec_b64 s[4:5], s[0:1]
	s_cbranch_execz .LBB102_375
; %bb.372:
	v_add_u32_e32 v84, -1, v0
	s_movk_i32 s8, 0x148
	s_mov_b64 s[0:1], 0
.LBB102_373:                            ; =>This Inner Loop Header: Depth=1
	scratch_load_dwordx2 v[86:87], off, s10
	v_mov_b32_e32 v85, s8
	ds_read_b64 v[88:89], v85
	v_add_u32_e32 v84, -1, v84
	s_add_i32 s8, s8, 8
	s_add_i32 s10, s10, 8
	v_cmp_eq_u32_e32 vcc, 0, v84
	s_or_b64 s[0:1], vcc, s[0:1]
	s_waitcnt vmcnt(0) lgkmcnt(0)
	v_fmac_f64_e32 v[82:83], v[86:87], v[88:89]
	s_andn2_b64 exec, exec, s[0:1]
	s_cbranch_execnz .LBB102_373
; %bb.374:
	s_or_b64 exec, exec, s[0:1]
.LBB102_375:
	s_or_b64 exec, exec, s[4:5]
	v_mov_b32_e32 v84, 0
	ds_read_b64 v[84:85], v84
	s_waitcnt lgkmcnt(0)
	v_mul_f64 v[82:83], v[82:83], v[84:85]
	scratch_store_dwordx2 off, v[82:83], off
.LBB102_376:
	s_or_b64 exec, exec, s[2:3]
	s_mov_b64 s[0:1], 0
.LBB102_377:
	s_and_b64 vcc, exec, s[0:1]
	s_cbranch_vccz .LBB102_749
; %bb.378:
	scratch_load_dwordx2 v[82:83], off, off offset:8
	v_cmp_eq_u32_e64 s[2:3], 0, v0
	s_waitcnt vmcnt(0)
	ds_write_b64 v1, v[82:83]
	s_waitcnt lgkmcnt(0)
	; wave barrier
	s_and_saveexec_b64 s[0:1], s[2:3]
	s_cbranch_execz .LBB102_384
; %bb.379:
	s_and_b64 vcc, exec, s[6:7]
	s_cbranch_vccz .LBB102_381
; %bb.380:
	scratch_load_dwordx2 v[82:83], v19, off
	ds_read_b64 v[84:85], v1
	s_waitcnt vmcnt(0) lgkmcnt(0)
	v_mul_f64 v[82:83], v[82:83], v[84:85]
	s_cbranch_execz .LBB102_382
	s_branch .LBB102_383
.LBB102_381:
                                        ; implicit-def: $vgpr82_vgpr83
.LBB102_382:
	ds_read_b64 v[82:83], v1
.LBB102_383:
	v_mov_b32_e32 v84, 0
	ds_read_b64 v[84:85], v84 offset:8
	s_waitcnt lgkmcnt(0)
	v_mul_f64 v[82:83], v[82:83], v[84:85]
	scratch_store_dwordx2 off, v[82:83], off offset:8
.LBB102_384:
	s_or_b64 exec, exec, s[0:1]
	scratch_load_dwordx2 v[82:83], off, off offset:16
	v_cndmask_b32_e64 v84, 0, 1, s[6:7]
	v_cmp_gt_u32_e32 vcc, 2, v0
	v_cmp_ne_u32_e64 s[0:1], 1, v84
	s_waitcnt vmcnt(0)
	ds_write_b64 v1, v[82:83]
	s_waitcnt lgkmcnt(0)
	; wave barrier
	s_and_saveexec_b64 s[4:5], vcc
	s_cbranch_execz .LBB102_390
; %bb.385:
	s_and_b64 vcc, exec, s[0:1]
	s_cbranch_vccnz .LBB102_387
; %bb.386:
	scratch_load_dwordx2 v[82:83], v19, off
	ds_read_b64 v[84:85], v1
	s_waitcnt vmcnt(0) lgkmcnt(0)
	v_mul_f64 v[82:83], v[82:83], v[84:85]
	s_cbranch_execz .LBB102_388
	s_branch .LBB102_389
.LBB102_387:
                                        ; implicit-def: $vgpr82_vgpr83
.LBB102_388:
	ds_read_b64 v[82:83], v1
.LBB102_389:
	scratch_load_dwordx2 v[88:89], off, off offset:8
	v_mov_b32_e32 v84, 0
	ds_read2_b64 v[84:87], v84 offset0:2 offset1:41
	s_waitcnt vmcnt(0) lgkmcnt(0)
	v_fma_f64 v[86:87], v[88:89], v[86:87], v[82:83]
	v_cndmask_b32_e64 v83, v83, v87, s[2:3]
	v_cndmask_b32_e64 v82, v82, v86, s[2:3]
	v_mul_f64 v[82:83], v[82:83], v[84:85]
	scratch_store_dwordx2 off, v[82:83], off offset:16
.LBB102_390:
	s_or_b64 exec, exec, s[4:5]
	scratch_load_dwordx2 v[82:83], off, off offset:24
	v_cmp_gt_u32_e32 vcc, 3, v0
	s_waitcnt vmcnt(0)
	ds_write_b64 v1, v[82:83]
	s_waitcnt lgkmcnt(0)
	; wave barrier
	s_and_saveexec_b64 s[4:5], vcc
	s_cbranch_execz .LBB102_398
; %bb.391:
	s_and_b64 vcc, exec, s[0:1]
	s_cbranch_vccnz .LBB102_393
; %bb.392:
	scratch_load_dwordx2 v[82:83], v19, off
	ds_read_b64 v[84:85], v1
	s_waitcnt vmcnt(0) lgkmcnt(0)
	v_mul_f64 v[82:83], v[82:83], v[84:85]
	s_cbranch_execz .LBB102_394
	s_branch .LBB102_395
.LBB102_393:
                                        ; implicit-def: $vgpr82_vgpr83
.LBB102_394:
	ds_read_b64 v[82:83], v1
.LBB102_395:
	v_cmp_ne_u32_e32 vcc, 2, v0
	s_and_saveexec_b64 s[6:7], vcc
	s_cbranch_execz .LBB102_397
; %bb.396:
	scratch_load_dwordx2 v[84:85], v19, off offset:8
	scratch_load_dwordx2 v[86:87], off, off offset:16
	ds_read_b64 v[88:89], v1 offset:8
	v_mov_b32_e32 v90, 0
	ds_read_b64 v[90:91], v90 offset:336
	s_waitcnt vmcnt(1) lgkmcnt(1)
	v_fmac_f64_e32 v[82:83], v[84:85], v[88:89]
	s_waitcnt vmcnt(0) lgkmcnt(0)
	v_fma_f64 v[84:85], v[86:87], v[90:91], v[82:83]
	v_cndmask_b32_e64 v83, v83, v85, s[2:3]
	v_cndmask_b32_e64 v82, v82, v84, s[2:3]
.LBB102_397:
	s_or_b64 exec, exec, s[6:7]
	v_mov_b32_e32 v84, 0
	ds_read_b64 v[84:85], v84 offset:24
	s_waitcnt lgkmcnt(0)
	v_mul_f64 v[82:83], v[82:83], v[84:85]
	scratch_store_dwordx2 off, v[82:83], off offset:24
.LBB102_398:
	s_or_b64 exec, exec, s[4:5]
	scratch_load_dwordx2 v[82:83], off, off offset:32
	v_cmp_gt_u32_e32 vcc, 4, v0
	s_waitcnt vmcnt(0)
	ds_write_b64 v1, v[82:83]
	s_waitcnt lgkmcnt(0)
	; wave barrier
	s_and_saveexec_b64 s[2:3], vcc
	s_cbranch_execz .LBB102_408
; %bb.399:
	s_and_b64 vcc, exec, s[0:1]
	s_cbranch_vccnz .LBB102_401
; %bb.400:
	scratch_load_dwordx2 v[82:83], v19, off
	ds_read_b64 v[84:85], v1
	s_waitcnt vmcnt(0) lgkmcnt(0)
	v_mul_f64 v[82:83], v[82:83], v[84:85]
	s_cbranch_execz .LBB102_402
	s_branch .LBB102_403
.LBB102_401:
                                        ; implicit-def: $vgpr82_vgpr83
.LBB102_402:
	ds_read_b64 v[82:83], v1
.LBB102_403:
	v_cmp_ne_u32_e32 vcc, 3, v0
	s_and_saveexec_b64 s[4:5], vcc
	s_cbranch_execz .LBB102_407
; %bb.404:
	s_mov_b32 s6, 0
	v_add_u32_e32 v84, 0x148, v18
	v_add3_u32 v85, v18, s6, 8
	s_mov_b64 s[6:7], 0
	v_mov_b32_e32 v86, v0
.LBB102_405:                            ; =>This Inner Loop Header: Depth=1
	scratch_load_dwordx2 v[88:89], v85, off
	ds_read_b64 v[90:91], v84
	v_add_u32_e32 v86, 1, v86
	v_cmp_lt_u32_e32 vcc, 2, v86
	v_add_u32_e32 v84, 8, v84
	v_add_u32_e32 v85, 8, v85
	s_or_b64 s[6:7], vcc, s[6:7]
	s_waitcnt vmcnt(0) lgkmcnt(0)
	v_fmac_f64_e32 v[82:83], v[88:89], v[90:91]
	s_andn2_b64 exec, exec, s[6:7]
	s_cbranch_execnz .LBB102_405
; %bb.406:
	s_or_b64 exec, exec, s[6:7]
.LBB102_407:
	s_or_b64 exec, exec, s[4:5]
	v_mov_b32_e32 v84, 0
	ds_read_b64 v[84:85], v84 offset:32
	s_waitcnt lgkmcnt(0)
	v_mul_f64 v[82:83], v[82:83], v[84:85]
	scratch_store_dwordx2 off, v[82:83], off offset:32
.LBB102_408:
	s_or_b64 exec, exec, s[2:3]
	scratch_load_dwordx2 v[82:83], off, off offset:40
	v_cmp_gt_u32_e32 vcc, 5, v0
	s_waitcnt vmcnt(0)
	ds_write_b64 v1, v[82:83]
	s_waitcnt lgkmcnt(0)
	; wave barrier
	s_and_saveexec_b64 s[2:3], vcc
	s_cbranch_execz .LBB102_418
; %bb.409:
	s_and_b64 vcc, exec, s[0:1]
	s_cbranch_vccnz .LBB102_411
; %bb.410:
	scratch_load_dwordx2 v[82:83], v19, off
	ds_read_b64 v[84:85], v1
	s_waitcnt vmcnt(0) lgkmcnt(0)
	v_mul_f64 v[82:83], v[82:83], v[84:85]
	s_cbranch_execz .LBB102_412
	s_branch .LBB102_413
.LBB102_411:
                                        ; implicit-def: $vgpr82_vgpr83
.LBB102_412:
	ds_read_b64 v[82:83], v1
.LBB102_413:
	v_cmp_ne_u32_e32 vcc, 4, v0
	s_and_saveexec_b64 s[4:5], vcc
	s_cbranch_execz .LBB102_417
; %bb.414:
	s_mov_b32 s6, 0
	v_add_u32_e32 v84, 0x148, v18
	v_add3_u32 v85, v18, s6, 8
	s_mov_b64 s[6:7], 0
	v_mov_b32_e32 v86, v0
.LBB102_415:                            ; =>This Inner Loop Header: Depth=1
	scratch_load_dwordx2 v[88:89], v85, off
	ds_read_b64 v[90:91], v84
	v_add_u32_e32 v86, 1, v86
	v_cmp_lt_u32_e32 vcc, 3, v86
	v_add_u32_e32 v84, 8, v84
	v_add_u32_e32 v85, 8, v85
	s_or_b64 s[6:7], vcc, s[6:7]
	s_waitcnt vmcnt(0) lgkmcnt(0)
	v_fmac_f64_e32 v[82:83], v[88:89], v[90:91]
	s_andn2_b64 exec, exec, s[6:7]
	s_cbranch_execnz .LBB102_415
; %bb.416:
	s_or_b64 exec, exec, s[6:7]
.LBB102_417:
	s_or_b64 exec, exec, s[4:5]
	v_mov_b32_e32 v84, 0
	ds_read_b64 v[84:85], v84 offset:40
	s_waitcnt lgkmcnt(0)
	v_mul_f64 v[82:83], v[82:83], v[84:85]
	scratch_store_dwordx2 off, v[82:83], off offset:40
.LBB102_418:
	;; [unrolled: 55-line block ×33, first 2 shown]
	s_or_b64 exec, exec, s[2:3]
	scratch_load_dwordx2 v[82:83], off, off offset:296
	v_cmp_gt_u32_e64 s[2:3], 37, v0
	s_waitcnt vmcnt(0)
	ds_write_b64 v1, v[82:83]
	s_waitcnt lgkmcnt(0)
	; wave barrier
	s_and_saveexec_b64 s[4:5], s[2:3]
	s_cbranch_execz .LBB102_738
; %bb.729:
	s_and_b64 vcc, exec, s[0:1]
	s_cbranch_vccnz .LBB102_731
; %bb.730:
	scratch_load_dwordx2 v[82:83], v19, off
	ds_read_b64 v[84:85], v1
	s_waitcnt vmcnt(0) lgkmcnt(0)
	v_mul_f64 v[82:83], v[82:83], v[84:85]
	s_cbranch_execz .LBB102_732
	s_branch .LBB102_733
.LBB102_731:
                                        ; implicit-def: $vgpr82_vgpr83
.LBB102_732:
	ds_read_b64 v[82:83], v1
.LBB102_733:
	v_cmp_ne_u32_e32 vcc, 36, v0
	s_and_saveexec_b64 s[6:7], vcc
	s_cbranch_execz .LBB102_737
; %bb.734:
	s_mov_b32 s8, 0
	v_add_u32_e32 v84, 0x148, v18
	v_add3_u32 v85, v18, s8, 8
	s_mov_b64 s[8:9], 0
	v_mov_b32_e32 v86, v0
.LBB102_735:                            ; =>This Inner Loop Header: Depth=1
	scratch_load_dwordx2 v[88:89], v85, off
	ds_read_b64 v[90:91], v84
	v_add_u32_e32 v86, 1, v86
	v_cmp_lt_u32_e32 vcc, 35, v86
	v_add_u32_e32 v84, 8, v84
	v_add_u32_e32 v85, 8, v85
	s_or_b64 s[8:9], vcc, s[8:9]
	s_waitcnt vmcnt(0) lgkmcnt(0)
	v_fmac_f64_e32 v[82:83], v[88:89], v[90:91]
	s_andn2_b64 exec, exec, s[8:9]
	s_cbranch_execnz .LBB102_735
; %bb.736:
	s_or_b64 exec, exec, s[8:9]
.LBB102_737:
	s_or_b64 exec, exec, s[6:7]
	v_mov_b32_e32 v84, 0
	ds_read_b64 v[84:85], v84 offset:296
	s_waitcnt lgkmcnt(0)
	v_mul_f64 v[82:83], v[82:83], v[84:85]
	scratch_store_dwordx2 off, v[82:83], off offset:296
.LBB102_738:
	s_or_b64 exec, exec, s[4:5]
	scratch_load_dwordx2 v[82:83], off, off offset:304
	v_cmp_ne_u32_e32 vcc, 38, v0
	s_waitcnt vmcnt(0)
	ds_write_b64 v1, v[82:83]
	s_waitcnt lgkmcnt(0)
	; wave barrier
	s_and_saveexec_b64 s[4:5], vcc
	s_cbranch_execz .LBB102_748
; %bb.739:
	s_and_b64 vcc, exec, s[0:1]
	s_cbranch_vccnz .LBB102_741
; %bb.740:
	scratch_load_dwordx2 v[82:83], v19, off
	ds_read_b64 v[84:85], v1
	s_waitcnt vmcnt(0) lgkmcnt(0)
	v_mul_f64 v[82:83], v[82:83], v[84:85]
	s_cbranch_execz .LBB102_742
	s_branch .LBB102_743
.LBB102_741:
                                        ; implicit-def: $vgpr82_vgpr83
.LBB102_742:
	ds_read_b64 v[82:83], v1
.LBB102_743:
	s_and_saveexec_b64 s[0:1], s[2:3]
	s_cbranch_execz .LBB102_747
; %bb.744:
	s_mov_b32 s2, 0
	v_add_u32_e32 v1, 0x148, v18
	v_add3_u32 v18, v18, s2, 8
	s_mov_b64 s[2:3], 0
.LBB102_745:                            ; =>This Inner Loop Header: Depth=1
	scratch_load_dwordx2 v[84:85], v18, off
	ds_read_b64 v[86:87], v1
	v_add_u32_e32 v0, 1, v0
	v_cmp_lt_u32_e32 vcc, 36, v0
	v_add_u32_e32 v1, 8, v1
	v_add_u32_e32 v18, 8, v18
	s_or_b64 s[2:3], vcc, s[2:3]
	s_waitcnt vmcnt(0) lgkmcnt(0)
	v_fmac_f64_e32 v[82:83], v[84:85], v[86:87]
	s_andn2_b64 exec, exec, s[2:3]
	s_cbranch_execnz .LBB102_745
; %bb.746:
	s_or_b64 exec, exec, s[2:3]
.LBB102_747:
	s_or_b64 exec, exec, s[0:1]
	v_mov_b32_e32 v0, 0
	ds_read_b64 v[0:1], v0 offset:304
	s_waitcnt lgkmcnt(0)
	v_mul_f64 v[0:1], v[82:83], v[0:1]
	scratch_store_dwordx2 off, v[0:1], off offset:304
.LBB102_748:
	s_or_b64 exec, exec, s[4:5]
.LBB102_749:
	scratch_load_dwordx2 v[0:1], off, off
	s_waitcnt vmcnt(0)
	flat_store_dwordx2 v[2:3], v[0:1]
	scratch_load_dwordx2 v[0:1], off, off offset:8
	s_waitcnt vmcnt(0)
	flat_store_dwordx2 v[4:5], v[0:1]
	scratch_load_dwordx2 v[0:1], off, off offset:16
	;; [unrolled: 3-line block ×38, first 2 shown]
	s_waitcnt vmcnt(0)
	flat_store_dwordx2 v[80:81], v[0:1]
.LBB102_750:
	s_endpgm
	.section	.rodata,"a",@progbits
	.p2align	6, 0x0
	.amdhsa_kernel _ZN9rocsolver6v33100L18trti2_kernel_smallILi39EdPKPdEEv13rocblas_fill_17rocblas_diagonal_T1_iil
		.amdhsa_group_segment_fixed_size 632
		.amdhsa_private_segment_fixed_size 320
		.amdhsa_kernarg_size 32
		.amdhsa_user_sgpr_count 2
		.amdhsa_user_sgpr_dispatch_ptr 0
		.amdhsa_user_sgpr_queue_ptr 0
		.amdhsa_user_sgpr_kernarg_segment_ptr 1
		.amdhsa_user_sgpr_dispatch_id 0
		.amdhsa_user_sgpr_kernarg_preload_length 0
		.amdhsa_user_sgpr_kernarg_preload_offset 0
		.amdhsa_user_sgpr_private_segment_size 0
		.amdhsa_uses_dynamic_stack 0
		.amdhsa_enable_private_segment 1
		.amdhsa_system_sgpr_workgroup_id_x 1
		.amdhsa_system_sgpr_workgroup_id_y 0
		.amdhsa_system_sgpr_workgroup_id_z 0
		.amdhsa_system_sgpr_workgroup_info 0
		.amdhsa_system_vgpr_workitem_id 0
		.amdhsa_next_free_vgpr 92
		.amdhsa_next_free_sgpr 48
		.amdhsa_accum_offset 92
		.amdhsa_reserve_vcc 1
		.amdhsa_float_round_mode_32 0
		.amdhsa_float_round_mode_16_64 0
		.amdhsa_float_denorm_mode_32 3
		.amdhsa_float_denorm_mode_16_64 3
		.amdhsa_dx10_clamp 1
		.amdhsa_ieee_mode 1
		.amdhsa_fp16_overflow 0
		.amdhsa_tg_split 0
		.amdhsa_exception_fp_ieee_invalid_op 0
		.amdhsa_exception_fp_denorm_src 0
		.amdhsa_exception_fp_ieee_div_zero 0
		.amdhsa_exception_fp_ieee_overflow 0
		.amdhsa_exception_fp_ieee_underflow 0
		.amdhsa_exception_fp_ieee_inexact 0
		.amdhsa_exception_int_div_zero 0
	.end_amdhsa_kernel
	.section	.text._ZN9rocsolver6v33100L18trti2_kernel_smallILi39EdPKPdEEv13rocblas_fill_17rocblas_diagonal_T1_iil,"axG",@progbits,_ZN9rocsolver6v33100L18trti2_kernel_smallILi39EdPKPdEEv13rocblas_fill_17rocblas_diagonal_T1_iil,comdat
.Lfunc_end102:
	.size	_ZN9rocsolver6v33100L18trti2_kernel_smallILi39EdPKPdEEv13rocblas_fill_17rocblas_diagonal_T1_iil, .Lfunc_end102-_ZN9rocsolver6v33100L18trti2_kernel_smallILi39EdPKPdEEv13rocblas_fill_17rocblas_diagonal_T1_iil
                                        ; -- End function
	.set _ZN9rocsolver6v33100L18trti2_kernel_smallILi39EdPKPdEEv13rocblas_fill_17rocblas_diagonal_T1_iil.num_vgpr, 92
	.set _ZN9rocsolver6v33100L18trti2_kernel_smallILi39EdPKPdEEv13rocblas_fill_17rocblas_diagonal_T1_iil.num_agpr, 0
	.set _ZN9rocsolver6v33100L18trti2_kernel_smallILi39EdPKPdEEv13rocblas_fill_17rocblas_diagonal_T1_iil.numbered_sgpr, 48
	.set _ZN9rocsolver6v33100L18trti2_kernel_smallILi39EdPKPdEEv13rocblas_fill_17rocblas_diagonal_T1_iil.num_named_barrier, 0
	.set _ZN9rocsolver6v33100L18trti2_kernel_smallILi39EdPKPdEEv13rocblas_fill_17rocblas_diagonal_T1_iil.private_seg_size, 320
	.set _ZN9rocsolver6v33100L18trti2_kernel_smallILi39EdPKPdEEv13rocblas_fill_17rocblas_diagonal_T1_iil.uses_vcc, 1
	.set _ZN9rocsolver6v33100L18trti2_kernel_smallILi39EdPKPdEEv13rocblas_fill_17rocblas_diagonal_T1_iil.uses_flat_scratch, 0
	.set _ZN9rocsolver6v33100L18trti2_kernel_smallILi39EdPKPdEEv13rocblas_fill_17rocblas_diagonal_T1_iil.has_dyn_sized_stack, 0
	.set _ZN9rocsolver6v33100L18trti2_kernel_smallILi39EdPKPdEEv13rocblas_fill_17rocblas_diagonal_T1_iil.has_recursion, 0
	.set _ZN9rocsolver6v33100L18trti2_kernel_smallILi39EdPKPdEEv13rocblas_fill_17rocblas_diagonal_T1_iil.has_indirect_call, 0
	.section	.AMDGPU.csdata,"",@progbits
; Kernel info:
; codeLenInByte = 18856
; TotalNumSgprs: 54
; NumVgprs: 92
; NumAgprs: 0
; TotalNumVgprs: 92
; ScratchSize: 320
; MemoryBound: 0
; FloatMode: 240
; IeeeMode: 1
; LDSByteSize: 632 bytes/workgroup (compile time only)
; SGPRBlocks: 6
; VGPRBlocks: 11
; NumSGPRsForWavesPerEU: 54
; NumVGPRsForWavesPerEU: 92
; AccumOffset: 92
; Occupancy: 5
; WaveLimiterHint : 1
; COMPUTE_PGM_RSRC2:SCRATCH_EN: 1
; COMPUTE_PGM_RSRC2:USER_SGPR: 2
; COMPUTE_PGM_RSRC2:TRAP_HANDLER: 0
; COMPUTE_PGM_RSRC2:TGID_X_EN: 1
; COMPUTE_PGM_RSRC2:TGID_Y_EN: 0
; COMPUTE_PGM_RSRC2:TGID_Z_EN: 0
; COMPUTE_PGM_RSRC2:TIDIG_COMP_CNT: 0
; COMPUTE_PGM_RSRC3_GFX90A:ACCUM_OFFSET: 22
; COMPUTE_PGM_RSRC3_GFX90A:TG_SPLIT: 0
	.section	.text._ZN9rocsolver6v33100L18trti2_kernel_smallILi40EdPKPdEEv13rocblas_fill_17rocblas_diagonal_T1_iil,"axG",@progbits,_ZN9rocsolver6v33100L18trti2_kernel_smallILi40EdPKPdEEv13rocblas_fill_17rocblas_diagonal_T1_iil,comdat
	.globl	_ZN9rocsolver6v33100L18trti2_kernel_smallILi40EdPKPdEEv13rocblas_fill_17rocblas_diagonal_T1_iil ; -- Begin function _ZN9rocsolver6v33100L18trti2_kernel_smallILi40EdPKPdEEv13rocblas_fill_17rocblas_diagonal_T1_iil
	.p2align	8
	.type	_ZN9rocsolver6v33100L18trti2_kernel_smallILi40EdPKPdEEv13rocblas_fill_17rocblas_diagonal_T1_iil,@function
_ZN9rocsolver6v33100L18trti2_kernel_smallILi40EdPKPdEEv13rocblas_fill_17rocblas_diagonal_T1_iil: ; @_ZN9rocsolver6v33100L18trti2_kernel_smallILi40EdPKPdEEv13rocblas_fill_17rocblas_diagonal_T1_iil
; %bb.0:
	v_cmp_gt_u32_e32 vcc, 40, v0
	s_and_saveexec_b64 s[4:5], vcc
	s_cbranch_execz .LBB103_770
; %bb.1:
	s_load_dwordx2 s[8:9], s[0:1], 0x10
	s_load_dwordx4 s[4:7], s[0:1], 0x0
	s_ashr_i32 s3, s2, 31
	s_lshl_b64 s[0:1], s[2:3], 3
	v_lshlrev_b32_e32 v18, 3, v0
	s_waitcnt lgkmcnt(0)
	s_ashr_i32 s3, s8, 31
	s_add_u32 s0, s6, s0
	s_addc_u32 s1, s7, s1
	s_load_dwordx2 s[0:1], s[0:1], 0x0
	s_mov_b32 s2, s8
	s_lshl_b64 s[2:3], s[2:3], 3
	v_mov_b32_e32 v19, 0
	s_waitcnt lgkmcnt(0)
	s_add_u32 s0, s0, s2
	s_addc_u32 s1, s1, s3
	v_lshl_add_u64 v[2:3], s[0:1], 0, v[18:19]
	flat_load_dwordx2 v[6:7], v[2:3]
	s_mov_b32 s2, s9
	s_ashr_i32 s3, s9, 31
	v_lshl_add_u64 v[4:5], s[2:3], 3, v[2:3]
	s_add_i32 s2, s9, s9
	v_add_u32_e32 v10, s2, v0
	v_ashrrev_i32_e32 v11, 31, v10
	s_cmpk_lg_i32 s5, 0x84
	s_cselect_b64 s[6:7], -1, 0
	s_cmpk_eq_i32 s5, 0x84
	s_waitcnt vmcnt(0) lgkmcnt(0)
	scratch_store_dwordx2 off, v[6:7], off
	flat_load_dwordx2 v[8:9], v[4:5]
	v_lshl_add_u64 v[6:7], v[10:11], 3, s[0:1]
	v_add_u32_e32 v10, s9, v10
	v_ashrrev_i32_e32 v11, 31, v10
	v_add_u32_e32 v14, s9, v10
	v_ashrrev_i32_e32 v15, 31, v14
	s_waitcnt vmcnt(0) lgkmcnt(0)
	scratch_store_dwordx2 off, v[8:9], off offset:8
	flat_load_dwordx2 v[12:13], v[6:7]
	v_lshl_add_u64 v[8:9], v[10:11], 3, s[0:1]
	v_lshl_add_u64 v[10:11], v[14:15], 3, s[0:1]
	v_add_u32_e32 v14, s9, v14
	v_ashrrev_i32_e32 v15, 31, v14
	v_add_u32_e32 v20, s9, v14
	v_ashrrev_i32_e32 v21, 31, v20
	s_waitcnt vmcnt(0) lgkmcnt(0)
	scratch_store_dwordx2 off, v[12:13], off offset:16
	flat_load_dwordx2 v[12:13], v[8:9]
	s_waitcnt vmcnt(0) lgkmcnt(0)
	scratch_store_dwordx2 off, v[12:13], off offset:24
	flat_load_dwordx2 v[16:17], v[10:11]
	v_lshl_add_u64 v[12:13], v[14:15], 3, s[0:1]
	v_lshl_add_u64 v[14:15], v[20:21], 3, s[0:1]
	v_add_u32_e32 v20, s9, v20
	v_ashrrev_i32_e32 v21, 31, v20
	v_add_u32_e32 v24, s9, v20
	v_ashrrev_i32_e32 v25, 31, v24
	s_waitcnt vmcnt(0) lgkmcnt(0)
	scratch_store_dwordx2 off, v[16:17], off offset:32
	flat_load_dwordx2 v[16:17], v[12:13]
	;; [unrolled: 12-line block ×17, first 2 shown]
	s_waitcnt vmcnt(0) lgkmcnt(0)
	scratch_store_dwordx2 off, v[78:79], off offset:280
	flat_load_dwordx2 v[82:83], v[76:77]
	v_lshl_add_u64 v[78:79], v[80:81], 3, s[0:1]
	v_lshl_add_u64 v[80:81], v[84:85], 3, s[0:1]
	s_waitcnt vmcnt(0) lgkmcnt(0)
	scratch_store_dwordx2 off, v[82:83], off offset:288
	flat_load_dwordx2 v[82:83], v[78:79]
	s_waitcnt vmcnt(0) lgkmcnt(0)
	scratch_store_dwordx2 off, v[82:83], off offset:296
	flat_load_dwordx2 v[86:87], v[80:81]
	v_add_u32_e32 v82, s9, v84
	v_ashrrev_i32_e32 v83, 31, v82
	v_lshl_add_u64 v[82:83], v[82:83], 3, s[0:1]
	s_waitcnt vmcnt(0) lgkmcnt(0)
	scratch_store_dwordx2 off, v[86:87], off offset:304
	flat_load_dwordx2 v[84:85], v[82:83]
	s_waitcnt vmcnt(0) lgkmcnt(0)
	scratch_store_dwordx2 off, v[84:85], off offset:312
	v_mov_b64_e32 v[84:85], -1.0
	s_cbranch_scc1 .LBB103_3
; %bb.2:
	scratch_load_dwordx2 v[84:85], v18, off
	s_waitcnt vmcnt(0)
	v_div_scale_f64 v[86:87], s[0:1], v[84:85], v[84:85], 1.0
	v_rcp_f64_e32 v[88:89], v[86:87]
	v_div_scale_f64 v[90:91], vcc, 1.0, v[84:85], 1.0
	v_fma_f64 v[92:93], -v[86:87], v[88:89], 1.0
	v_fmac_f64_e32 v[88:89], v[88:89], v[92:93]
	v_fma_f64 v[92:93], -v[86:87], v[88:89], 1.0
	v_fmac_f64_e32 v[88:89], v[88:89], v[92:93]
	v_mul_f64 v[92:93], v[90:91], v[88:89]
	v_fma_f64 v[86:87], -v[86:87], v[92:93], v[90:91]
	v_div_fmas_f64 v[86:87], v[86:87], v[88:89], v[92:93]
	v_div_fixup_f64 v[84:85], v[86:87], v[84:85], 1.0
	scratch_store_dwordx2 v18, v[84:85], off
	v_xor_b32_e32 v85, 0x80000000, v85
.LBB103_3:
	s_cmpk_eq_i32 s4, 0x79
	v_add_u32_e32 v1, 0x140, v18
	v_mov_b32_e32 v19, v18
	s_mov_b64 s[0:1], -1
	ds_write_b64 v18, v[84:85]
	s_cbranch_scc1 .LBB103_387
; %bb.4:
	scratch_load_dwordx2 v[84:85], off, off offset:304
	s_movk_i32 s8, 0x48
	s_movk_i32 s9, 0x50
	;; [unrolled: 1-line block ×29, first 2 shown]
	v_cmp_eq_u32_e64 s[0:1], 39, v0
	s_waitcnt vmcnt(0)
	ds_write_b64 v1, v[84:85]
	s_waitcnt lgkmcnt(0)
	; wave barrier
	s_and_saveexec_b64 s[2:3], s[0:1]
	s_cbranch_execz .LBB103_10
; %bb.5:
	s_and_b64 vcc, exec, s[6:7]
	s_cbranch_vccz .LBB103_7
; %bb.6:
	scratch_load_dwordx2 v[84:85], v19, off
	ds_read_b64 v[86:87], v1
	s_waitcnt vmcnt(0) lgkmcnt(0)
	v_mul_f64 v[84:85], v[84:85], v[86:87]
	s_cbranch_execz .LBB103_8
	s_branch .LBB103_9
.LBB103_7:
                                        ; implicit-def: $vgpr84_vgpr85
.LBB103_8:
	ds_read_b64 v[84:85], v1
.LBB103_9:
	v_mov_b32_e32 v86, 0
	ds_read_b64 v[86:87], v86 offset:304
	s_waitcnt lgkmcnt(0)
	v_mul_f64 v[84:85], v[84:85], v[86:87]
	scratch_store_dwordx2 off, v[84:85], off offset:304
.LBB103_10:
	s_or_b64 exec, exec, s[2:3]
	scratch_load_dwordx2 v[84:85], off, off offset:296
	s_or_b32 s10, 0, 8
	s_mov_b32 s11, 16
	s_mov_b32 s12, 24
	;; [unrolled: 1-line block ×9, first 2 shown]
	v_cmp_lt_u32_e64 s[2:3], 37, v0
	s_waitcnt vmcnt(0)
	ds_write_b64 v1, v[84:85]
	s_waitcnt lgkmcnt(0)
	; wave barrier
	s_and_saveexec_b64 s[4:5], s[2:3]
	s_cbranch_execz .LBB103_16
; %bb.11:
	s_andn2_b64 vcc, exec, s[6:7]
	s_cbranch_vccnz .LBB103_13
; %bb.12:
	scratch_load_dwordx2 v[84:85], v19, off
	ds_read_b64 v[86:87], v1
	s_waitcnt vmcnt(0) lgkmcnt(0)
	v_mul_f64 v[84:85], v[84:85], v[86:87]
	s_cbranch_execz .LBB103_14
	s_branch .LBB103_15
.LBB103_13:
                                        ; implicit-def: $vgpr84_vgpr85
.LBB103_14:
	ds_read_b64 v[84:85], v1
.LBB103_15:
	scratch_load_dwordx2 v[90:91], off, off offset:304
	v_mov_b32_e32 v86, 0
	ds_read2_b64 v[86:89], v86 offset0:37 offset1:78
	s_waitcnt vmcnt(0) lgkmcnt(0)
	v_fma_f64 v[88:89], v[90:91], v[88:89], v[84:85]
	v_cndmask_b32_e64 v85, v85, v89, s[0:1]
	v_cndmask_b32_e64 v84, v84, v88, s[0:1]
	v_mul_f64 v[84:85], v[84:85], v[86:87]
	scratch_store_dwordx2 off, v[84:85], off offset:296
.LBB103_16:
	s_or_b64 exec, exec, s[4:5]
	scratch_load_dwordx2 v[84:85], off, off offset:288
	v_cmp_lt_u32_e64 s[0:1], 36, v0
	s_waitcnt vmcnt(0)
	ds_write_b64 v1, v[84:85]
	s_waitcnt lgkmcnt(0)
	; wave barrier
	s_and_saveexec_b64 s[4:5], s[0:1]
	s_cbranch_execz .LBB103_26
; %bb.17:
	s_andn2_b64 vcc, exec, s[6:7]
	s_cbranch_vccnz .LBB103_19
; %bb.18:
	scratch_load_dwordx2 v[84:85], v19, off
	ds_read_b64 v[86:87], v1
	s_waitcnt vmcnt(0) lgkmcnt(0)
	v_mul_f64 v[84:85], v[84:85], v[86:87]
	s_cbranch_execz .LBB103_20
	s_branch .LBB103_21
.LBB103_19:
                                        ; implicit-def: $vgpr84_vgpr85
.LBB103_20:
	ds_read_b64 v[84:85], v1
.LBB103_21:
	s_and_saveexec_b64 s[8:9], s[2:3]
	s_cbranch_execz .LBB103_25
; %bb.22:
	v_subrev_u32_e32 v86, 37, v0
	s_movk_i32 s48, 0x268
	s_mov_b64 s[2:3], 0
.LBB103_23:                             ; =>This Inner Loop Header: Depth=1
	scratch_load_dwordx2 v[88:89], off, s47
	v_mov_b32_e32 v87, s48
	ds_read_b64 v[90:91], v87
	v_add_u32_e32 v86, -1, v86
	s_add_i32 s48, s48, 8
	s_add_i32 s47, s47, 8
	v_cmp_eq_u32_e32 vcc, 0, v86
	s_or_b64 s[2:3], vcc, s[2:3]
	s_waitcnt vmcnt(0) lgkmcnt(0)
	v_fmac_f64_e32 v[84:85], v[88:89], v[90:91]
	s_andn2_b64 exec, exec, s[2:3]
	s_cbranch_execnz .LBB103_23
; %bb.24:
	s_or_b64 exec, exec, s[2:3]
.LBB103_25:
	s_or_b64 exec, exec, s[8:9]
	v_mov_b32_e32 v86, 0
	ds_read_b64 v[86:87], v86 offset:288
	s_waitcnt lgkmcnt(0)
	v_mul_f64 v[84:85], v[84:85], v[86:87]
	scratch_store_dwordx2 off, v[84:85], off offset:288
.LBB103_26:
	s_or_b64 exec, exec, s[4:5]
	scratch_load_dwordx2 v[84:85], off, off offset:280
	v_cmp_lt_u32_e64 s[2:3], 35, v0
	s_waitcnt vmcnt(0)
	ds_write_b64 v1, v[84:85]
	s_waitcnt lgkmcnt(0)
	; wave barrier
	s_and_saveexec_b64 s[4:5], s[2:3]
	s_cbranch_execz .LBB103_36
; %bb.27:
	s_andn2_b64 vcc, exec, s[6:7]
	s_cbranch_vccnz .LBB103_29
; %bb.28:
	scratch_load_dwordx2 v[84:85], v19, off
	ds_read_b64 v[86:87], v1
	s_waitcnt vmcnt(0) lgkmcnt(0)
	v_mul_f64 v[84:85], v[84:85], v[86:87]
	s_cbranch_execz .LBB103_30
	s_branch .LBB103_31
.LBB103_29:
                                        ; implicit-def: $vgpr84_vgpr85
.LBB103_30:
	ds_read_b64 v[84:85], v1
.LBB103_31:
	s_and_saveexec_b64 s[8:9], s[0:1]
	s_cbranch_execz .LBB103_35
; %bb.32:
	v_subrev_u32_e32 v86, 36, v0
	s_movk_i32 s47, 0x260
	s_mov_b64 s[0:1], 0
.LBB103_33:                             ; =>This Inner Loop Header: Depth=1
	scratch_load_dwordx2 v[88:89], off, s46
	v_mov_b32_e32 v87, s47
	ds_read_b64 v[90:91], v87
	v_add_u32_e32 v86, -1, v86
	s_add_i32 s47, s47, 8
	s_add_i32 s46, s46, 8
	v_cmp_eq_u32_e32 vcc, 0, v86
	s_or_b64 s[0:1], vcc, s[0:1]
	s_waitcnt vmcnt(0) lgkmcnt(0)
	v_fmac_f64_e32 v[84:85], v[88:89], v[90:91]
	s_andn2_b64 exec, exec, s[0:1]
	s_cbranch_execnz .LBB103_33
; %bb.34:
	s_or_b64 exec, exec, s[0:1]
.LBB103_35:
	s_or_b64 exec, exec, s[8:9]
	v_mov_b32_e32 v86, 0
	ds_read_b64 v[86:87], v86 offset:280
	s_waitcnt lgkmcnt(0)
	v_mul_f64 v[84:85], v[84:85], v[86:87]
	scratch_store_dwordx2 off, v[84:85], off offset:280
.LBB103_36:
	;; [unrolled: 53-line block ×8, first 2 shown]
	s_or_b64 exec, exec, s[4:5]
	scratch_load_dwordx2 v[84:85], off, off offset:224
	v_cmp_lt_u32_e64 s[0:1], 28, v0
	s_waitcnt vmcnt(0)
	ds_write_b64 v1, v[84:85]
	s_waitcnt lgkmcnt(0)
	; wave barrier
	s_and_saveexec_b64 s[4:5], s[0:1]
	s_cbranch_execz .LBB103_106
; %bb.97:
	s_andn2_b64 vcc, exec, s[6:7]
	s_cbranch_vccnz .LBB103_99
; %bb.98:
	scratch_load_dwordx2 v[84:85], v19, off
	ds_read_b64 v[86:87], v1
	s_waitcnt vmcnt(0) lgkmcnt(0)
	v_mul_f64 v[84:85], v[84:85], v[86:87]
	s_cbranch_execz .LBB103_100
	s_branch .LBB103_101
.LBB103_99:
                                        ; implicit-def: $vgpr84_vgpr85
.LBB103_100:
	ds_read_b64 v[84:85], v1
.LBB103_101:
	s_and_saveexec_b64 s[8:9], s[2:3]
	s_cbranch_execz .LBB103_105
; %bb.102:
	v_subrev_u32_e32 v86, 29, v0
	s_movk_i32 s40, 0x228
	s_mov_b64 s[2:3], 0
.LBB103_103:                            ; =>This Inner Loop Header: Depth=1
	scratch_load_dwordx2 v[88:89], off, s39
	v_mov_b32_e32 v87, s40
	ds_read_b64 v[90:91], v87
	v_add_u32_e32 v86, -1, v86
	s_add_i32 s40, s40, 8
	s_add_i32 s39, s39, 8
	v_cmp_eq_u32_e32 vcc, 0, v86
	s_or_b64 s[2:3], vcc, s[2:3]
	s_waitcnt vmcnt(0) lgkmcnt(0)
	v_fmac_f64_e32 v[84:85], v[88:89], v[90:91]
	s_andn2_b64 exec, exec, s[2:3]
	s_cbranch_execnz .LBB103_103
; %bb.104:
	s_or_b64 exec, exec, s[2:3]
.LBB103_105:
	s_or_b64 exec, exec, s[8:9]
	v_mov_b32_e32 v86, 0
	ds_read_b64 v[86:87], v86 offset:224
	s_waitcnt lgkmcnt(0)
	v_mul_f64 v[84:85], v[84:85], v[86:87]
	scratch_store_dwordx2 off, v[84:85], off offset:224
.LBB103_106:
	s_or_b64 exec, exec, s[4:5]
	scratch_load_dwordx2 v[84:85], off, off offset:216
	v_cmp_lt_u32_e64 s[2:3], 27, v0
	s_waitcnt vmcnt(0)
	ds_write_b64 v1, v[84:85]
	s_waitcnt lgkmcnt(0)
	; wave barrier
	s_and_saveexec_b64 s[4:5], s[2:3]
	s_cbranch_execz .LBB103_116
; %bb.107:
	s_andn2_b64 vcc, exec, s[6:7]
	s_cbranch_vccnz .LBB103_109
; %bb.108:
	scratch_load_dwordx2 v[84:85], v19, off
	ds_read_b64 v[86:87], v1
	s_waitcnt vmcnt(0) lgkmcnt(0)
	v_mul_f64 v[84:85], v[84:85], v[86:87]
	s_cbranch_execz .LBB103_110
	s_branch .LBB103_111
.LBB103_109:
                                        ; implicit-def: $vgpr84_vgpr85
.LBB103_110:
	ds_read_b64 v[84:85], v1
.LBB103_111:
	s_and_saveexec_b64 s[8:9], s[0:1]
	s_cbranch_execz .LBB103_115
; %bb.112:
	v_subrev_u32_e32 v86, 28, v0
	s_movk_i32 s39, 0x220
	s_mov_b64 s[0:1], 0
.LBB103_113:                            ; =>This Inner Loop Header: Depth=1
	scratch_load_dwordx2 v[88:89], off, s38
	v_mov_b32_e32 v87, s39
	ds_read_b64 v[90:91], v87
	v_add_u32_e32 v86, -1, v86
	s_add_i32 s39, s39, 8
	s_add_i32 s38, s38, 8
	v_cmp_eq_u32_e32 vcc, 0, v86
	s_or_b64 s[0:1], vcc, s[0:1]
	s_waitcnt vmcnt(0) lgkmcnt(0)
	v_fmac_f64_e32 v[84:85], v[88:89], v[90:91]
	s_andn2_b64 exec, exec, s[0:1]
	s_cbranch_execnz .LBB103_113
; %bb.114:
	s_or_b64 exec, exec, s[0:1]
.LBB103_115:
	s_or_b64 exec, exec, s[8:9]
	v_mov_b32_e32 v86, 0
	ds_read_b64 v[86:87], v86 offset:216
	s_waitcnt lgkmcnt(0)
	v_mul_f64 v[84:85], v[84:85], v[86:87]
	scratch_store_dwordx2 off, v[84:85], off offset:216
.LBB103_116:
	;; [unrolled: 53-line block ×13, first 2 shown]
	s_or_b64 exec, exec, s[4:5]
	scratch_load_dwordx2 v[84:85], off, off offset:120
	v_cmp_lt_u32_e64 s[2:3], 15, v0
	s_waitcnt vmcnt(0)
	ds_write_b64 v1, v[84:85]
	s_waitcnt lgkmcnt(0)
	; wave barrier
	s_and_saveexec_b64 s[4:5], s[2:3]
	s_cbranch_execz .LBB103_236
; %bb.227:
	s_andn2_b64 vcc, exec, s[6:7]
	s_cbranch_vccnz .LBB103_229
; %bb.228:
	scratch_load_dwordx2 v[84:85], v19, off
	ds_read_b64 v[86:87], v1
	s_waitcnt vmcnt(0) lgkmcnt(0)
	v_mul_f64 v[84:85], v[84:85], v[86:87]
	s_cbranch_execz .LBB103_230
	s_branch .LBB103_231
.LBB103_229:
                                        ; implicit-def: $vgpr84_vgpr85
.LBB103_230:
	ds_read_b64 v[84:85], v1
.LBB103_231:
	s_and_saveexec_b64 s[8:9], s[0:1]
	s_cbranch_execz .LBB103_235
; %bb.232:
	v_add_u32_e32 v86, -16, v0
	s_movk_i32 s26, 0x1c0
	s_mov_b64 s[0:1], 0
.LBB103_233:                            ; =>This Inner Loop Header: Depth=1
	scratch_load_dwordx2 v[88:89], off, s25
	v_mov_b32_e32 v87, s26
	ds_read_b64 v[90:91], v87
	v_add_u32_e32 v86, -1, v86
	s_add_i32 s26, s26, 8
	s_add_i32 s25, s25, 8
	v_cmp_eq_u32_e32 vcc, 0, v86
	s_or_b64 s[0:1], vcc, s[0:1]
	s_waitcnt vmcnt(0) lgkmcnt(0)
	v_fmac_f64_e32 v[84:85], v[88:89], v[90:91]
	s_andn2_b64 exec, exec, s[0:1]
	s_cbranch_execnz .LBB103_233
; %bb.234:
	s_or_b64 exec, exec, s[0:1]
.LBB103_235:
	s_or_b64 exec, exec, s[8:9]
	v_mov_b32_e32 v86, 0
	ds_read_b64 v[86:87], v86 offset:120
	s_waitcnt lgkmcnt(0)
	v_mul_f64 v[84:85], v[84:85], v[86:87]
	scratch_store_dwordx2 off, v[84:85], off offset:120
.LBB103_236:
	s_or_b64 exec, exec, s[4:5]
	scratch_load_dwordx2 v[84:85], off, off offset:112
	v_cmp_lt_u32_e64 s[0:1], 14, v0
	s_waitcnt vmcnt(0)
	ds_write_b64 v1, v[84:85]
	s_waitcnt lgkmcnt(0)
	; wave barrier
	s_and_saveexec_b64 s[4:5], s[0:1]
	s_cbranch_execz .LBB103_246
; %bb.237:
	s_andn2_b64 vcc, exec, s[6:7]
	s_cbranch_vccnz .LBB103_239
; %bb.238:
	scratch_load_dwordx2 v[84:85], v19, off
	ds_read_b64 v[86:87], v1
	s_waitcnt vmcnt(0) lgkmcnt(0)
	v_mul_f64 v[84:85], v[84:85], v[86:87]
	s_cbranch_execz .LBB103_240
	s_branch .LBB103_241
.LBB103_239:
                                        ; implicit-def: $vgpr84_vgpr85
.LBB103_240:
	ds_read_b64 v[84:85], v1
.LBB103_241:
	s_and_saveexec_b64 s[8:9], s[2:3]
	s_cbranch_execz .LBB103_245
; %bb.242:
	v_add_u32_e32 v86, -15, v0
	s_movk_i32 s25, 0x1b8
	s_mov_b64 s[2:3], 0
.LBB103_243:                            ; =>This Inner Loop Header: Depth=1
	scratch_load_dwordx2 v[88:89], off, s24
	v_mov_b32_e32 v87, s25
	ds_read_b64 v[90:91], v87
	v_add_u32_e32 v86, -1, v86
	s_add_i32 s25, s25, 8
	s_add_i32 s24, s24, 8
	v_cmp_eq_u32_e32 vcc, 0, v86
	s_or_b64 s[2:3], vcc, s[2:3]
	s_waitcnt vmcnt(0) lgkmcnt(0)
	v_fmac_f64_e32 v[84:85], v[88:89], v[90:91]
	s_andn2_b64 exec, exec, s[2:3]
	s_cbranch_execnz .LBB103_243
; %bb.244:
	s_or_b64 exec, exec, s[2:3]
.LBB103_245:
	s_or_b64 exec, exec, s[8:9]
	v_mov_b32_e32 v86, 0
	ds_read_b64 v[86:87], v86 offset:112
	s_waitcnt lgkmcnt(0)
	v_mul_f64 v[84:85], v[84:85], v[86:87]
	scratch_store_dwordx2 off, v[84:85], off offset:112
.LBB103_246:
	s_or_b64 exec, exec, s[4:5]
	scratch_load_dwordx2 v[84:85], off, off offset:104
	v_cmp_lt_u32_e64 s[2:3], 13, v0
	s_waitcnt vmcnt(0)
	ds_write_b64 v1, v[84:85]
	s_waitcnt lgkmcnt(0)
	; wave barrier
	s_and_saveexec_b64 s[4:5], s[2:3]
	s_cbranch_execz .LBB103_256
; %bb.247:
	s_andn2_b64 vcc, exec, s[6:7]
	s_cbranch_vccnz .LBB103_249
; %bb.248:
	scratch_load_dwordx2 v[84:85], v19, off
	ds_read_b64 v[86:87], v1
	s_waitcnt vmcnt(0) lgkmcnt(0)
	v_mul_f64 v[84:85], v[84:85], v[86:87]
	s_cbranch_execz .LBB103_250
	s_branch .LBB103_251
.LBB103_249:
                                        ; implicit-def: $vgpr84_vgpr85
.LBB103_250:
	ds_read_b64 v[84:85], v1
.LBB103_251:
	s_and_saveexec_b64 s[8:9], s[0:1]
	s_cbranch_execz .LBB103_255
; %bb.252:
	v_add_u32_e32 v86, -14, v0
	s_movk_i32 s24, 0x1b0
	s_mov_b64 s[0:1], 0
.LBB103_253:                            ; =>This Inner Loop Header: Depth=1
	scratch_load_dwordx2 v[88:89], off, s23
	v_mov_b32_e32 v87, s24
	ds_read_b64 v[90:91], v87
	v_add_u32_e32 v86, -1, v86
	s_add_i32 s24, s24, 8
	s_add_i32 s23, s23, 8
	v_cmp_eq_u32_e32 vcc, 0, v86
	s_or_b64 s[0:1], vcc, s[0:1]
	s_waitcnt vmcnt(0) lgkmcnt(0)
	v_fmac_f64_e32 v[84:85], v[88:89], v[90:91]
	s_andn2_b64 exec, exec, s[0:1]
	s_cbranch_execnz .LBB103_253
; %bb.254:
	s_or_b64 exec, exec, s[0:1]
.LBB103_255:
	s_or_b64 exec, exec, s[8:9]
	v_mov_b32_e32 v86, 0
	ds_read_b64 v[86:87], v86 offset:104
	s_waitcnt lgkmcnt(0)
	v_mul_f64 v[84:85], v[84:85], v[86:87]
	scratch_store_dwordx2 off, v[84:85], off offset:104
.LBB103_256:
	s_or_b64 exec, exec, s[4:5]
	scratch_load_dwordx2 v[84:85], off, off offset:96
	v_cmp_lt_u32_e64 s[0:1], 12, v0
	s_waitcnt vmcnt(0)
	ds_write_b64 v1, v[84:85]
	s_waitcnt lgkmcnt(0)
	; wave barrier
	s_and_saveexec_b64 s[4:5], s[0:1]
	s_cbranch_execz .LBB103_266
; %bb.257:
	s_andn2_b64 vcc, exec, s[6:7]
	s_cbranch_vccnz .LBB103_259
; %bb.258:
	scratch_load_dwordx2 v[84:85], v19, off
	ds_read_b64 v[86:87], v1
	s_waitcnt vmcnt(0) lgkmcnt(0)
	v_mul_f64 v[84:85], v[84:85], v[86:87]
	s_cbranch_execz .LBB103_260
	s_branch .LBB103_261
.LBB103_259:
                                        ; implicit-def: $vgpr84_vgpr85
.LBB103_260:
	ds_read_b64 v[84:85], v1
.LBB103_261:
	s_and_saveexec_b64 s[8:9], s[2:3]
	s_cbranch_execz .LBB103_265
; %bb.262:
	v_add_u32_e32 v86, -13, v0
	s_movk_i32 s23, 0x1a8
	s_mov_b64 s[2:3], 0
.LBB103_263:                            ; =>This Inner Loop Header: Depth=1
	scratch_load_dwordx2 v[88:89], off, s22
	v_mov_b32_e32 v87, s23
	ds_read_b64 v[90:91], v87
	v_add_u32_e32 v86, -1, v86
	s_add_i32 s23, s23, 8
	s_add_i32 s22, s22, 8
	v_cmp_eq_u32_e32 vcc, 0, v86
	s_or_b64 s[2:3], vcc, s[2:3]
	s_waitcnt vmcnt(0) lgkmcnt(0)
	v_fmac_f64_e32 v[84:85], v[88:89], v[90:91]
	s_andn2_b64 exec, exec, s[2:3]
	s_cbranch_execnz .LBB103_263
; %bb.264:
	s_or_b64 exec, exec, s[2:3]
.LBB103_265:
	s_or_b64 exec, exec, s[8:9]
	v_mov_b32_e32 v86, 0
	ds_read_b64 v[86:87], v86 offset:96
	s_waitcnt lgkmcnt(0)
	v_mul_f64 v[84:85], v[84:85], v[86:87]
	scratch_store_dwordx2 off, v[84:85], off offset:96
.LBB103_266:
	s_or_b64 exec, exec, s[4:5]
	scratch_load_dwordx2 v[84:85], off, off offset:88
	v_cmp_lt_u32_e64 s[2:3], 11, v0
	s_waitcnt vmcnt(0)
	ds_write_b64 v1, v[84:85]
	s_waitcnt lgkmcnt(0)
	; wave barrier
	s_and_saveexec_b64 s[4:5], s[2:3]
	s_cbranch_execz .LBB103_276
; %bb.267:
	s_andn2_b64 vcc, exec, s[6:7]
	s_cbranch_vccnz .LBB103_269
; %bb.268:
	scratch_load_dwordx2 v[84:85], v19, off
	ds_read_b64 v[86:87], v1
	s_waitcnt vmcnt(0) lgkmcnt(0)
	v_mul_f64 v[84:85], v[84:85], v[86:87]
	s_cbranch_execz .LBB103_270
	s_branch .LBB103_271
.LBB103_269:
                                        ; implicit-def: $vgpr84_vgpr85
.LBB103_270:
	ds_read_b64 v[84:85], v1
.LBB103_271:
	s_and_saveexec_b64 s[8:9], s[0:1]
	s_cbranch_execz .LBB103_275
; %bb.272:
	v_add_u32_e32 v86, -12, v0
	s_movk_i32 s22, 0x1a0
	s_mov_b64 s[0:1], 0
.LBB103_273:                            ; =>This Inner Loop Header: Depth=1
	scratch_load_dwordx2 v[88:89], off, s21
	v_mov_b32_e32 v87, s22
	ds_read_b64 v[90:91], v87
	v_add_u32_e32 v86, -1, v86
	s_add_i32 s22, s22, 8
	s_add_i32 s21, s21, 8
	v_cmp_eq_u32_e32 vcc, 0, v86
	s_or_b64 s[0:1], vcc, s[0:1]
	s_waitcnt vmcnt(0) lgkmcnt(0)
	v_fmac_f64_e32 v[84:85], v[88:89], v[90:91]
	s_andn2_b64 exec, exec, s[0:1]
	s_cbranch_execnz .LBB103_273
; %bb.274:
	s_or_b64 exec, exec, s[0:1]
.LBB103_275:
	s_or_b64 exec, exec, s[8:9]
	v_mov_b32_e32 v86, 0
	ds_read_b64 v[86:87], v86 offset:88
	s_waitcnt lgkmcnt(0)
	v_mul_f64 v[84:85], v[84:85], v[86:87]
	scratch_store_dwordx2 off, v[84:85], off offset:88
.LBB103_276:
	s_or_b64 exec, exec, s[4:5]
	scratch_load_dwordx2 v[84:85], off, off offset:80
	v_cmp_lt_u32_e64 s[0:1], 10, v0
	s_waitcnt vmcnt(0)
	ds_write_b64 v1, v[84:85]
	s_waitcnt lgkmcnt(0)
	; wave barrier
	s_and_saveexec_b64 s[4:5], s[0:1]
	s_cbranch_execz .LBB103_286
; %bb.277:
	s_andn2_b64 vcc, exec, s[6:7]
	s_cbranch_vccnz .LBB103_279
; %bb.278:
	scratch_load_dwordx2 v[84:85], v19, off
	ds_read_b64 v[86:87], v1
	s_waitcnt vmcnt(0) lgkmcnt(0)
	v_mul_f64 v[84:85], v[84:85], v[86:87]
	s_cbranch_execz .LBB103_280
	s_branch .LBB103_281
.LBB103_279:
                                        ; implicit-def: $vgpr84_vgpr85
.LBB103_280:
	ds_read_b64 v[84:85], v1
.LBB103_281:
	s_and_saveexec_b64 s[8:9], s[2:3]
	s_cbranch_execz .LBB103_285
; %bb.282:
	v_add_u32_e32 v86, -11, v0
	s_movk_i32 s21, 0x198
	s_mov_b64 s[2:3], 0
.LBB103_283:                            ; =>This Inner Loop Header: Depth=1
	scratch_load_dwordx2 v[88:89], off, s20
	v_mov_b32_e32 v87, s21
	ds_read_b64 v[90:91], v87
	v_add_u32_e32 v86, -1, v86
	s_add_i32 s21, s21, 8
	s_add_i32 s20, s20, 8
	v_cmp_eq_u32_e32 vcc, 0, v86
	s_or_b64 s[2:3], vcc, s[2:3]
	s_waitcnt vmcnt(0) lgkmcnt(0)
	v_fmac_f64_e32 v[84:85], v[88:89], v[90:91]
	s_andn2_b64 exec, exec, s[2:3]
	s_cbranch_execnz .LBB103_283
; %bb.284:
	s_or_b64 exec, exec, s[2:3]
.LBB103_285:
	s_or_b64 exec, exec, s[8:9]
	v_mov_b32_e32 v86, 0
	ds_read_b64 v[86:87], v86 offset:80
	s_waitcnt lgkmcnt(0)
	v_mul_f64 v[84:85], v[84:85], v[86:87]
	scratch_store_dwordx2 off, v[84:85], off offset:80
.LBB103_286:
	s_or_b64 exec, exec, s[4:5]
	scratch_load_dwordx2 v[84:85], off, off offset:72
	v_cmp_lt_u32_e64 s[2:3], 9, v0
	s_waitcnt vmcnt(0)
	ds_write_b64 v1, v[84:85]
	s_waitcnt lgkmcnt(0)
	; wave barrier
	s_and_saveexec_b64 s[4:5], s[2:3]
	s_cbranch_execz .LBB103_296
; %bb.287:
	s_andn2_b64 vcc, exec, s[6:7]
	s_cbranch_vccnz .LBB103_289
; %bb.288:
	scratch_load_dwordx2 v[84:85], v19, off
	ds_read_b64 v[86:87], v1
	s_waitcnt vmcnt(0) lgkmcnt(0)
	v_mul_f64 v[84:85], v[84:85], v[86:87]
	s_cbranch_execz .LBB103_290
	s_branch .LBB103_291
.LBB103_289:
                                        ; implicit-def: $vgpr84_vgpr85
.LBB103_290:
	ds_read_b64 v[84:85], v1
.LBB103_291:
	s_and_saveexec_b64 s[8:9], s[0:1]
	s_cbranch_execz .LBB103_295
; %bb.292:
	v_add_u32_e32 v86, -10, v0
	s_movk_i32 s20, 0x190
	s_mov_b64 s[0:1], 0
.LBB103_293:                            ; =>This Inner Loop Header: Depth=1
	scratch_load_dwordx2 v[88:89], off, s19
	v_mov_b32_e32 v87, s20
	ds_read_b64 v[90:91], v87
	v_add_u32_e32 v86, -1, v86
	s_add_i32 s20, s20, 8
	s_add_i32 s19, s19, 8
	v_cmp_eq_u32_e32 vcc, 0, v86
	s_or_b64 s[0:1], vcc, s[0:1]
	s_waitcnt vmcnt(0) lgkmcnt(0)
	v_fmac_f64_e32 v[84:85], v[88:89], v[90:91]
	s_andn2_b64 exec, exec, s[0:1]
	s_cbranch_execnz .LBB103_293
; %bb.294:
	s_or_b64 exec, exec, s[0:1]
.LBB103_295:
	s_or_b64 exec, exec, s[8:9]
	v_mov_b32_e32 v86, 0
	ds_read_b64 v[86:87], v86 offset:72
	s_waitcnt lgkmcnt(0)
	v_mul_f64 v[84:85], v[84:85], v[86:87]
	scratch_store_dwordx2 off, v[84:85], off offset:72
.LBB103_296:
	s_or_b64 exec, exec, s[4:5]
	scratch_load_dwordx2 v[84:85], off, off offset:64
	v_cmp_lt_u32_e64 s[0:1], 8, v0
	s_waitcnt vmcnt(0)
	ds_write_b64 v1, v[84:85]
	s_waitcnt lgkmcnt(0)
	; wave barrier
	s_and_saveexec_b64 s[4:5], s[0:1]
	s_cbranch_execz .LBB103_306
; %bb.297:
	s_andn2_b64 vcc, exec, s[6:7]
	s_cbranch_vccnz .LBB103_299
; %bb.298:
	scratch_load_dwordx2 v[84:85], v19, off
	ds_read_b64 v[86:87], v1
	s_waitcnt vmcnt(0) lgkmcnt(0)
	v_mul_f64 v[84:85], v[84:85], v[86:87]
	s_cbranch_execz .LBB103_300
	s_branch .LBB103_301
.LBB103_299:
                                        ; implicit-def: $vgpr84_vgpr85
.LBB103_300:
	ds_read_b64 v[84:85], v1
.LBB103_301:
	s_and_saveexec_b64 s[8:9], s[2:3]
	s_cbranch_execz .LBB103_305
; %bb.302:
	v_add_u32_e32 v86, -9, v0
	s_movk_i32 s19, 0x188
	s_mov_b64 s[2:3], 0
.LBB103_303:                            ; =>This Inner Loop Header: Depth=1
	scratch_load_dwordx2 v[88:89], off, s18
	v_mov_b32_e32 v87, s19
	ds_read_b64 v[90:91], v87
	v_add_u32_e32 v86, -1, v86
	s_add_i32 s19, s19, 8
	s_add_i32 s18, s18, 8
	v_cmp_eq_u32_e32 vcc, 0, v86
	s_or_b64 s[2:3], vcc, s[2:3]
	s_waitcnt vmcnt(0) lgkmcnt(0)
	v_fmac_f64_e32 v[84:85], v[88:89], v[90:91]
	s_andn2_b64 exec, exec, s[2:3]
	s_cbranch_execnz .LBB103_303
; %bb.304:
	s_or_b64 exec, exec, s[2:3]
.LBB103_305:
	s_or_b64 exec, exec, s[8:9]
	v_mov_b32_e32 v86, 0
	ds_read_b64 v[86:87], v86 offset:64
	s_waitcnt lgkmcnt(0)
	v_mul_f64 v[84:85], v[84:85], v[86:87]
	scratch_store_dwordx2 off, v[84:85], off offset:64
.LBB103_306:
	s_or_b64 exec, exec, s[4:5]
	scratch_load_dwordx2 v[84:85], off, off offset:56
	v_cmp_lt_u32_e64 s[2:3], 7, v0
	s_waitcnt vmcnt(0)
	ds_write_b64 v1, v[84:85]
	s_waitcnt lgkmcnt(0)
	; wave barrier
	s_and_saveexec_b64 s[4:5], s[2:3]
	s_cbranch_execz .LBB103_316
; %bb.307:
	s_andn2_b64 vcc, exec, s[6:7]
	s_cbranch_vccnz .LBB103_309
; %bb.308:
	scratch_load_dwordx2 v[84:85], v19, off
	ds_read_b64 v[86:87], v1
	s_waitcnt vmcnt(0) lgkmcnt(0)
	v_mul_f64 v[84:85], v[84:85], v[86:87]
	s_cbranch_execz .LBB103_310
	s_branch .LBB103_311
.LBB103_309:
                                        ; implicit-def: $vgpr84_vgpr85
.LBB103_310:
	ds_read_b64 v[84:85], v1
.LBB103_311:
	s_and_saveexec_b64 s[8:9], s[0:1]
	s_cbranch_execz .LBB103_315
; %bb.312:
	v_add_u32_e32 v86, -8, v0
	s_movk_i32 s18, 0x180
	s_mov_b64 s[0:1], 0
.LBB103_313:                            ; =>This Inner Loop Header: Depth=1
	scratch_load_dwordx2 v[88:89], off, s17
	v_mov_b32_e32 v87, s18
	ds_read_b64 v[90:91], v87
	v_add_u32_e32 v86, -1, v86
	s_add_i32 s18, s18, 8
	s_add_i32 s17, s17, 8
	v_cmp_eq_u32_e32 vcc, 0, v86
	s_or_b64 s[0:1], vcc, s[0:1]
	s_waitcnt vmcnt(0) lgkmcnt(0)
	v_fmac_f64_e32 v[84:85], v[88:89], v[90:91]
	s_andn2_b64 exec, exec, s[0:1]
	s_cbranch_execnz .LBB103_313
; %bb.314:
	s_or_b64 exec, exec, s[0:1]
.LBB103_315:
	s_or_b64 exec, exec, s[8:9]
	v_mov_b32_e32 v86, 0
	ds_read_b64 v[86:87], v86 offset:56
	s_waitcnt lgkmcnt(0)
	v_mul_f64 v[84:85], v[84:85], v[86:87]
	scratch_store_dwordx2 off, v[84:85], off offset:56
.LBB103_316:
	s_or_b64 exec, exec, s[4:5]
	scratch_load_dwordx2 v[84:85], off, off offset:48
	v_cmp_lt_u32_e64 s[0:1], 6, v0
	s_waitcnt vmcnt(0)
	ds_write_b64 v1, v[84:85]
	s_waitcnt lgkmcnt(0)
	; wave barrier
	s_and_saveexec_b64 s[4:5], s[0:1]
	s_cbranch_execz .LBB103_326
; %bb.317:
	s_andn2_b64 vcc, exec, s[6:7]
	s_cbranch_vccnz .LBB103_319
; %bb.318:
	scratch_load_dwordx2 v[84:85], v19, off
	ds_read_b64 v[86:87], v1
	s_waitcnt vmcnt(0) lgkmcnt(0)
	v_mul_f64 v[84:85], v[84:85], v[86:87]
	s_cbranch_execz .LBB103_320
	s_branch .LBB103_321
.LBB103_319:
                                        ; implicit-def: $vgpr84_vgpr85
.LBB103_320:
	ds_read_b64 v[84:85], v1
.LBB103_321:
	s_and_saveexec_b64 s[8:9], s[2:3]
	s_cbranch_execz .LBB103_325
; %bb.322:
	v_add_u32_e32 v86, -7, v0
	s_movk_i32 s17, 0x178
	s_mov_b64 s[2:3], 0
.LBB103_323:                            ; =>This Inner Loop Header: Depth=1
	scratch_load_dwordx2 v[88:89], off, s16
	v_mov_b32_e32 v87, s17
	ds_read_b64 v[90:91], v87
	v_add_u32_e32 v86, -1, v86
	s_add_i32 s17, s17, 8
	s_add_i32 s16, s16, 8
	v_cmp_eq_u32_e32 vcc, 0, v86
	s_or_b64 s[2:3], vcc, s[2:3]
	s_waitcnt vmcnt(0) lgkmcnt(0)
	v_fmac_f64_e32 v[84:85], v[88:89], v[90:91]
	s_andn2_b64 exec, exec, s[2:3]
	s_cbranch_execnz .LBB103_323
; %bb.324:
	s_or_b64 exec, exec, s[2:3]
.LBB103_325:
	s_or_b64 exec, exec, s[8:9]
	v_mov_b32_e32 v86, 0
	ds_read_b64 v[86:87], v86 offset:48
	s_waitcnt lgkmcnt(0)
	v_mul_f64 v[84:85], v[84:85], v[86:87]
	scratch_store_dwordx2 off, v[84:85], off offset:48
.LBB103_326:
	s_or_b64 exec, exec, s[4:5]
	scratch_load_dwordx2 v[84:85], off, off offset:40
	v_cmp_lt_u32_e64 s[2:3], 5, v0
	s_waitcnt vmcnt(0)
	ds_write_b64 v1, v[84:85]
	s_waitcnt lgkmcnt(0)
	; wave barrier
	s_and_saveexec_b64 s[4:5], s[2:3]
	s_cbranch_execz .LBB103_336
; %bb.327:
	s_andn2_b64 vcc, exec, s[6:7]
	s_cbranch_vccnz .LBB103_329
; %bb.328:
	scratch_load_dwordx2 v[84:85], v19, off
	ds_read_b64 v[86:87], v1
	s_waitcnt vmcnt(0) lgkmcnt(0)
	v_mul_f64 v[84:85], v[84:85], v[86:87]
	s_cbranch_execz .LBB103_330
	s_branch .LBB103_331
.LBB103_329:
                                        ; implicit-def: $vgpr84_vgpr85
.LBB103_330:
	ds_read_b64 v[84:85], v1
.LBB103_331:
	s_and_saveexec_b64 s[8:9], s[0:1]
	s_cbranch_execz .LBB103_335
; %bb.332:
	v_add_u32_e32 v86, -6, v0
	s_movk_i32 s16, 0x170
	s_mov_b64 s[0:1], 0
.LBB103_333:                            ; =>This Inner Loop Header: Depth=1
	scratch_load_dwordx2 v[88:89], off, s15
	v_mov_b32_e32 v87, s16
	ds_read_b64 v[90:91], v87
	v_add_u32_e32 v86, -1, v86
	s_add_i32 s16, s16, 8
	s_add_i32 s15, s15, 8
	v_cmp_eq_u32_e32 vcc, 0, v86
	s_or_b64 s[0:1], vcc, s[0:1]
	s_waitcnt vmcnt(0) lgkmcnt(0)
	v_fmac_f64_e32 v[84:85], v[88:89], v[90:91]
	s_andn2_b64 exec, exec, s[0:1]
	s_cbranch_execnz .LBB103_333
; %bb.334:
	s_or_b64 exec, exec, s[0:1]
.LBB103_335:
	s_or_b64 exec, exec, s[8:9]
	v_mov_b32_e32 v86, 0
	ds_read_b64 v[86:87], v86 offset:40
	s_waitcnt lgkmcnt(0)
	v_mul_f64 v[84:85], v[84:85], v[86:87]
	scratch_store_dwordx2 off, v[84:85], off offset:40
.LBB103_336:
	s_or_b64 exec, exec, s[4:5]
	scratch_load_dwordx2 v[84:85], off, off offset:32
	v_cmp_lt_u32_e64 s[0:1], 4, v0
	s_waitcnt vmcnt(0)
	ds_write_b64 v1, v[84:85]
	s_waitcnt lgkmcnt(0)
	; wave barrier
	s_and_saveexec_b64 s[4:5], s[0:1]
	s_cbranch_execz .LBB103_346
; %bb.337:
	s_andn2_b64 vcc, exec, s[6:7]
	s_cbranch_vccnz .LBB103_339
; %bb.338:
	scratch_load_dwordx2 v[84:85], v19, off
	ds_read_b64 v[86:87], v1
	s_waitcnt vmcnt(0) lgkmcnt(0)
	v_mul_f64 v[84:85], v[84:85], v[86:87]
	s_cbranch_execz .LBB103_340
	s_branch .LBB103_341
.LBB103_339:
                                        ; implicit-def: $vgpr84_vgpr85
.LBB103_340:
	ds_read_b64 v[84:85], v1
.LBB103_341:
	s_and_saveexec_b64 s[8:9], s[2:3]
	s_cbranch_execz .LBB103_345
; %bb.342:
	v_add_u32_e32 v86, -5, v0
	s_movk_i32 s15, 0x168
	s_mov_b64 s[2:3], 0
.LBB103_343:                            ; =>This Inner Loop Header: Depth=1
	scratch_load_dwordx2 v[88:89], off, s14
	v_mov_b32_e32 v87, s15
	ds_read_b64 v[90:91], v87
	v_add_u32_e32 v86, -1, v86
	s_add_i32 s15, s15, 8
	s_add_i32 s14, s14, 8
	v_cmp_eq_u32_e32 vcc, 0, v86
	s_or_b64 s[2:3], vcc, s[2:3]
	s_waitcnt vmcnt(0) lgkmcnt(0)
	v_fmac_f64_e32 v[84:85], v[88:89], v[90:91]
	s_andn2_b64 exec, exec, s[2:3]
	s_cbranch_execnz .LBB103_343
; %bb.344:
	s_or_b64 exec, exec, s[2:3]
.LBB103_345:
	s_or_b64 exec, exec, s[8:9]
	v_mov_b32_e32 v86, 0
	ds_read_b64 v[86:87], v86 offset:32
	s_waitcnt lgkmcnt(0)
	v_mul_f64 v[84:85], v[84:85], v[86:87]
	scratch_store_dwordx2 off, v[84:85], off offset:32
.LBB103_346:
	s_or_b64 exec, exec, s[4:5]
	scratch_load_dwordx2 v[84:85], off, off offset:24
	v_cmp_lt_u32_e64 s[2:3], 3, v0
	s_waitcnt vmcnt(0)
	ds_write_b64 v1, v[84:85]
	s_waitcnt lgkmcnt(0)
	; wave barrier
	s_and_saveexec_b64 s[4:5], s[2:3]
	s_cbranch_execz .LBB103_356
; %bb.347:
	s_andn2_b64 vcc, exec, s[6:7]
	s_cbranch_vccnz .LBB103_349
; %bb.348:
	scratch_load_dwordx2 v[84:85], v19, off
	ds_read_b64 v[86:87], v1
	s_waitcnt vmcnt(0) lgkmcnt(0)
	v_mul_f64 v[84:85], v[84:85], v[86:87]
	s_cbranch_execz .LBB103_350
	s_branch .LBB103_351
.LBB103_349:
                                        ; implicit-def: $vgpr84_vgpr85
.LBB103_350:
	ds_read_b64 v[84:85], v1
.LBB103_351:
	s_and_saveexec_b64 s[8:9], s[0:1]
	s_cbranch_execz .LBB103_355
; %bb.352:
	v_add_u32_e32 v86, -4, v0
	s_movk_i32 s14, 0x160
	s_mov_b64 s[0:1], 0
.LBB103_353:                            ; =>This Inner Loop Header: Depth=1
	scratch_load_dwordx2 v[88:89], off, s13
	v_mov_b32_e32 v87, s14
	ds_read_b64 v[90:91], v87
	v_add_u32_e32 v86, -1, v86
	s_add_i32 s14, s14, 8
	s_add_i32 s13, s13, 8
	v_cmp_eq_u32_e32 vcc, 0, v86
	s_or_b64 s[0:1], vcc, s[0:1]
	s_waitcnt vmcnt(0) lgkmcnt(0)
	v_fmac_f64_e32 v[84:85], v[88:89], v[90:91]
	s_andn2_b64 exec, exec, s[0:1]
	s_cbranch_execnz .LBB103_353
; %bb.354:
	s_or_b64 exec, exec, s[0:1]
.LBB103_355:
	s_or_b64 exec, exec, s[8:9]
	v_mov_b32_e32 v86, 0
	ds_read_b64 v[86:87], v86 offset:24
	s_waitcnt lgkmcnt(0)
	v_mul_f64 v[84:85], v[84:85], v[86:87]
	scratch_store_dwordx2 off, v[84:85], off offset:24
.LBB103_356:
	s_or_b64 exec, exec, s[4:5]
	scratch_load_dwordx2 v[84:85], off, off offset:16
	v_cmp_lt_u32_e64 s[0:1], 2, v0
	s_waitcnt vmcnt(0)
	ds_write_b64 v1, v[84:85]
	s_waitcnt lgkmcnt(0)
	; wave barrier
	s_and_saveexec_b64 s[4:5], s[0:1]
	s_cbranch_execz .LBB103_366
; %bb.357:
	s_andn2_b64 vcc, exec, s[6:7]
	s_cbranch_vccnz .LBB103_359
; %bb.358:
	scratch_load_dwordx2 v[84:85], v19, off
	ds_read_b64 v[86:87], v1
	s_waitcnt vmcnt(0) lgkmcnt(0)
	v_mul_f64 v[84:85], v[84:85], v[86:87]
	s_cbranch_execz .LBB103_360
	s_branch .LBB103_361
.LBB103_359:
                                        ; implicit-def: $vgpr84_vgpr85
.LBB103_360:
	ds_read_b64 v[84:85], v1
.LBB103_361:
	s_and_saveexec_b64 s[8:9], s[2:3]
	s_cbranch_execz .LBB103_365
; %bb.362:
	v_add_u32_e32 v86, -3, v0
	s_movk_i32 s13, 0x158
	s_mov_b64 s[2:3], 0
.LBB103_363:                            ; =>This Inner Loop Header: Depth=1
	scratch_load_dwordx2 v[88:89], off, s12
	v_mov_b32_e32 v87, s13
	ds_read_b64 v[90:91], v87
	v_add_u32_e32 v86, -1, v86
	s_add_i32 s13, s13, 8
	s_add_i32 s12, s12, 8
	v_cmp_eq_u32_e32 vcc, 0, v86
	s_or_b64 s[2:3], vcc, s[2:3]
	s_waitcnt vmcnt(0) lgkmcnt(0)
	v_fmac_f64_e32 v[84:85], v[88:89], v[90:91]
	s_andn2_b64 exec, exec, s[2:3]
	s_cbranch_execnz .LBB103_363
; %bb.364:
	s_or_b64 exec, exec, s[2:3]
.LBB103_365:
	s_or_b64 exec, exec, s[8:9]
	v_mov_b32_e32 v86, 0
	ds_read_b64 v[86:87], v86 offset:16
	s_waitcnt lgkmcnt(0)
	v_mul_f64 v[84:85], v[84:85], v[86:87]
	scratch_store_dwordx2 off, v[84:85], off offset:16
.LBB103_366:
	s_or_b64 exec, exec, s[4:5]
	scratch_load_dwordx2 v[84:85], off, off offset:8
	v_cmp_lt_u32_e64 s[2:3], 1, v0
	s_waitcnt vmcnt(0)
	ds_write_b64 v1, v[84:85]
	s_waitcnt lgkmcnt(0)
	; wave barrier
	s_and_saveexec_b64 s[4:5], s[2:3]
	s_cbranch_execz .LBB103_376
; %bb.367:
	s_andn2_b64 vcc, exec, s[6:7]
	s_cbranch_vccnz .LBB103_369
; %bb.368:
	scratch_load_dwordx2 v[84:85], v19, off
	ds_read_b64 v[86:87], v1
	s_waitcnt vmcnt(0) lgkmcnt(0)
	v_mul_f64 v[84:85], v[84:85], v[86:87]
	s_cbranch_execz .LBB103_370
	s_branch .LBB103_371
.LBB103_369:
                                        ; implicit-def: $vgpr84_vgpr85
.LBB103_370:
	ds_read_b64 v[84:85], v1
.LBB103_371:
	s_and_saveexec_b64 s[8:9], s[0:1]
	s_cbranch_execz .LBB103_375
; %bb.372:
	v_add_u32_e32 v86, -2, v0
	s_movk_i32 s12, 0x150
	s_mov_b64 s[0:1], 0
.LBB103_373:                            ; =>This Inner Loop Header: Depth=1
	scratch_load_dwordx2 v[88:89], off, s11
	v_mov_b32_e32 v87, s12
	ds_read_b64 v[90:91], v87
	v_add_u32_e32 v86, -1, v86
	s_add_i32 s12, s12, 8
	s_add_i32 s11, s11, 8
	v_cmp_eq_u32_e32 vcc, 0, v86
	s_or_b64 s[0:1], vcc, s[0:1]
	s_waitcnt vmcnt(0) lgkmcnt(0)
	v_fmac_f64_e32 v[84:85], v[88:89], v[90:91]
	s_andn2_b64 exec, exec, s[0:1]
	s_cbranch_execnz .LBB103_373
; %bb.374:
	s_or_b64 exec, exec, s[0:1]
.LBB103_375:
	s_or_b64 exec, exec, s[8:9]
	v_mov_b32_e32 v86, 0
	ds_read_b64 v[86:87], v86 offset:8
	s_waitcnt lgkmcnt(0)
	v_mul_f64 v[84:85], v[84:85], v[86:87]
	scratch_store_dwordx2 off, v[84:85], off offset:8
.LBB103_376:
	s_or_b64 exec, exec, s[4:5]
	scratch_load_dwordx2 v[84:85], off, off
	v_cmp_ne_u32_e32 vcc, 0, v0
	s_waitcnt vmcnt(0)
	ds_write_b64 v1, v[84:85]
	s_waitcnt lgkmcnt(0)
	; wave barrier
	s_and_saveexec_b64 s[0:1], vcc
	s_cbranch_execz .LBB103_386
; %bb.377:
	s_andn2_b64 vcc, exec, s[6:7]
	s_cbranch_vccnz .LBB103_379
; %bb.378:
	scratch_load_dwordx2 v[84:85], v19, off
	ds_read_b64 v[86:87], v1
	s_waitcnt vmcnt(0) lgkmcnt(0)
	v_mul_f64 v[84:85], v[84:85], v[86:87]
	s_cbranch_execz .LBB103_380
	s_branch .LBB103_381
.LBB103_379:
                                        ; implicit-def: $vgpr84_vgpr85
.LBB103_380:
	ds_read_b64 v[84:85], v1
.LBB103_381:
	s_and_saveexec_b64 s[4:5], s[2:3]
	s_cbranch_execz .LBB103_385
; %bb.382:
	v_add_u32_e32 v86, -1, v0
	s_movk_i32 s8, 0x148
	s_mov_b64 s[2:3], 0
.LBB103_383:                            ; =>This Inner Loop Header: Depth=1
	scratch_load_dwordx2 v[88:89], off, s10
	v_mov_b32_e32 v87, s8
	ds_read_b64 v[90:91], v87
	v_add_u32_e32 v86, -1, v86
	s_add_i32 s8, s8, 8
	s_add_i32 s10, s10, 8
	v_cmp_eq_u32_e32 vcc, 0, v86
	s_or_b64 s[2:3], vcc, s[2:3]
	s_waitcnt vmcnt(0) lgkmcnt(0)
	v_fmac_f64_e32 v[84:85], v[88:89], v[90:91]
	s_andn2_b64 exec, exec, s[2:3]
	s_cbranch_execnz .LBB103_383
; %bb.384:
	s_or_b64 exec, exec, s[2:3]
.LBB103_385:
	s_or_b64 exec, exec, s[4:5]
	v_mov_b32_e32 v86, 0
	ds_read_b64 v[86:87], v86
	s_waitcnt lgkmcnt(0)
	v_mul_f64 v[84:85], v[84:85], v[86:87]
	scratch_store_dwordx2 off, v[84:85], off
.LBB103_386:
	s_or_b64 exec, exec, s[0:1]
	s_mov_b64 s[0:1], 0
.LBB103_387:
	s_and_b64 vcc, exec, s[0:1]
	s_cbranch_vccz .LBB103_769
; %bb.388:
	scratch_load_dwordx2 v[84:85], off, off offset:8
	v_cmp_eq_u32_e64 s[2:3], 0, v0
	s_waitcnt vmcnt(0)
	ds_write_b64 v1, v[84:85]
	s_waitcnt lgkmcnt(0)
	; wave barrier
	s_and_saveexec_b64 s[0:1], s[2:3]
	s_cbranch_execz .LBB103_394
; %bb.389:
	s_and_b64 vcc, exec, s[6:7]
	s_cbranch_vccz .LBB103_391
; %bb.390:
	scratch_load_dwordx2 v[84:85], v19, off
	ds_read_b64 v[86:87], v1
	s_waitcnt vmcnt(0) lgkmcnt(0)
	v_mul_f64 v[84:85], v[84:85], v[86:87]
	s_cbranch_execz .LBB103_392
	s_branch .LBB103_393
.LBB103_391:
                                        ; implicit-def: $vgpr84_vgpr85
.LBB103_392:
	ds_read_b64 v[84:85], v1
.LBB103_393:
	v_mov_b32_e32 v86, 0
	ds_read_b64 v[86:87], v86 offset:8
	s_waitcnt lgkmcnt(0)
	v_mul_f64 v[84:85], v[84:85], v[86:87]
	scratch_store_dwordx2 off, v[84:85], off offset:8
.LBB103_394:
	s_or_b64 exec, exec, s[0:1]
	scratch_load_dwordx2 v[84:85], off, off offset:16
	v_cndmask_b32_e64 v86, 0, 1, s[6:7]
	v_cmp_gt_u32_e32 vcc, 2, v0
	v_cmp_ne_u32_e64 s[0:1], 1, v86
	s_waitcnt vmcnt(0)
	ds_write_b64 v1, v[84:85]
	s_waitcnt lgkmcnt(0)
	; wave barrier
	s_and_saveexec_b64 s[4:5], vcc
	s_cbranch_execz .LBB103_400
; %bb.395:
	s_and_b64 vcc, exec, s[0:1]
	s_cbranch_vccnz .LBB103_397
; %bb.396:
	scratch_load_dwordx2 v[84:85], v19, off
	ds_read_b64 v[86:87], v1
	s_waitcnt vmcnt(0) lgkmcnt(0)
	v_mul_f64 v[84:85], v[84:85], v[86:87]
	s_cbranch_execz .LBB103_398
	s_branch .LBB103_399
.LBB103_397:
                                        ; implicit-def: $vgpr84_vgpr85
.LBB103_398:
	ds_read_b64 v[84:85], v1
.LBB103_399:
	scratch_load_dwordx2 v[90:91], off, off offset:8
	v_mov_b32_e32 v86, 0
	ds_read2_b64 v[86:89], v86 offset0:2 offset1:41
	s_waitcnt vmcnt(0) lgkmcnt(0)
	v_fma_f64 v[88:89], v[90:91], v[88:89], v[84:85]
	v_cndmask_b32_e64 v85, v85, v89, s[2:3]
	v_cndmask_b32_e64 v84, v84, v88, s[2:3]
	v_mul_f64 v[84:85], v[84:85], v[86:87]
	scratch_store_dwordx2 off, v[84:85], off offset:16
.LBB103_400:
	s_or_b64 exec, exec, s[4:5]
	scratch_load_dwordx2 v[84:85], off, off offset:24
	v_cmp_gt_u32_e32 vcc, 3, v0
	s_waitcnt vmcnt(0)
	ds_write_b64 v1, v[84:85]
	s_waitcnt lgkmcnt(0)
	; wave barrier
	s_and_saveexec_b64 s[4:5], vcc
	s_cbranch_execz .LBB103_408
; %bb.401:
	s_and_b64 vcc, exec, s[0:1]
	s_cbranch_vccnz .LBB103_403
; %bb.402:
	scratch_load_dwordx2 v[84:85], v19, off
	ds_read_b64 v[86:87], v1
	s_waitcnt vmcnt(0) lgkmcnt(0)
	v_mul_f64 v[84:85], v[84:85], v[86:87]
	s_cbranch_execz .LBB103_404
	s_branch .LBB103_405
.LBB103_403:
                                        ; implicit-def: $vgpr84_vgpr85
.LBB103_404:
	ds_read_b64 v[84:85], v1
.LBB103_405:
	v_cmp_ne_u32_e32 vcc, 2, v0
	s_and_saveexec_b64 s[6:7], vcc
	s_cbranch_execz .LBB103_407
; %bb.406:
	scratch_load_dwordx2 v[86:87], v19, off offset:8
	scratch_load_dwordx2 v[88:89], off, off offset:16
	ds_read_b64 v[90:91], v1 offset:8
	v_mov_b32_e32 v92, 0
	ds_read_b64 v[92:93], v92 offset:336
	s_waitcnt vmcnt(1) lgkmcnt(1)
	v_fmac_f64_e32 v[84:85], v[86:87], v[90:91]
	s_waitcnt vmcnt(0) lgkmcnt(0)
	v_fma_f64 v[86:87], v[88:89], v[92:93], v[84:85]
	v_cndmask_b32_e64 v85, v85, v87, s[2:3]
	v_cndmask_b32_e64 v84, v84, v86, s[2:3]
.LBB103_407:
	s_or_b64 exec, exec, s[6:7]
	v_mov_b32_e32 v86, 0
	ds_read_b64 v[86:87], v86 offset:24
	s_waitcnt lgkmcnt(0)
	v_mul_f64 v[84:85], v[84:85], v[86:87]
	scratch_store_dwordx2 off, v[84:85], off offset:24
.LBB103_408:
	s_or_b64 exec, exec, s[4:5]
	scratch_load_dwordx2 v[84:85], off, off offset:32
	v_cmp_gt_u32_e32 vcc, 4, v0
	s_waitcnt vmcnt(0)
	ds_write_b64 v1, v[84:85]
	s_waitcnt lgkmcnt(0)
	; wave barrier
	s_and_saveexec_b64 s[2:3], vcc
	s_cbranch_execz .LBB103_418
; %bb.409:
	s_and_b64 vcc, exec, s[0:1]
	s_cbranch_vccnz .LBB103_411
; %bb.410:
	scratch_load_dwordx2 v[84:85], v19, off
	ds_read_b64 v[86:87], v1
	s_waitcnt vmcnt(0) lgkmcnt(0)
	v_mul_f64 v[84:85], v[84:85], v[86:87]
	s_cbranch_execz .LBB103_412
	s_branch .LBB103_413
.LBB103_411:
                                        ; implicit-def: $vgpr84_vgpr85
.LBB103_412:
	ds_read_b64 v[84:85], v1
.LBB103_413:
	v_cmp_ne_u32_e32 vcc, 3, v0
	s_and_saveexec_b64 s[4:5], vcc
	s_cbranch_execz .LBB103_417
; %bb.414:
	s_mov_b32 s6, 0
	v_add_u32_e32 v86, 0x148, v18
	v_add3_u32 v87, v18, s6, 8
	s_mov_b64 s[6:7], 0
	v_mov_b32_e32 v88, v0
.LBB103_415:                            ; =>This Inner Loop Header: Depth=1
	scratch_load_dwordx2 v[90:91], v87, off
	ds_read_b64 v[92:93], v86
	v_add_u32_e32 v88, 1, v88
	v_cmp_lt_u32_e32 vcc, 2, v88
	v_add_u32_e32 v86, 8, v86
	v_add_u32_e32 v87, 8, v87
	s_or_b64 s[6:7], vcc, s[6:7]
	s_waitcnt vmcnt(0) lgkmcnt(0)
	v_fmac_f64_e32 v[84:85], v[90:91], v[92:93]
	s_andn2_b64 exec, exec, s[6:7]
	s_cbranch_execnz .LBB103_415
; %bb.416:
	s_or_b64 exec, exec, s[6:7]
.LBB103_417:
	s_or_b64 exec, exec, s[4:5]
	v_mov_b32_e32 v86, 0
	ds_read_b64 v[86:87], v86 offset:32
	s_waitcnt lgkmcnt(0)
	v_mul_f64 v[84:85], v[84:85], v[86:87]
	scratch_store_dwordx2 off, v[84:85], off offset:32
.LBB103_418:
	s_or_b64 exec, exec, s[2:3]
	scratch_load_dwordx2 v[84:85], off, off offset:40
	v_cmp_gt_u32_e32 vcc, 5, v0
	s_waitcnt vmcnt(0)
	ds_write_b64 v1, v[84:85]
	s_waitcnt lgkmcnt(0)
	; wave barrier
	s_and_saveexec_b64 s[2:3], vcc
	s_cbranch_execz .LBB103_428
; %bb.419:
	s_and_b64 vcc, exec, s[0:1]
	s_cbranch_vccnz .LBB103_421
; %bb.420:
	scratch_load_dwordx2 v[84:85], v19, off
	ds_read_b64 v[86:87], v1
	s_waitcnt vmcnt(0) lgkmcnt(0)
	v_mul_f64 v[84:85], v[84:85], v[86:87]
	s_cbranch_execz .LBB103_422
	s_branch .LBB103_423
.LBB103_421:
                                        ; implicit-def: $vgpr84_vgpr85
.LBB103_422:
	ds_read_b64 v[84:85], v1
.LBB103_423:
	v_cmp_ne_u32_e32 vcc, 4, v0
	s_and_saveexec_b64 s[4:5], vcc
	s_cbranch_execz .LBB103_427
; %bb.424:
	s_mov_b32 s6, 0
	v_add_u32_e32 v86, 0x148, v18
	v_add3_u32 v87, v18, s6, 8
	s_mov_b64 s[6:7], 0
	v_mov_b32_e32 v88, v0
.LBB103_425:                            ; =>This Inner Loop Header: Depth=1
	scratch_load_dwordx2 v[90:91], v87, off
	ds_read_b64 v[92:93], v86
	v_add_u32_e32 v88, 1, v88
	v_cmp_lt_u32_e32 vcc, 3, v88
	v_add_u32_e32 v86, 8, v86
	v_add_u32_e32 v87, 8, v87
	s_or_b64 s[6:7], vcc, s[6:7]
	s_waitcnt vmcnt(0) lgkmcnt(0)
	v_fmac_f64_e32 v[84:85], v[90:91], v[92:93]
	s_andn2_b64 exec, exec, s[6:7]
	s_cbranch_execnz .LBB103_425
; %bb.426:
	s_or_b64 exec, exec, s[6:7]
.LBB103_427:
	s_or_b64 exec, exec, s[4:5]
	v_mov_b32_e32 v86, 0
	ds_read_b64 v[86:87], v86 offset:40
	s_waitcnt lgkmcnt(0)
	v_mul_f64 v[84:85], v[84:85], v[86:87]
	scratch_store_dwordx2 off, v[84:85], off offset:40
.LBB103_428:
	;; [unrolled: 55-line block ×34, first 2 shown]
	s_or_b64 exec, exec, s[2:3]
	scratch_load_dwordx2 v[84:85], off, off offset:304
	v_cmp_gt_u32_e64 s[2:3], 38, v0
	s_waitcnt vmcnt(0)
	ds_write_b64 v1, v[84:85]
	s_waitcnt lgkmcnt(0)
	; wave barrier
	s_and_saveexec_b64 s[4:5], s[2:3]
	s_cbranch_execz .LBB103_758
; %bb.749:
	s_and_b64 vcc, exec, s[0:1]
	s_cbranch_vccnz .LBB103_751
; %bb.750:
	scratch_load_dwordx2 v[84:85], v19, off
	ds_read_b64 v[86:87], v1
	s_waitcnt vmcnt(0) lgkmcnt(0)
	v_mul_f64 v[84:85], v[84:85], v[86:87]
	s_cbranch_execz .LBB103_752
	s_branch .LBB103_753
.LBB103_751:
                                        ; implicit-def: $vgpr84_vgpr85
.LBB103_752:
	ds_read_b64 v[84:85], v1
.LBB103_753:
	v_cmp_ne_u32_e32 vcc, 37, v0
	s_and_saveexec_b64 s[6:7], vcc
	s_cbranch_execz .LBB103_757
; %bb.754:
	s_mov_b32 s8, 0
	v_add_u32_e32 v86, 0x148, v18
	v_add3_u32 v87, v18, s8, 8
	s_mov_b64 s[8:9], 0
	v_mov_b32_e32 v88, v0
.LBB103_755:                            ; =>This Inner Loop Header: Depth=1
	scratch_load_dwordx2 v[90:91], v87, off
	ds_read_b64 v[92:93], v86
	v_add_u32_e32 v88, 1, v88
	v_cmp_lt_u32_e32 vcc, 36, v88
	v_add_u32_e32 v86, 8, v86
	v_add_u32_e32 v87, 8, v87
	s_or_b64 s[8:9], vcc, s[8:9]
	s_waitcnt vmcnt(0) lgkmcnt(0)
	v_fmac_f64_e32 v[84:85], v[90:91], v[92:93]
	s_andn2_b64 exec, exec, s[8:9]
	s_cbranch_execnz .LBB103_755
; %bb.756:
	s_or_b64 exec, exec, s[8:9]
.LBB103_757:
	s_or_b64 exec, exec, s[6:7]
	v_mov_b32_e32 v86, 0
	ds_read_b64 v[86:87], v86 offset:304
	s_waitcnt lgkmcnt(0)
	v_mul_f64 v[84:85], v[84:85], v[86:87]
	scratch_store_dwordx2 off, v[84:85], off offset:304
.LBB103_758:
	s_or_b64 exec, exec, s[4:5]
	scratch_load_dwordx2 v[84:85], off, off offset:312
	v_cmp_ne_u32_e32 vcc, 39, v0
	s_waitcnt vmcnt(0)
	ds_write_b64 v1, v[84:85]
	s_waitcnt lgkmcnt(0)
	; wave barrier
	s_and_saveexec_b64 s[4:5], vcc
	s_cbranch_execz .LBB103_768
; %bb.759:
	s_and_b64 vcc, exec, s[0:1]
	s_cbranch_vccnz .LBB103_761
; %bb.760:
	scratch_load_dwordx2 v[84:85], v19, off
	ds_read_b64 v[86:87], v1
	s_waitcnt vmcnt(0) lgkmcnt(0)
	v_mul_f64 v[84:85], v[84:85], v[86:87]
	s_cbranch_execz .LBB103_762
	s_branch .LBB103_763
.LBB103_761:
                                        ; implicit-def: $vgpr84_vgpr85
.LBB103_762:
	ds_read_b64 v[84:85], v1
.LBB103_763:
	s_and_saveexec_b64 s[0:1], s[2:3]
	s_cbranch_execz .LBB103_767
; %bb.764:
	s_mov_b32 s2, 0
	v_add_u32_e32 v1, 0x148, v18
	v_add3_u32 v18, v18, s2, 8
	s_mov_b64 s[2:3], 0
.LBB103_765:                            ; =>This Inner Loop Header: Depth=1
	scratch_load_dwordx2 v[86:87], v18, off
	ds_read_b64 v[88:89], v1
	v_add_u32_e32 v0, 1, v0
	v_cmp_lt_u32_e32 vcc, 37, v0
	v_add_u32_e32 v1, 8, v1
	v_add_u32_e32 v18, 8, v18
	s_or_b64 s[2:3], vcc, s[2:3]
	s_waitcnt vmcnt(0) lgkmcnt(0)
	v_fmac_f64_e32 v[84:85], v[86:87], v[88:89]
	s_andn2_b64 exec, exec, s[2:3]
	s_cbranch_execnz .LBB103_765
; %bb.766:
	s_or_b64 exec, exec, s[2:3]
.LBB103_767:
	s_or_b64 exec, exec, s[0:1]
	v_mov_b32_e32 v0, 0
	ds_read_b64 v[0:1], v0 offset:312
	s_waitcnt lgkmcnt(0)
	v_mul_f64 v[0:1], v[84:85], v[0:1]
	scratch_store_dwordx2 off, v[0:1], off offset:312
.LBB103_768:
	s_or_b64 exec, exec, s[4:5]
.LBB103_769:
	scratch_load_dwordx2 v[0:1], off, off
	s_waitcnt vmcnt(0)
	flat_store_dwordx2 v[2:3], v[0:1]
	scratch_load_dwordx2 v[0:1], off, off offset:8
	s_waitcnt vmcnt(0)
	flat_store_dwordx2 v[4:5], v[0:1]
	scratch_load_dwordx2 v[0:1], off, off offset:16
	s_waitcnt vmcnt(0)
	flat_store_dwordx2 v[6:7], v[0:1]
	scratch_load_dwordx2 v[0:1], off, off offset:24
	s_waitcnt vmcnt(0)
	flat_store_dwordx2 v[8:9], v[0:1]
	scratch_load_dwordx2 v[0:1], off, off offset:32
	s_waitcnt vmcnt(0)
	flat_store_dwordx2 v[10:11], v[0:1]
	scratch_load_dwordx2 v[0:1], off, off offset:40
	s_waitcnt vmcnt(0)
	flat_store_dwordx2 v[12:13], v[0:1]
	scratch_load_dwordx2 v[0:1], off, off offset:48
	s_waitcnt vmcnt(0)
	flat_store_dwordx2 v[14:15], v[0:1]
	scratch_load_dwordx2 v[0:1], off, off offset:56
	s_waitcnt vmcnt(0)
	flat_store_dwordx2 v[16:17], v[0:1]
	scratch_load_dwordx2 v[0:1], off, off offset:64
	s_waitcnt vmcnt(0)
	flat_store_dwordx2 v[20:21], v[0:1]
	scratch_load_dwordx2 v[0:1], off, off offset:72
	s_waitcnt vmcnt(0)
	flat_store_dwordx2 v[22:23], v[0:1]
	scratch_load_dwordx2 v[0:1], off, off offset:80
	s_waitcnt vmcnt(0)
	flat_store_dwordx2 v[24:25], v[0:1]
	scratch_load_dwordx2 v[0:1], off, off offset:88
	s_waitcnt vmcnt(0)
	flat_store_dwordx2 v[26:27], v[0:1]
	scratch_load_dwordx2 v[0:1], off, off offset:96
	s_waitcnt vmcnt(0)
	flat_store_dwordx2 v[28:29], v[0:1]
	scratch_load_dwordx2 v[0:1], off, off offset:104
	s_waitcnt vmcnt(0)
	flat_store_dwordx2 v[30:31], v[0:1]
	scratch_load_dwordx2 v[0:1], off, off offset:112
	s_waitcnt vmcnt(0)
	flat_store_dwordx2 v[32:33], v[0:1]
	scratch_load_dwordx2 v[0:1], off, off offset:120
	s_waitcnt vmcnt(0)
	flat_store_dwordx2 v[34:35], v[0:1]
	scratch_load_dwordx2 v[0:1], off, off offset:128
	s_waitcnt vmcnt(0)
	flat_store_dwordx2 v[36:37], v[0:1]
	scratch_load_dwordx2 v[0:1], off, off offset:136
	s_waitcnt vmcnt(0)
	flat_store_dwordx2 v[38:39], v[0:1]
	scratch_load_dwordx2 v[0:1], off, off offset:144
	s_waitcnt vmcnt(0)
	flat_store_dwordx2 v[40:41], v[0:1]
	scratch_load_dwordx2 v[0:1], off, off offset:152
	s_waitcnt vmcnt(0)
	flat_store_dwordx2 v[42:43], v[0:1]
	scratch_load_dwordx2 v[0:1], off, off offset:160
	s_waitcnt vmcnt(0)
	flat_store_dwordx2 v[44:45], v[0:1]
	scratch_load_dwordx2 v[0:1], off, off offset:168
	s_waitcnt vmcnt(0)
	flat_store_dwordx2 v[46:47], v[0:1]
	scratch_load_dwordx2 v[0:1], off, off offset:176
	s_waitcnt vmcnt(0)
	flat_store_dwordx2 v[48:49], v[0:1]
	scratch_load_dwordx2 v[0:1], off, off offset:184
	s_waitcnt vmcnt(0)
	flat_store_dwordx2 v[50:51], v[0:1]
	scratch_load_dwordx2 v[0:1], off, off offset:192
	s_waitcnt vmcnt(0)
	flat_store_dwordx2 v[52:53], v[0:1]
	scratch_load_dwordx2 v[0:1], off, off offset:200
	s_waitcnt vmcnt(0)
	flat_store_dwordx2 v[54:55], v[0:1]
	scratch_load_dwordx2 v[0:1], off, off offset:208
	s_waitcnt vmcnt(0)
	flat_store_dwordx2 v[56:57], v[0:1]
	scratch_load_dwordx2 v[0:1], off, off offset:216
	s_waitcnt vmcnt(0)
	flat_store_dwordx2 v[58:59], v[0:1]
	scratch_load_dwordx2 v[0:1], off, off offset:224
	s_waitcnt vmcnt(0)
	flat_store_dwordx2 v[60:61], v[0:1]
	scratch_load_dwordx2 v[0:1], off, off offset:232
	s_waitcnt vmcnt(0)
	flat_store_dwordx2 v[62:63], v[0:1]
	scratch_load_dwordx2 v[0:1], off, off offset:240
	s_waitcnt vmcnt(0)
	flat_store_dwordx2 v[64:65], v[0:1]
	scratch_load_dwordx2 v[0:1], off, off offset:248
	s_waitcnt vmcnt(0)
	flat_store_dwordx2 v[66:67], v[0:1]
	scratch_load_dwordx2 v[0:1], off, off offset:256
	s_waitcnt vmcnt(0)
	flat_store_dwordx2 v[68:69], v[0:1]
	scratch_load_dwordx2 v[0:1], off, off offset:264
	s_waitcnt vmcnt(0)
	flat_store_dwordx2 v[70:71], v[0:1]
	scratch_load_dwordx2 v[0:1], off, off offset:272
	s_waitcnt vmcnt(0)
	flat_store_dwordx2 v[72:73], v[0:1]
	scratch_load_dwordx2 v[0:1], off, off offset:280
	s_waitcnt vmcnt(0)
	flat_store_dwordx2 v[74:75], v[0:1]
	scratch_load_dwordx2 v[0:1], off, off offset:288
	s_waitcnt vmcnt(0)
	flat_store_dwordx2 v[76:77], v[0:1]
	scratch_load_dwordx2 v[0:1], off, off offset:296
	s_waitcnt vmcnt(0)
	flat_store_dwordx2 v[78:79], v[0:1]
	scratch_load_dwordx2 v[0:1], off, off offset:304
	s_waitcnt vmcnt(0)
	flat_store_dwordx2 v[80:81], v[0:1]
	scratch_load_dwordx2 v[0:1], off, off offset:312
	s_waitcnt vmcnt(0)
	flat_store_dwordx2 v[82:83], v[0:1]
.LBB103_770:
	s_endpgm
	.section	.rodata,"a",@progbits
	.p2align	6, 0x0
	.amdhsa_kernel _ZN9rocsolver6v33100L18trti2_kernel_smallILi40EdPKPdEEv13rocblas_fill_17rocblas_diagonal_T1_iil
		.amdhsa_group_segment_fixed_size 640
		.amdhsa_private_segment_fixed_size 336
		.amdhsa_kernarg_size 32
		.amdhsa_user_sgpr_count 2
		.amdhsa_user_sgpr_dispatch_ptr 0
		.amdhsa_user_sgpr_queue_ptr 0
		.amdhsa_user_sgpr_kernarg_segment_ptr 1
		.amdhsa_user_sgpr_dispatch_id 0
		.amdhsa_user_sgpr_kernarg_preload_length 0
		.amdhsa_user_sgpr_kernarg_preload_offset 0
		.amdhsa_user_sgpr_private_segment_size 0
		.amdhsa_uses_dynamic_stack 0
		.amdhsa_enable_private_segment 1
		.amdhsa_system_sgpr_workgroup_id_x 1
		.amdhsa_system_sgpr_workgroup_id_y 0
		.amdhsa_system_sgpr_workgroup_id_z 0
		.amdhsa_system_sgpr_workgroup_info 0
		.amdhsa_system_vgpr_workitem_id 0
		.amdhsa_next_free_vgpr 94
		.amdhsa_next_free_sgpr 49
		.amdhsa_accum_offset 96
		.amdhsa_reserve_vcc 1
		.amdhsa_float_round_mode_32 0
		.amdhsa_float_round_mode_16_64 0
		.amdhsa_float_denorm_mode_32 3
		.amdhsa_float_denorm_mode_16_64 3
		.amdhsa_dx10_clamp 1
		.amdhsa_ieee_mode 1
		.amdhsa_fp16_overflow 0
		.amdhsa_tg_split 0
		.amdhsa_exception_fp_ieee_invalid_op 0
		.amdhsa_exception_fp_denorm_src 0
		.amdhsa_exception_fp_ieee_div_zero 0
		.amdhsa_exception_fp_ieee_overflow 0
		.amdhsa_exception_fp_ieee_underflow 0
		.amdhsa_exception_fp_ieee_inexact 0
		.amdhsa_exception_int_div_zero 0
	.end_amdhsa_kernel
	.section	.text._ZN9rocsolver6v33100L18trti2_kernel_smallILi40EdPKPdEEv13rocblas_fill_17rocblas_diagonal_T1_iil,"axG",@progbits,_ZN9rocsolver6v33100L18trti2_kernel_smallILi40EdPKPdEEv13rocblas_fill_17rocblas_diagonal_T1_iil,comdat
.Lfunc_end103:
	.size	_ZN9rocsolver6v33100L18trti2_kernel_smallILi40EdPKPdEEv13rocblas_fill_17rocblas_diagonal_T1_iil, .Lfunc_end103-_ZN9rocsolver6v33100L18trti2_kernel_smallILi40EdPKPdEEv13rocblas_fill_17rocblas_diagonal_T1_iil
                                        ; -- End function
	.set _ZN9rocsolver6v33100L18trti2_kernel_smallILi40EdPKPdEEv13rocblas_fill_17rocblas_diagonal_T1_iil.num_vgpr, 94
	.set _ZN9rocsolver6v33100L18trti2_kernel_smallILi40EdPKPdEEv13rocblas_fill_17rocblas_diagonal_T1_iil.num_agpr, 0
	.set _ZN9rocsolver6v33100L18trti2_kernel_smallILi40EdPKPdEEv13rocblas_fill_17rocblas_diagonal_T1_iil.numbered_sgpr, 49
	.set _ZN9rocsolver6v33100L18trti2_kernel_smallILi40EdPKPdEEv13rocblas_fill_17rocblas_diagonal_T1_iil.num_named_barrier, 0
	.set _ZN9rocsolver6v33100L18trti2_kernel_smallILi40EdPKPdEEv13rocblas_fill_17rocblas_diagonal_T1_iil.private_seg_size, 336
	.set _ZN9rocsolver6v33100L18trti2_kernel_smallILi40EdPKPdEEv13rocblas_fill_17rocblas_diagonal_T1_iil.uses_vcc, 1
	.set _ZN9rocsolver6v33100L18trti2_kernel_smallILi40EdPKPdEEv13rocblas_fill_17rocblas_diagonal_T1_iil.uses_flat_scratch, 0
	.set _ZN9rocsolver6v33100L18trti2_kernel_smallILi40EdPKPdEEv13rocblas_fill_17rocblas_diagonal_T1_iil.has_dyn_sized_stack, 0
	.set _ZN9rocsolver6v33100L18trti2_kernel_smallILi40EdPKPdEEv13rocblas_fill_17rocblas_diagonal_T1_iil.has_recursion, 0
	.set _ZN9rocsolver6v33100L18trti2_kernel_smallILi40EdPKPdEEv13rocblas_fill_17rocblas_diagonal_T1_iil.has_indirect_call, 0
	.section	.AMDGPU.csdata,"",@progbits
; Kernel info:
; codeLenInByte = 19352
; TotalNumSgprs: 55
; NumVgprs: 94
; NumAgprs: 0
; TotalNumVgprs: 94
; ScratchSize: 336
; MemoryBound: 0
; FloatMode: 240
; IeeeMode: 1
; LDSByteSize: 640 bytes/workgroup (compile time only)
; SGPRBlocks: 6
; VGPRBlocks: 11
; NumSGPRsForWavesPerEU: 55
; NumVGPRsForWavesPerEU: 94
; AccumOffset: 96
; Occupancy: 5
; WaveLimiterHint : 1
; COMPUTE_PGM_RSRC2:SCRATCH_EN: 1
; COMPUTE_PGM_RSRC2:USER_SGPR: 2
; COMPUTE_PGM_RSRC2:TRAP_HANDLER: 0
; COMPUTE_PGM_RSRC2:TGID_X_EN: 1
; COMPUTE_PGM_RSRC2:TGID_Y_EN: 0
; COMPUTE_PGM_RSRC2:TGID_Z_EN: 0
; COMPUTE_PGM_RSRC2:TIDIG_COMP_CNT: 0
; COMPUTE_PGM_RSRC3_GFX90A:ACCUM_OFFSET: 23
; COMPUTE_PGM_RSRC3_GFX90A:TG_SPLIT: 0
	.section	.text._ZN9rocsolver6v33100L18trti2_kernel_smallILi41EdPKPdEEv13rocblas_fill_17rocblas_diagonal_T1_iil,"axG",@progbits,_ZN9rocsolver6v33100L18trti2_kernel_smallILi41EdPKPdEEv13rocblas_fill_17rocblas_diagonal_T1_iil,comdat
	.globl	_ZN9rocsolver6v33100L18trti2_kernel_smallILi41EdPKPdEEv13rocblas_fill_17rocblas_diagonal_T1_iil ; -- Begin function _ZN9rocsolver6v33100L18trti2_kernel_smallILi41EdPKPdEEv13rocblas_fill_17rocblas_diagonal_T1_iil
	.p2align	8
	.type	_ZN9rocsolver6v33100L18trti2_kernel_smallILi41EdPKPdEEv13rocblas_fill_17rocblas_diagonal_T1_iil,@function
_ZN9rocsolver6v33100L18trti2_kernel_smallILi41EdPKPdEEv13rocblas_fill_17rocblas_diagonal_T1_iil: ; @_ZN9rocsolver6v33100L18trti2_kernel_smallILi41EdPKPdEEv13rocblas_fill_17rocblas_diagonal_T1_iil
; %bb.0:
	v_cmp_gt_u32_e32 vcc, 41, v0
	s_and_saveexec_b64 s[4:5], vcc
	s_cbranch_execz .LBB104_790
; %bb.1:
	s_load_dwordx2 s[8:9], s[0:1], 0x10
	s_load_dwordx4 s[4:7], s[0:1], 0x0
	s_ashr_i32 s3, s2, 31
	s_lshl_b64 s[0:1], s[2:3], 3
	v_lshlrev_b32_e32 v18, 3, v0
	s_waitcnt lgkmcnt(0)
	s_ashr_i32 s3, s8, 31
	s_add_u32 s0, s6, s0
	s_addc_u32 s1, s7, s1
	s_load_dwordx2 s[0:1], s[0:1], 0x0
	s_mov_b32 s2, s8
	s_lshl_b64 s[2:3], s[2:3], 3
	v_mov_b32_e32 v19, 0
	s_waitcnt lgkmcnt(0)
	s_add_u32 s0, s0, s2
	s_addc_u32 s1, s1, s3
	v_lshl_add_u64 v[2:3], s[0:1], 0, v[18:19]
	flat_load_dwordx2 v[6:7], v[2:3]
	s_mov_b32 s2, s9
	s_ashr_i32 s3, s9, 31
	v_lshl_add_u64 v[4:5], s[2:3], 3, v[2:3]
	s_add_i32 s2, s9, s9
	v_add_u32_e32 v10, s2, v0
	v_ashrrev_i32_e32 v11, 31, v10
	s_cmpk_lg_i32 s5, 0x84
	s_cselect_b64 s[6:7], -1, 0
	s_cmpk_eq_i32 s5, 0x84
	s_waitcnt vmcnt(0) lgkmcnt(0)
	scratch_store_dwordx2 off, v[6:7], off
	flat_load_dwordx2 v[8:9], v[4:5]
	v_lshl_add_u64 v[6:7], v[10:11], 3, s[0:1]
	v_add_u32_e32 v10, s9, v10
	v_ashrrev_i32_e32 v11, 31, v10
	v_add_u32_e32 v14, s9, v10
	v_ashrrev_i32_e32 v15, 31, v14
	s_waitcnt vmcnt(0) lgkmcnt(0)
	scratch_store_dwordx2 off, v[8:9], off offset:8
	flat_load_dwordx2 v[12:13], v[6:7]
	v_lshl_add_u64 v[8:9], v[10:11], 3, s[0:1]
	v_lshl_add_u64 v[10:11], v[14:15], 3, s[0:1]
	v_add_u32_e32 v14, s9, v14
	v_ashrrev_i32_e32 v15, 31, v14
	v_add_u32_e32 v20, s9, v14
	v_ashrrev_i32_e32 v21, 31, v20
	s_waitcnt vmcnt(0) lgkmcnt(0)
	scratch_store_dwordx2 off, v[12:13], off offset:16
	flat_load_dwordx2 v[12:13], v[8:9]
	s_waitcnt vmcnt(0) lgkmcnt(0)
	scratch_store_dwordx2 off, v[12:13], off offset:24
	flat_load_dwordx2 v[16:17], v[10:11]
	v_lshl_add_u64 v[12:13], v[14:15], 3, s[0:1]
	v_lshl_add_u64 v[14:15], v[20:21], 3, s[0:1]
	v_add_u32_e32 v20, s9, v20
	v_ashrrev_i32_e32 v21, 31, v20
	v_add_u32_e32 v24, s9, v20
	v_ashrrev_i32_e32 v25, 31, v24
	s_waitcnt vmcnt(0) lgkmcnt(0)
	scratch_store_dwordx2 off, v[16:17], off offset:32
	flat_load_dwordx2 v[16:17], v[12:13]
	;; [unrolled: 12-line block ×17, first 2 shown]
	s_waitcnt vmcnt(0) lgkmcnt(0)
	scratch_store_dwordx2 off, v[78:79], off offset:280
	flat_load_dwordx2 v[82:83], v[76:77]
	v_lshl_add_u64 v[78:79], v[80:81], 3, s[0:1]
	v_lshl_add_u64 v[80:81], v[84:85], 3, s[0:1]
	v_add_u32_e32 v84, s9, v84
	v_ashrrev_i32_e32 v85, 31, v84
	s_waitcnt vmcnt(0) lgkmcnt(0)
	scratch_store_dwordx2 off, v[82:83], off offset:288
	flat_load_dwordx2 v[82:83], v[78:79]
	s_waitcnt vmcnt(0) lgkmcnt(0)
	scratch_store_dwordx2 off, v[82:83], off offset:296
	flat_load_dwordx2 v[86:87], v[80:81]
	v_lshl_add_u64 v[82:83], v[84:85], 3, s[0:1]
	v_add_u32_e32 v84, s9, v84
	v_ashrrev_i32_e32 v85, 31, v84
	v_lshl_add_u64 v[84:85], v[84:85], 3, s[0:1]
	s_waitcnt vmcnt(0) lgkmcnt(0)
	scratch_store_dwordx2 off, v[86:87], off offset:304
	flat_load_dwordx2 v[86:87], v[82:83]
	s_waitcnt vmcnt(0) lgkmcnt(0)
	scratch_store_dwordx2 off, v[86:87], off offset:312
	flat_load_dwordx2 v[86:87], v[84:85]
	s_waitcnt vmcnt(0) lgkmcnt(0)
	scratch_store_dwordx2 off, v[86:87], off offset:320
	v_mov_b64_e32 v[86:87], -1.0
	s_cbranch_scc1 .LBB104_3
; %bb.2:
	scratch_load_dwordx2 v[86:87], v18, off
	s_waitcnt vmcnt(0)
	v_div_scale_f64 v[88:89], s[0:1], v[86:87], v[86:87], 1.0
	v_rcp_f64_e32 v[90:91], v[88:89]
	v_div_scale_f64 v[92:93], vcc, 1.0, v[86:87], 1.0
	v_fma_f64 v[94:95], -v[88:89], v[90:91], 1.0
	v_fmac_f64_e32 v[90:91], v[90:91], v[94:95]
	v_fma_f64 v[94:95], -v[88:89], v[90:91], 1.0
	v_fmac_f64_e32 v[90:91], v[90:91], v[94:95]
	v_mul_f64 v[94:95], v[92:93], v[90:91]
	v_fma_f64 v[88:89], -v[88:89], v[94:95], v[92:93]
	v_div_fmas_f64 v[88:89], v[88:89], v[90:91], v[94:95]
	v_div_fixup_f64 v[86:87], v[88:89], v[86:87], 1.0
	scratch_store_dwordx2 v18, v[86:87], off
	v_xor_b32_e32 v87, 0x80000000, v87
.LBB104_3:
	s_cmpk_eq_i32 s4, 0x79
	v_add_u32_e32 v1, 0x150, v18
	v_mov_b32_e32 v19, v18
	s_mov_b64 s[0:1], -1
	ds_write_b64 v18, v[86:87]
	s_cbranch_scc1 .LBB104_397
; %bb.4:
	scratch_load_dwordx2 v[86:87], off, off offset:312
	s_movk_i32 s8, 0x48
	s_movk_i32 s9, 0x50
	;; [unrolled: 1-line block ×30, first 2 shown]
	v_cmp_eq_u32_e64 s[0:1], 40, v0
	s_waitcnt vmcnt(0)
	ds_write_b64 v1, v[86:87]
	s_waitcnt lgkmcnt(0)
	; wave barrier
	s_and_saveexec_b64 s[2:3], s[0:1]
	s_cbranch_execz .LBB104_10
; %bb.5:
	s_and_b64 vcc, exec, s[6:7]
	s_cbranch_vccz .LBB104_7
; %bb.6:
	scratch_load_dwordx2 v[86:87], v19, off
	ds_read_b64 v[88:89], v1
	s_waitcnt vmcnt(0) lgkmcnt(0)
	v_mul_f64 v[86:87], v[86:87], v[88:89]
	s_cbranch_execz .LBB104_8
	s_branch .LBB104_9
.LBB104_7:
                                        ; implicit-def: $vgpr86_vgpr87
.LBB104_8:
	ds_read_b64 v[86:87], v1
.LBB104_9:
	v_mov_b32_e32 v88, 0
	ds_read_b64 v[88:89], v88 offset:312
	s_waitcnt lgkmcnt(0)
	v_mul_f64 v[86:87], v[86:87], v[88:89]
	scratch_store_dwordx2 off, v[86:87], off offset:312
.LBB104_10:
	s_or_b64 exec, exec, s[2:3]
	scratch_load_dwordx2 v[86:87], off, off offset:304
	s_or_b32 s10, 0, 8
	s_mov_b32 s11, 16
	s_mov_b32 s12, 24
	;; [unrolled: 1-line block ×9, first 2 shown]
	v_cmp_lt_u32_e64 s[2:3], 38, v0
	s_waitcnt vmcnt(0)
	ds_write_b64 v1, v[86:87]
	s_waitcnt lgkmcnt(0)
	; wave barrier
	s_and_saveexec_b64 s[4:5], s[2:3]
	s_cbranch_execz .LBB104_16
; %bb.11:
	s_andn2_b64 vcc, exec, s[6:7]
	s_cbranch_vccnz .LBB104_13
; %bb.12:
	scratch_load_dwordx2 v[86:87], v19, off
	ds_read_b64 v[88:89], v1
	s_waitcnt vmcnt(0) lgkmcnt(0)
	v_mul_f64 v[86:87], v[86:87], v[88:89]
	s_cbranch_execz .LBB104_14
	s_branch .LBB104_15
.LBB104_13:
                                        ; implicit-def: $vgpr86_vgpr87
.LBB104_14:
	ds_read_b64 v[86:87], v1
.LBB104_15:
	scratch_load_dwordx2 v[92:93], off, off offset:312
	v_mov_b32_e32 v88, 0
	ds_read2_b64 v[88:91], v88 offset0:38 offset1:81
	s_waitcnt vmcnt(0) lgkmcnt(0)
	v_fma_f64 v[90:91], v[92:93], v[90:91], v[86:87]
	v_cndmask_b32_e64 v87, v87, v91, s[0:1]
	v_cndmask_b32_e64 v86, v86, v90, s[0:1]
	v_mul_f64 v[86:87], v[86:87], v[88:89]
	scratch_store_dwordx2 off, v[86:87], off offset:304
.LBB104_16:
	s_or_b64 exec, exec, s[4:5]
	scratch_load_dwordx2 v[86:87], off, off offset:296
	v_cmp_lt_u32_e64 s[0:1], 37, v0
	s_waitcnt vmcnt(0)
	ds_write_b64 v1, v[86:87]
	s_waitcnt lgkmcnt(0)
	; wave barrier
	s_and_saveexec_b64 s[4:5], s[0:1]
	s_cbranch_execz .LBB104_26
; %bb.17:
	s_andn2_b64 vcc, exec, s[6:7]
	s_cbranch_vccnz .LBB104_19
; %bb.18:
	scratch_load_dwordx2 v[86:87], v19, off
	ds_read_b64 v[88:89], v1
	s_waitcnt vmcnt(0) lgkmcnt(0)
	v_mul_f64 v[86:87], v[86:87], v[88:89]
	s_cbranch_execz .LBB104_20
	s_branch .LBB104_21
.LBB104_19:
                                        ; implicit-def: $vgpr86_vgpr87
.LBB104_20:
	ds_read_b64 v[86:87], v1
.LBB104_21:
	s_and_saveexec_b64 s[8:9], s[2:3]
	s_cbranch_execz .LBB104_25
; %bb.22:
	v_subrev_u32_e32 v88, 38, v0
	s_movk_i32 s49, 0x280
	s_mov_b64 s[2:3], 0
.LBB104_23:                             ; =>This Inner Loop Header: Depth=1
	scratch_load_dwordx2 v[90:91], off, s48
	v_mov_b32_e32 v89, s49
	ds_read_b64 v[92:93], v89
	v_add_u32_e32 v88, -1, v88
	s_add_i32 s49, s49, 8
	s_add_i32 s48, s48, 8
	v_cmp_eq_u32_e32 vcc, 0, v88
	s_or_b64 s[2:3], vcc, s[2:3]
	s_waitcnt vmcnt(0) lgkmcnt(0)
	v_fmac_f64_e32 v[86:87], v[90:91], v[92:93]
	s_andn2_b64 exec, exec, s[2:3]
	s_cbranch_execnz .LBB104_23
; %bb.24:
	s_or_b64 exec, exec, s[2:3]
.LBB104_25:
	s_or_b64 exec, exec, s[8:9]
	v_mov_b32_e32 v88, 0
	ds_read_b64 v[88:89], v88 offset:296
	s_waitcnt lgkmcnt(0)
	v_mul_f64 v[86:87], v[86:87], v[88:89]
	scratch_store_dwordx2 off, v[86:87], off offset:296
.LBB104_26:
	s_or_b64 exec, exec, s[4:5]
	scratch_load_dwordx2 v[86:87], off, off offset:288
	v_cmp_lt_u32_e64 s[2:3], 36, v0
	s_waitcnt vmcnt(0)
	ds_write_b64 v1, v[86:87]
	s_waitcnt lgkmcnt(0)
	; wave barrier
	s_and_saveexec_b64 s[4:5], s[2:3]
	s_cbranch_execz .LBB104_36
; %bb.27:
	s_andn2_b64 vcc, exec, s[6:7]
	s_cbranch_vccnz .LBB104_29
; %bb.28:
	scratch_load_dwordx2 v[86:87], v19, off
	ds_read_b64 v[88:89], v1
	s_waitcnt vmcnt(0) lgkmcnt(0)
	v_mul_f64 v[86:87], v[86:87], v[88:89]
	s_cbranch_execz .LBB104_30
	s_branch .LBB104_31
.LBB104_29:
                                        ; implicit-def: $vgpr86_vgpr87
.LBB104_30:
	ds_read_b64 v[86:87], v1
.LBB104_31:
	s_and_saveexec_b64 s[8:9], s[0:1]
	s_cbranch_execz .LBB104_35
; %bb.32:
	v_subrev_u32_e32 v88, 37, v0
	s_movk_i32 s48, 0x278
	s_mov_b64 s[0:1], 0
.LBB104_33:                             ; =>This Inner Loop Header: Depth=1
	scratch_load_dwordx2 v[90:91], off, s47
	v_mov_b32_e32 v89, s48
	ds_read_b64 v[92:93], v89
	v_add_u32_e32 v88, -1, v88
	s_add_i32 s48, s48, 8
	s_add_i32 s47, s47, 8
	v_cmp_eq_u32_e32 vcc, 0, v88
	s_or_b64 s[0:1], vcc, s[0:1]
	s_waitcnt vmcnt(0) lgkmcnt(0)
	v_fmac_f64_e32 v[86:87], v[90:91], v[92:93]
	s_andn2_b64 exec, exec, s[0:1]
	s_cbranch_execnz .LBB104_33
; %bb.34:
	s_or_b64 exec, exec, s[0:1]
.LBB104_35:
	s_or_b64 exec, exec, s[8:9]
	v_mov_b32_e32 v88, 0
	ds_read_b64 v[88:89], v88 offset:288
	s_waitcnt lgkmcnt(0)
	v_mul_f64 v[86:87], v[86:87], v[88:89]
	scratch_store_dwordx2 off, v[86:87], off offset:288
.LBB104_36:
	;; [unrolled: 53-line block ×8, first 2 shown]
	s_or_b64 exec, exec, s[4:5]
	scratch_load_dwordx2 v[86:87], off, off offset:232
	v_cmp_lt_u32_e64 s[0:1], 29, v0
	s_waitcnt vmcnt(0)
	ds_write_b64 v1, v[86:87]
	s_waitcnt lgkmcnt(0)
	; wave barrier
	s_and_saveexec_b64 s[4:5], s[0:1]
	s_cbranch_execz .LBB104_106
; %bb.97:
	s_andn2_b64 vcc, exec, s[6:7]
	s_cbranch_vccnz .LBB104_99
; %bb.98:
	scratch_load_dwordx2 v[86:87], v19, off
	ds_read_b64 v[88:89], v1
	s_waitcnt vmcnt(0) lgkmcnt(0)
	v_mul_f64 v[86:87], v[86:87], v[88:89]
	s_cbranch_execz .LBB104_100
	s_branch .LBB104_101
.LBB104_99:
                                        ; implicit-def: $vgpr86_vgpr87
.LBB104_100:
	ds_read_b64 v[86:87], v1
.LBB104_101:
	s_and_saveexec_b64 s[8:9], s[2:3]
	s_cbranch_execz .LBB104_105
; %bb.102:
	v_subrev_u32_e32 v88, 30, v0
	s_movk_i32 s41, 0x240
	s_mov_b64 s[2:3], 0
.LBB104_103:                            ; =>This Inner Loop Header: Depth=1
	scratch_load_dwordx2 v[90:91], off, s40
	v_mov_b32_e32 v89, s41
	ds_read_b64 v[92:93], v89
	v_add_u32_e32 v88, -1, v88
	s_add_i32 s41, s41, 8
	s_add_i32 s40, s40, 8
	v_cmp_eq_u32_e32 vcc, 0, v88
	s_or_b64 s[2:3], vcc, s[2:3]
	s_waitcnt vmcnt(0) lgkmcnt(0)
	v_fmac_f64_e32 v[86:87], v[90:91], v[92:93]
	s_andn2_b64 exec, exec, s[2:3]
	s_cbranch_execnz .LBB104_103
; %bb.104:
	s_or_b64 exec, exec, s[2:3]
.LBB104_105:
	s_or_b64 exec, exec, s[8:9]
	v_mov_b32_e32 v88, 0
	ds_read_b64 v[88:89], v88 offset:232
	s_waitcnt lgkmcnt(0)
	v_mul_f64 v[86:87], v[86:87], v[88:89]
	scratch_store_dwordx2 off, v[86:87], off offset:232
.LBB104_106:
	s_or_b64 exec, exec, s[4:5]
	scratch_load_dwordx2 v[86:87], off, off offset:224
	v_cmp_lt_u32_e64 s[2:3], 28, v0
	s_waitcnt vmcnt(0)
	ds_write_b64 v1, v[86:87]
	s_waitcnt lgkmcnt(0)
	; wave barrier
	s_and_saveexec_b64 s[4:5], s[2:3]
	s_cbranch_execz .LBB104_116
; %bb.107:
	s_andn2_b64 vcc, exec, s[6:7]
	s_cbranch_vccnz .LBB104_109
; %bb.108:
	scratch_load_dwordx2 v[86:87], v19, off
	ds_read_b64 v[88:89], v1
	s_waitcnt vmcnt(0) lgkmcnt(0)
	v_mul_f64 v[86:87], v[86:87], v[88:89]
	s_cbranch_execz .LBB104_110
	s_branch .LBB104_111
.LBB104_109:
                                        ; implicit-def: $vgpr86_vgpr87
.LBB104_110:
	ds_read_b64 v[86:87], v1
.LBB104_111:
	s_and_saveexec_b64 s[8:9], s[0:1]
	s_cbranch_execz .LBB104_115
; %bb.112:
	v_subrev_u32_e32 v88, 29, v0
	s_movk_i32 s40, 0x238
	s_mov_b64 s[0:1], 0
.LBB104_113:                            ; =>This Inner Loop Header: Depth=1
	scratch_load_dwordx2 v[90:91], off, s39
	v_mov_b32_e32 v89, s40
	ds_read_b64 v[92:93], v89
	v_add_u32_e32 v88, -1, v88
	s_add_i32 s40, s40, 8
	s_add_i32 s39, s39, 8
	v_cmp_eq_u32_e32 vcc, 0, v88
	s_or_b64 s[0:1], vcc, s[0:1]
	s_waitcnt vmcnt(0) lgkmcnt(0)
	v_fmac_f64_e32 v[86:87], v[90:91], v[92:93]
	s_andn2_b64 exec, exec, s[0:1]
	s_cbranch_execnz .LBB104_113
; %bb.114:
	s_or_b64 exec, exec, s[0:1]
.LBB104_115:
	s_or_b64 exec, exec, s[8:9]
	v_mov_b32_e32 v88, 0
	ds_read_b64 v[88:89], v88 offset:224
	s_waitcnt lgkmcnt(0)
	v_mul_f64 v[86:87], v[86:87], v[88:89]
	scratch_store_dwordx2 off, v[86:87], off offset:224
.LBB104_116:
	;; [unrolled: 53-line block ×14, first 2 shown]
	s_or_b64 exec, exec, s[4:5]
	scratch_load_dwordx2 v[86:87], off, off offset:120
	v_cmp_lt_u32_e64 s[0:1], 15, v0
	s_waitcnt vmcnt(0)
	ds_write_b64 v1, v[86:87]
	s_waitcnt lgkmcnt(0)
	; wave barrier
	s_and_saveexec_b64 s[4:5], s[0:1]
	s_cbranch_execz .LBB104_246
; %bb.237:
	s_andn2_b64 vcc, exec, s[6:7]
	s_cbranch_vccnz .LBB104_239
; %bb.238:
	scratch_load_dwordx2 v[86:87], v19, off
	ds_read_b64 v[88:89], v1
	s_waitcnt vmcnt(0) lgkmcnt(0)
	v_mul_f64 v[86:87], v[86:87], v[88:89]
	s_cbranch_execz .LBB104_240
	s_branch .LBB104_241
.LBB104_239:
                                        ; implicit-def: $vgpr86_vgpr87
.LBB104_240:
	ds_read_b64 v[86:87], v1
.LBB104_241:
	s_and_saveexec_b64 s[8:9], s[2:3]
	s_cbranch_execz .LBB104_245
; %bb.242:
	v_add_u32_e32 v88, -16, v0
	s_movk_i32 s26, 0x1d0
	s_mov_b64 s[2:3], 0
.LBB104_243:                            ; =>This Inner Loop Header: Depth=1
	scratch_load_dwordx2 v[90:91], off, s25
	v_mov_b32_e32 v89, s26
	ds_read_b64 v[92:93], v89
	v_add_u32_e32 v88, -1, v88
	s_add_i32 s26, s26, 8
	s_add_i32 s25, s25, 8
	v_cmp_eq_u32_e32 vcc, 0, v88
	s_or_b64 s[2:3], vcc, s[2:3]
	s_waitcnt vmcnt(0) lgkmcnt(0)
	v_fmac_f64_e32 v[86:87], v[90:91], v[92:93]
	s_andn2_b64 exec, exec, s[2:3]
	s_cbranch_execnz .LBB104_243
; %bb.244:
	s_or_b64 exec, exec, s[2:3]
.LBB104_245:
	s_or_b64 exec, exec, s[8:9]
	v_mov_b32_e32 v88, 0
	ds_read_b64 v[88:89], v88 offset:120
	s_waitcnt lgkmcnt(0)
	v_mul_f64 v[86:87], v[86:87], v[88:89]
	scratch_store_dwordx2 off, v[86:87], off offset:120
.LBB104_246:
	s_or_b64 exec, exec, s[4:5]
	scratch_load_dwordx2 v[86:87], off, off offset:112
	v_cmp_lt_u32_e64 s[2:3], 14, v0
	s_waitcnt vmcnt(0)
	ds_write_b64 v1, v[86:87]
	s_waitcnt lgkmcnt(0)
	; wave barrier
	s_and_saveexec_b64 s[4:5], s[2:3]
	s_cbranch_execz .LBB104_256
; %bb.247:
	s_andn2_b64 vcc, exec, s[6:7]
	s_cbranch_vccnz .LBB104_249
; %bb.248:
	scratch_load_dwordx2 v[86:87], v19, off
	ds_read_b64 v[88:89], v1
	s_waitcnt vmcnt(0) lgkmcnt(0)
	v_mul_f64 v[86:87], v[86:87], v[88:89]
	s_cbranch_execz .LBB104_250
	s_branch .LBB104_251
.LBB104_249:
                                        ; implicit-def: $vgpr86_vgpr87
.LBB104_250:
	ds_read_b64 v[86:87], v1
.LBB104_251:
	s_and_saveexec_b64 s[8:9], s[0:1]
	s_cbranch_execz .LBB104_255
; %bb.252:
	v_add_u32_e32 v88, -15, v0
	s_movk_i32 s25, 0x1c8
	s_mov_b64 s[0:1], 0
.LBB104_253:                            ; =>This Inner Loop Header: Depth=1
	scratch_load_dwordx2 v[90:91], off, s24
	v_mov_b32_e32 v89, s25
	ds_read_b64 v[92:93], v89
	v_add_u32_e32 v88, -1, v88
	s_add_i32 s25, s25, 8
	s_add_i32 s24, s24, 8
	v_cmp_eq_u32_e32 vcc, 0, v88
	s_or_b64 s[0:1], vcc, s[0:1]
	s_waitcnt vmcnt(0) lgkmcnt(0)
	v_fmac_f64_e32 v[86:87], v[90:91], v[92:93]
	s_andn2_b64 exec, exec, s[0:1]
	s_cbranch_execnz .LBB104_253
; %bb.254:
	s_or_b64 exec, exec, s[0:1]
.LBB104_255:
	s_or_b64 exec, exec, s[8:9]
	v_mov_b32_e32 v88, 0
	ds_read_b64 v[88:89], v88 offset:112
	s_waitcnt lgkmcnt(0)
	v_mul_f64 v[86:87], v[86:87], v[88:89]
	scratch_store_dwordx2 off, v[86:87], off offset:112
.LBB104_256:
	;; [unrolled: 53-line block ×15, first 2 shown]
	s_or_b64 exec, exec, s[4:5]
	scratch_load_dwordx2 v[86:87], off, off
	v_cmp_ne_u32_e32 vcc, 0, v0
	s_waitcnt vmcnt(0)
	ds_write_b64 v1, v[86:87]
	s_waitcnt lgkmcnt(0)
	; wave barrier
	s_and_saveexec_b64 s[2:3], vcc
	s_cbranch_execz .LBB104_396
; %bb.387:
	s_andn2_b64 vcc, exec, s[6:7]
	s_cbranch_vccnz .LBB104_389
; %bb.388:
	scratch_load_dwordx2 v[86:87], v19, off
	ds_read_b64 v[88:89], v1
	s_waitcnt vmcnt(0) lgkmcnt(0)
	v_mul_f64 v[86:87], v[86:87], v[88:89]
	s_cbranch_execz .LBB104_390
	s_branch .LBB104_391
.LBB104_389:
                                        ; implicit-def: $vgpr86_vgpr87
.LBB104_390:
	ds_read_b64 v[86:87], v1
.LBB104_391:
	s_and_saveexec_b64 s[4:5], s[0:1]
	s_cbranch_execz .LBB104_395
; %bb.392:
	v_add_u32_e32 v88, -1, v0
	s_movk_i32 s8, 0x158
	s_mov_b64 s[0:1], 0
.LBB104_393:                            ; =>This Inner Loop Header: Depth=1
	scratch_load_dwordx2 v[90:91], off, s10
	v_mov_b32_e32 v89, s8
	ds_read_b64 v[92:93], v89
	v_add_u32_e32 v88, -1, v88
	s_add_i32 s8, s8, 8
	s_add_i32 s10, s10, 8
	v_cmp_eq_u32_e32 vcc, 0, v88
	s_or_b64 s[0:1], vcc, s[0:1]
	s_waitcnt vmcnt(0) lgkmcnt(0)
	v_fmac_f64_e32 v[86:87], v[90:91], v[92:93]
	s_andn2_b64 exec, exec, s[0:1]
	s_cbranch_execnz .LBB104_393
; %bb.394:
	s_or_b64 exec, exec, s[0:1]
.LBB104_395:
	s_or_b64 exec, exec, s[4:5]
	v_mov_b32_e32 v88, 0
	ds_read_b64 v[88:89], v88
	s_waitcnt lgkmcnt(0)
	v_mul_f64 v[86:87], v[86:87], v[88:89]
	scratch_store_dwordx2 off, v[86:87], off
.LBB104_396:
	s_or_b64 exec, exec, s[2:3]
	s_mov_b64 s[0:1], 0
.LBB104_397:
	s_and_b64 vcc, exec, s[0:1]
	s_cbranch_vccz .LBB104_789
; %bb.398:
	scratch_load_dwordx2 v[86:87], off, off offset:8
	v_cmp_eq_u32_e64 s[2:3], 0, v0
	s_waitcnt vmcnt(0)
	ds_write_b64 v1, v[86:87]
	s_waitcnt lgkmcnt(0)
	; wave barrier
	s_and_saveexec_b64 s[0:1], s[2:3]
	s_cbranch_execz .LBB104_404
; %bb.399:
	s_and_b64 vcc, exec, s[6:7]
	s_cbranch_vccz .LBB104_401
; %bb.400:
	scratch_load_dwordx2 v[86:87], v19, off
	ds_read_b64 v[88:89], v1
	s_waitcnt vmcnt(0) lgkmcnt(0)
	v_mul_f64 v[86:87], v[86:87], v[88:89]
	s_cbranch_execz .LBB104_402
	s_branch .LBB104_403
.LBB104_401:
                                        ; implicit-def: $vgpr86_vgpr87
.LBB104_402:
	ds_read_b64 v[86:87], v1
.LBB104_403:
	v_mov_b32_e32 v88, 0
	ds_read_b64 v[88:89], v88 offset:8
	s_waitcnt lgkmcnt(0)
	v_mul_f64 v[86:87], v[86:87], v[88:89]
	scratch_store_dwordx2 off, v[86:87], off offset:8
.LBB104_404:
	s_or_b64 exec, exec, s[0:1]
	scratch_load_dwordx2 v[86:87], off, off offset:16
	v_cndmask_b32_e64 v88, 0, 1, s[6:7]
	v_cmp_gt_u32_e32 vcc, 2, v0
	v_cmp_ne_u32_e64 s[0:1], 1, v88
	s_waitcnt vmcnt(0)
	ds_write_b64 v1, v[86:87]
	s_waitcnt lgkmcnt(0)
	; wave barrier
	s_and_saveexec_b64 s[4:5], vcc
	s_cbranch_execz .LBB104_410
; %bb.405:
	s_and_b64 vcc, exec, s[0:1]
	s_cbranch_vccnz .LBB104_407
; %bb.406:
	scratch_load_dwordx2 v[86:87], v19, off
	ds_read_b64 v[88:89], v1
	s_waitcnt vmcnt(0) lgkmcnt(0)
	v_mul_f64 v[86:87], v[86:87], v[88:89]
	s_cbranch_execz .LBB104_408
	s_branch .LBB104_409
.LBB104_407:
                                        ; implicit-def: $vgpr86_vgpr87
.LBB104_408:
	ds_read_b64 v[86:87], v1
.LBB104_409:
	scratch_load_dwordx2 v[92:93], off, off offset:8
	v_mov_b32_e32 v88, 0
	ds_read2_b64 v[88:91], v88 offset0:2 offset1:43
	s_waitcnt vmcnt(0) lgkmcnt(0)
	v_fma_f64 v[90:91], v[92:93], v[90:91], v[86:87]
	v_cndmask_b32_e64 v87, v87, v91, s[2:3]
	v_cndmask_b32_e64 v86, v86, v90, s[2:3]
	v_mul_f64 v[86:87], v[86:87], v[88:89]
	scratch_store_dwordx2 off, v[86:87], off offset:16
.LBB104_410:
	s_or_b64 exec, exec, s[4:5]
	scratch_load_dwordx2 v[86:87], off, off offset:24
	v_cmp_gt_u32_e32 vcc, 3, v0
	s_waitcnt vmcnt(0)
	ds_write_b64 v1, v[86:87]
	s_waitcnt lgkmcnt(0)
	; wave barrier
	s_and_saveexec_b64 s[4:5], vcc
	s_cbranch_execz .LBB104_418
; %bb.411:
	s_and_b64 vcc, exec, s[0:1]
	s_cbranch_vccnz .LBB104_413
; %bb.412:
	scratch_load_dwordx2 v[86:87], v19, off
	ds_read_b64 v[88:89], v1
	s_waitcnt vmcnt(0) lgkmcnt(0)
	v_mul_f64 v[86:87], v[86:87], v[88:89]
	s_cbranch_execz .LBB104_414
	s_branch .LBB104_415
.LBB104_413:
                                        ; implicit-def: $vgpr86_vgpr87
.LBB104_414:
	ds_read_b64 v[86:87], v1
.LBB104_415:
	v_cmp_ne_u32_e32 vcc, 2, v0
	s_and_saveexec_b64 s[6:7], vcc
	s_cbranch_execz .LBB104_417
; %bb.416:
	scratch_load_dwordx2 v[88:89], v19, off offset:8
	scratch_load_dwordx2 v[90:91], off, off offset:16
	ds_read_b64 v[92:93], v1 offset:8
	v_mov_b32_e32 v94, 0
	ds_read_b64 v[94:95], v94 offset:352
	s_waitcnt vmcnt(1) lgkmcnt(1)
	v_fmac_f64_e32 v[86:87], v[88:89], v[92:93]
	s_waitcnt vmcnt(0) lgkmcnt(0)
	v_fma_f64 v[88:89], v[90:91], v[94:95], v[86:87]
	v_cndmask_b32_e64 v87, v87, v89, s[2:3]
	v_cndmask_b32_e64 v86, v86, v88, s[2:3]
.LBB104_417:
	s_or_b64 exec, exec, s[6:7]
	v_mov_b32_e32 v88, 0
	ds_read_b64 v[88:89], v88 offset:24
	s_waitcnt lgkmcnt(0)
	v_mul_f64 v[86:87], v[86:87], v[88:89]
	scratch_store_dwordx2 off, v[86:87], off offset:24
.LBB104_418:
	s_or_b64 exec, exec, s[4:5]
	scratch_load_dwordx2 v[86:87], off, off offset:32
	v_cmp_gt_u32_e32 vcc, 4, v0
	s_waitcnt vmcnt(0)
	ds_write_b64 v1, v[86:87]
	s_waitcnt lgkmcnt(0)
	; wave barrier
	s_and_saveexec_b64 s[2:3], vcc
	s_cbranch_execz .LBB104_428
; %bb.419:
	s_and_b64 vcc, exec, s[0:1]
	s_cbranch_vccnz .LBB104_421
; %bb.420:
	scratch_load_dwordx2 v[86:87], v19, off
	ds_read_b64 v[88:89], v1
	s_waitcnt vmcnt(0) lgkmcnt(0)
	v_mul_f64 v[86:87], v[86:87], v[88:89]
	s_cbranch_execz .LBB104_422
	s_branch .LBB104_423
.LBB104_421:
                                        ; implicit-def: $vgpr86_vgpr87
.LBB104_422:
	ds_read_b64 v[86:87], v1
.LBB104_423:
	v_cmp_ne_u32_e32 vcc, 3, v0
	s_and_saveexec_b64 s[4:5], vcc
	s_cbranch_execz .LBB104_427
; %bb.424:
	s_mov_b32 s6, 0
	v_add_u32_e32 v88, 0x158, v18
	v_add3_u32 v89, v18, s6, 8
	s_mov_b64 s[6:7], 0
	v_mov_b32_e32 v90, v0
.LBB104_425:                            ; =>This Inner Loop Header: Depth=1
	scratch_load_dwordx2 v[92:93], v89, off
	ds_read_b64 v[94:95], v88
	v_add_u32_e32 v90, 1, v90
	v_cmp_lt_u32_e32 vcc, 2, v90
	v_add_u32_e32 v88, 8, v88
	v_add_u32_e32 v89, 8, v89
	s_or_b64 s[6:7], vcc, s[6:7]
	s_waitcnt vmcnt(0) lgkmcnt(0)
	v_fmac_f64_e32 v[86:87], v[92:93], v[94:95]
	s_andn2_b64 exec, exec, s[6:7]
	s_cbranch_execnz .LBB104_425
; %bb.426:
	s_or_b64 exec, exec, s[6:7]
.LBB104_427:
	s_or_b64 exec, exec, s[4:5]
	v_mov_b32_e32 v88, 0
	ds_read_b64 v[88:89], v88 offset:32
	s_waitcnt lgkmcnt(0)
	v_mul_f64 v[86:87], v[86:87], v[88:89]
	scratch_store_dwordx2 off, v[86:87], off offset:32
.LBB104_428:
	s_or_b64 exec, exec, s[2:3]
	scratch_load_dwordx2 v[86:87], off, off offset:40
	v_cmp_gt_u32_e32 vcc, 5, v0
	s_waitcnt vmcnt(0)
	ds_write_b64 v1, v[86:87]
	s_waitcnt lgkmcnt(0)
	; wave barrier
	s_and_saveexec_b64 s[2:3], vcc
	s_cbranch_execz .LBB104_438
; %bb.429:
	s_and_b64 vcc, exec, s[0:1]
	s_cbranch_vccnz .LBB104_431
; %bb.430:
	scratch_load_dwordx2 v[86:87], v19, off
	ds_read_b64 v[88:89], v1
	s_waitcnt vmcnt(0) lgkmcnt(0)
	v_mul_f64 v[86:87], v[86:87], v[88:89]
	s_cbranch_execz .LBB104_432
	s_branch .LBB104_433
.LBB104_431:
                                        ; implicit-def: $vgpr86_vgpr87
.LBB104_432:
	ds_read_b64 v[86:87], v1
.LBB104_433:
	v_cmp_ne_u32_e32 vcc, 4, v0
	s_and_saveexec_b64 s[4:5], vcc
	s_cbranch_execz .LBB104_437
; %bb.434:
	s_mov_b32 s6, 0
	v_add_u32_e32 v88, 0x158, v18
	v_add3_u32 v89, v18, s6, 8
	s_mov_b64 s[6:7], 0
	v_mov_b32_e32 v90, v0
.LBB104_435:                            ; =>This Inner Loop Header: Depth=1
	scratch_load_dwordx2 v[92:93], v89, off
	ds_read_b64 v[94:95], v88
	v_add_u32_e32 v90, 1, v90
	v_cmp_lt_u32_e32 vcc, 3, v90
	v_add_u32_e32 v88, 8, v88
	v_add_u32_e32 v89, 8, v89
	s_or_b64 s[6:7], vcc, s[6:7]
	s_waitcnt vmcnt(0) lgkmcnt(0)
	v_fmac_f64_e32 v[86:87], v[92:93], v[94:95]
	s_andn2_b64 exec, exec, s[6:7]
	s_cbranch_execnz .LBB104_435
; %bb.436:
	s_or_b64 exec, exec, s[6:7]
.LBB104_437:
	s_or_b64 exec, exec, s[4:5]
	v_mov_b32_e32 v88, 0
	ds_read_b64 v[88:89], v88 offset:40
	s_waitcnt lgkmcnt(0)
	v_mul_f64 v[86:87], v[86:87], v[88:89]
	scratch_store_dwordx2 off, v[86:87], off offset:40
.LBB104_438:
	;; [unrolled: 55-line block ×35, first 2 shown]
	s_or_b64 exec, exec, s[2:3]
	scratch_load_dwordx2 v[86:87], off, off offset:312
	v_cmp_gt_u32_e64 s[2:3], 39, v0
	s_waitcnt vmcnt(0)
	ds_write_b64 v1, v[86:87]
	s_waitcnt lgkmcnt(0)
	; wave barrier
	s_and_saveexec_b64 s[4:5], s[2:3]
	s_cbranch_execz .LBB104_778
; %bb.769:
	s_and_b64 vcc, exec, s[0:1]
	s_cbranch_vccnz .LBB104_771
; %bb.770:
	scratch_load_dwordx2 v[86:87], v19, off
	ds_read_b64 v[88:89], v1
	s_waitcnt vmcnt(0) lgkmcnt(0)
	v_mul_f64 v[86:87], v[86:87], v[88:89]
	s_cbranch_execz .LBB104_772
	s_branch .LBB104_773
.LBB104_771:
                                        ; implicit-def: $vgpr86_vgpr87
.LBB104_772:
	ds_read_b64 v[86:87], v1
.LBB104_773:
	v_cmp_ne_u32_e32 vcc, 38, v0
	s_and_saveexec_b64 s[6:7], vcc
	s_cbranch_execz .LBB104_777
; %bb.774:
	s_mov_b32 s8, 0
	v_add_u32_e32 v88, 0x158, v18
	v_add3_u32 v89, v18, s8, 8
	s_mov_b64 s[8:9], 0
	v_mov_b32_e32 v90, v0
.LBB104_775:                            ; =>This Inner Loop Header: Depth=1
	scratch_load_dwordx2 v[92:93], v89, off
	ds_read_b64 v[94:95], v88
	v_add_u32_e32 v90, 1, v90
	v_cmp_lt_u32_e32 vcc, 37, v90
	v_add_u32_e32 v88, 8, v88
	v_add_u32_e32 v89, 8, v89
	s_or_b64 s[8:9], vcc, s[8:9]
	s_waitcnt vmcnt(0) lgkmcnt(0)
	v_fmac_f64_e32 v[86:87], v[92:93], v[94:95]
	s_andn2_b64 exec, exec, s[8:9]
	s_cbranch_execnz .LBB104_775
; %bb.776:
	s_or_b64 exec, exec, s[8:9]
.LBB104_777:
	s_or_b64 exec, exec, s[6:7]
	v_mov_b32_e32 v88, 0
	ds_read_b64 v[88:89], v88 offset:312
	s_waitcnt lgkmcnt(0)
	v_mul_f64 v[86:87], v[86:87], v[88:89]
	scratch_store_dwordx2 off, v[86:87], off offset:312
.LBB104_778:
	s_or_b64 exec, exec, s[4:5]
	scratch_load_dwordx2 v[86:87], off, off offset:320
	v_cmp_ne_u32_e32 vcc, 40, v0
	s_waitcnt vmcnt(0)
	ds_write_b64 v1, v[86:87]
	s_waitcnt lgkmcnt(0)
	; wave barrier
	s_and_saveexec_b64 s[4:5], vcc
	s_cbranch_execz .LBB104_788
; %bb.779:
	s_and_b64 vcc, exec, s[0:1]
	s_cbranch_vccnz .LBB104_781
; %bb.780:
	scratch_load_dwordx2 v[86:87], v19, off
	ds_read_b64 v[88:89], v1
	s_waitcnt vmcnt(0) lgkmcnt(0)
	v_mul_f64 v[86:87], v[86:87], v[88:89]
	s_cbranch_execz .LBB104_782
	s_branch .LBB104_783
.LBB104_781:
                                        ; implicit-def: $vgpr86_vgpr87
.LBB104_782:
	ds_read_b64 v[86:87], v1
.LBB104_783:
	s_and_saveexec_b64 s[0:1], s[2:3]
	s_cbranch_execz .LBB104_787
; %bb.784:
	s_mov_b32 s2, 0
	v_add_u32_e32 v1, 0x158, v18
	v_add3_u32 v18, v18, s2, 8
	s_mov_b64 s[2:3], 0
.LBB104_785:                            ; =>This Inner Loop Header: Depth=1
	scratch_load_dwordx2 v[88:89], v18, off
	ds_read_b64 v[90:91], v1
	v_add_u32_e32 v0, 1, v0
	v_cmp_lt_u32_e32 vcc, 38, v0
	v_add_u32_e32 v1, 8, v1
	v_add_u32_e32 v18, 8, v18
	s_or_b64 s[2:3], vcc, s[2:3]
	s_waitcnt vmcnt(0) lgkmcnt(0)
	v_fmac_f64_e32 v[86:87], v[88:89], v[90:91]
	s_andn2_b64 exec, exec, s[2:3]
	s_cbranch_execnz .LBB104_785
; %bb.786:
	s_or_b64 exec, exec, s[2:3]
.LBB104_787:
	s_or_b64 exec, exec, s[0:1]
	v_mov_b32_e32 v0, 0
	ds_read_b64 v[0:1], v0 offset:320
	s_waitcnt lgkmcnt(0)
	v_mul_f64 v[0:1], v[86:87], v[0:1]
	scratch_store_dwordx2 off, v[0:1], off offset:320
.LBB104_788:
	s_or_b64 exec, exec, s[4:5]
.LBB104_789:
	scratch_load_dwordx2 v[0:1], off, off
	s_waitcnt vmcnt(0)
	flat_store_dwordx2 v[2:3], v[0:1]
	scratch_load_dwordx2 v[0:1], off, off offset:8
	s_waitcnt vmcnt(0)
	flat_store_dwordx2 v[4:5], v[0:1]
	scratch_load_dwordx2 v[0:1], off, off offset:16
	;; [unrolled: 3-line block ×40, first 2 shown]
	s_waitcnt vmcnt(0)
	flat_store_dwordx2 v[84:85], v[0:1]
.LBB104_790:
	s_endpgm
	.section	.rodata,"a",@progbits
	.p2align	6, 0x0
	.amdhsa_kernel _ZN9rocsolver6v33100L18trti2_kernel_smallILi41EdPKPdEEv13rocblas_fill_17rocblas_diagonal_T1_iil
		.amdhsa_group_segment_fixed_size 664
		.amdhsa_private_segment_fixed_size 336
		.amdhsa_kernarg_size 32
		.amdhsa_user_sgpr_count 2
		.amdhsa_user_sgpr_dispatch_ptr 0
		.amdhsa_user_sgpr_queue_ptr 0
		.amdhsa_user_sgpr_kernarg_segment_ptr 1
		.amdhsa_user_sgpr_dispatch_id 0
		.amdhsa_user_sgpr_kernarg_preload_length 0
		.amdhsa_user_sgpr_kernarg_preload_offset 0
		.amdhsa_user_sgpr_private_segment_size 0
		.amdhsa_uses_dynamic_stack 0
		.amdhsa_enable_private_segment 1
		.amdhsa_system_sgpr_workgroup_id_x 1
		.amdhsa_system_sgpr_workgroup_id_y 0
		.amdhsa_system_sgpr_workgroup_id_z 0
		.amdhsa_system_sgpr_workgroup_info 0
		.amdhsa_system_vgpr_workitem_id 0
		.amdhsa_next_free_vgpr 96
		.amdhsa_next_free_sgpr 50
		.amdhsa_accum_offset 96
		.amdhsa_reserve_vcc 1
		.amdhsa_float_round_mode_32 0
		.amdhsa_float_round_mode_16_64 0
		.amdhsa_float_denorm_mode_32 3
		.amdhsa_float_denorm_mode_16_64 3
		.amdhsa_dx10_clamp 1
		.amdhsa_ieee_mode 1
		.amdhsa_fp16_overflow 0
		.amdhsa_tg_split 0
		.amdhsa_exception_fp_ieee_invalid_op 0
		.amdhsa_exception_fp_denorm_src 0
		.amdhsa_exception_fp_ieee_div_zero 0
		.amdhsa_exception_fp_ieee_overflow 0
		.amdhsa_exception_fp_ieee_underflow 0
		.amdhsa_exception_fp_ieee_inexact 0
		.amdhsa_exception_int_div_zero 0
	.end_amdhsa_kernel
	.section	.text._ZN9rocsolver6v33100L18trti2_kernel_smallILi41EdPKPdEEv13rocblas_fill_17rocblas_diagonal_T1_iil,"axG",@progbits,_ZN9rocsolver6v33100L18trti2_kernel_smallILi41EdPKPdEEv13rocblas_fill_17rocblas_diagonal_T1_iil,comdat
.Lfunc_end104:
	.size	_ZN9rocsolver6v33100L18trti2_kernel_smallILi41EdPKPdEEv13rocblas_fill_17rocblas_diagonal_T1_iil, .Lfunc_end104-_ZN9rocsolver6v33100L18trti2_kernel_smallILi41EdPKPdEEv13rocblas_fill_17rocblas_diagonal_T1_iil
                                        ; -- End function
	.set _ZN9rocsolver6v33100L18trti2_kernel_smallILi41EdPKPdEEv13rocblas_fill_17rocblas_diagonal_T1_iil.num_vgpr, 96
	.set _ZN9rocsolver6v33100L18trti2_kernel_smallILi41EdPKPdEEv13rocblas_fill_17rocblas_diagonal_T1_iil.num_agpr, 0
	.set _ZN9rocsolver6v33100L18trti2_kernel_smallILi41EdPKPdEEv13rocblas_fill_17rocblas_diagonal_T1_iil.numbered_sgpr, 50
	.set _ZN9rocsolver6v33100L18trti2_kernel_smallILi41EdPKPdEEv13rocblas_fill_17rocblas_diagonal_T1_iil.num_named_barrier, 0
	.set _ZN9rocsolver6v33100L18trti2_kernel_smallILi41EdPKPdEEv13rocblas_fill_17rocblas_diagonal_T1_iil.private_seg_size, 336
	.set _ZN9rocsolver6v33100L18trti2_kernel_smallILi41EdPKPdEEv13rocblas_fill_17rocblas_diagonal_T1_iil.uses_vcc, 1
	.set _ZN9rocsolver6v33100L18trti2_kernel_smallILi41EdPKPdEEv13rocblas_fill_17rocblas_diagonal_T1_iil.uses_flat_scratch, 0
	.set _ZN9rocsolver6v33100L18trti2_kernel_smallILi41EdPKPdEEv13rocblas_fill_17rocblas_diagonal_T1_iil.has_dyn_sized_stack, 0
	.set _ZN9rocsolver6v33100L18trti2_kernel_smallILi41EdPKPdEEv13rocblas_fill_17rocblas_diagonal_T1_iil.has_recursion, 0
	.set _ZN9rocsolver6v33100L18trti2_kernel_smallILi41EdPKPdEEv13rocblas_fill_17rocblas_diagonal_T1_iil.has_indirect_call, 0
	.section	.AMDGPU.csdata,"",@progbits
; Kernel info:
; codeLenInByte = 19848
; TotalNumSgprs: 56
; NumVgprs: 96
; NumAgprs: 0
; TotalNumVgprs: 96
; ScratchSize: 336
; MemoryBound: 0
; FloatMode: 240
; IeeeMode: 1
; LDSByteSize: 664 bytes/workgroup (compile time only)
; SGPRBlocks: 6
; VGPRBlocks: 11
; NumSGPRsForWavesPerEU: 56
; NumVGPRsForWavesPerEU: 96
; AccumOffset: 96
; Occupancy: 5
; WaveLimiterHint : 1
; COMPUTE_PGM_RSRC2:SCRATCH_EN: 1
; COMPUTE_PGM_RSRC2:USER_SGPR: 2
; COMPUTE_PGM_RSRC2:TRAP_HANDLER: 0
; COMPUTE_PGM_RSRC2:TGID_X_EN: 1
; COMPUTE_PGM_RSRC2:TGID_Y_EN: 0
; COMPUTE_PGM_RSRC2:TGID_Z_EN: 0
; COMPUTE_PGM_RSRC2:TIDIG_COMP_CNT: 0
; COMPUTE_PGM_RSRC3_GFX90A:ACCUM_OFFSET: 23
; COMPUTE_PGM_RSRC3_GFX90A:TG_SPLIT: 0
	.section	.text._ZN9rocsolver6v33100L18trti2_kernel_smallILi42EdPKPdEEv13rocblas_fill_17rocblas_diagonal_T1_iil,"axG",@progbits,_ZN9rocsolver6v33100L18trti2_kernel_smallILi42EdPKPdEEv13rocblas_fill_17rocblas_diagonal_T1_iil,comdat
	.globl	_ZN9rocsolver6v33100L18trti2_kernel_smallILi42EdPKPdEEv13rocblas_fill_17rocblas_diagonal_T1_iil ; -- Begin function _ZN9rocsolver6v33100L18trti2_kernel_smallILi42EdPKPdEEv13rocblas_fill_17rocblas_diagonal_T1_iil
	.p2align	8
	.type	_ZN9rocsolver6v33100L18trti2_kernel_smallILi42EdPKPdEEv13rocblas_fill_17rocblas_diagonal_T1_iil,@function
_ZN9rocsolver6v33100L18trti2_kernel_smallILi42EdPKPdEEv13rocblas_fill_17rocblas_diagonal_T1_iil: ; @_ZN9rocsolver6v33100L18trti2_kernel_smallILi42EdPKPdEEv13rocblas_fill_17rocblas_diagonal_T1_iil
; %bb.0:
	v_cmp_gt_u32_e32 vcc, 42, v0
	s_and_saveexec_b64 s[4:5], vcc
	s_cbranch_execz .LBB105_810
; %bb.1:
	s_load_dwordx2 s[8:9], s[0:1], 0x10
	s_load_dwordx4 s[4:7], s[0:1], 0x0
	s_ashr_i32 s3, s2, 31
	s_lshl_b64 s[0:1], s[2:3], 3
	v_lshlrev_b32_e32 v18, 3, v0
	s_waitcnt lgkmcnt(0)
	s_ashr_i32 s3, s8, 31
	s_add_u32 s0, s6, s0
	s_addc_u32 s1, s7, s1
	s_load_dwordx2 s[0:1], s[0:1], 0x0
	s_mov_b32 s2, s8
	s_lshl_b64 s[2:3], s[2:3], 3
	v_mov_b32_e32 v19, 0
	s_waitcnt lgkmcnt(0)
	s_add_u32 s0, s0, s2
	s_addc_u32 s1, s1, s3
	v_lshl_add_u64 v[2:3], s[0:1], 0, v[18:19]
	flat_load_dwordx2 v[6:7], v[2:3]
	s_mov_b32 s2, s9
	s_ashr_i32 s3, s9, 31
	v_lshl_add_u64 v[4:5], s[2:3], 3, v[2:3]
	s_add_i32 s2, s9, s9
	v_add_u32_e32 v10, s2, v0
	v_ashrrev_i32_e32 v11, 31, v10
	s_cmpk_lg_i32 s5, 0x84
	s_cselect_b64 s[6:7], -1, 0
	s_cmpk_eq_i32 s5, 0x84
	s_waitcnt vmcnt(0) lgkmcnt(0)
	scratch_store_dwordx2 off, v[6:7], off
	flat_load_dwordx2 v[8:9], v[4:5]
	v_lshl_add_u64 v[6:7], v[10:11], 3, s[0:1]
	v_add_u32_e32 v10, s9, v10
	v_ashrrev_i32_e32 v11, 31, v10
	v_add_u32_e32 v14, s9, v10
	v_ashrrev_i32_e32 v15, 31, v14
	s_waitcnt vmcnt(0) lgkmcnt(0)
	scratch_store_dwordx2 off, v[8:9], off offset:8
	flat_load_dwordx2 v[12:13], v[6:7]
	v_lshl_add_u64 v[8:9], v[10:11], 3, s[0:1]
	v_lshl_add_u64 v[10:11], v[14:15], 3, s[0:1]
	v_add_u32_e32 v14, s9, v14
	v_ashrrev_i32_e32 v15, 31, v14
	v_add_u32_e32 v20, s9, v14
	v_ashrrev_i32_e32 v21, 31, v20
	s_waitcnt vmcnt(0) lgkmcnt(0)
	scratch_store_dwordx2 off, v[12:13], off offset:16
	flat_load_dwordx2 v[12:13], v[8:9]
	s_waitcnt vmcnt(0) lgkmcnt(0)
	scratch_store_dwordx2 off, v[12:13], off offset:24
	flat_load_dwordx2 v[16:17], v[10:11]
	v_lshl_add_u64 v[12:13], v[14:15], 3, s[0:1]
	v_lshl_add_u64 v[14:15], v[20:21], 3, s[0:1]
	v_add_u32_e32 v20, s9, v20
	v_ashrrev_i32_e32 v21, 31, v20
	v_add_u32_e32 v24, s9, v20
	v_ashrrev_i32_e32 v25, 31, v24
	s_waitcnt vmcnt(0) lgkmcnt(0)
	scratch_store_dwordx2 off, v[16:17], off offset:32
	flat_load_dwordx2 v[16:17], v[12:13]
	;; [unrolled: 12-line block ×18, first 2 shown]
	s_waitcnt vmcnt(0) lgkmcnt(0)
	scratch_store_dwordx2 off, v[82:83], off offset:296
	flat_load_dwordx2 v[86:87], v[80:81]
	v_lshl_add_u64 v[82:83], v[84:85], 3, s[0:1]
	v_lshl_add_u64 v[84:85], v[88:89], 3, s[0:1]
	s_waitcnt vmcnt(0) lgkmcnt(0)
	scratch_store_dwordx2 off, v[86:87], off offset:304
	flat_load_dwordx2 v[86:87], v[82:83]
	s_waitcnt vmcnt(0) lgkmcnt(0)
	scratch_store_dwordx2 off, v[86:87], off offset:312
	flat_load_dwordx2 v[90:91], v[84:85]
	v_add_u32_e32 v86, s9, v88
	v_ashrrev_i32_e32 v87, 31, v86
	v_lshl_add_u64 v[86:87], v[86:87], 3, s[0:1]
	s_waitcnt vmcnt(0) lgkmcnt(0)
	scratch_store_dwordx2 off, v[90:91], off offset:320
	flat_load_dwordx2 v[88:89], v[86:87]
	s_waitcnt vmcnt(0) lgkmcnt(0)
	scratch_store_dwordx2 off, v[88:89], off offset:328
	v_mov_b64_e32 v[88:89], -1.0
	s_cbranch_scc1 .LBB105_3
; %bb.2:
	scratch_load_dwordx2 v[88:89], v18, off
	s_waitcnt vmcnt(0)
	v_div_scale_f64 v[90:91], s[0:1], v[88:89], v[88:89], 1.0
	v_rcp_f64_e32 v[92:93], v[90:91]
	v_div_scale_f64 v[94:95], vcc, 1.0, v[88:89], 1.0
	v_fma_f64 v[96:97], -v[90:91], v[92:93], 1.0
	v_fmac_f64_e32 v[92:93], v[92:93], v[96:97]
	v_fma_f64 v[96:97], -v[90:91], v[92:93], 1.0
	v_fmac_f64_e32 v[92:93], v[92:93], v[96:97]
	v_mul_f64 v[96:97], v[94:95], v[92:93]
	v_fma_f64 v[90:91], -v[90:91], v[96:97], v[94:95]
	v_div_fmas_f64 v[90:91], v[90:91], v[92:93], v[96:97]
	v_div_fixup_f64 v[88:89], v[90:91], v[88:89], 1.0
	scratch_store_dwordx2 v18, v[88:89], off
	v_xor_b32_e32 v89, 0x80000000, v89
.LBB105_3:
	s_cmpk_eq_i32 s4, 0x79
	v_add_u32_e32 v1, 0x150, v18
	v_mov_b32_e32 v19, v18
	s_mov_b64 s[0:1], -1
	ds_write_b64 v18, v[88:89]
	s_cbranch_scc1 .LBB105_407
; %bb.4:
	scratch_load_dwordx2 v[88:89], off, off offset:320
	s_movk_i32 s8, 0x48
	s_movk_i32 s9, 0x50
	;; [unrolled: 1-line block ×31, first 2 shown]
	v_cmp_eq_u32_e64 s[0:1], 41, v0
	s_waitcnt vmcnt(0)
	ds_write_b64 v1, v[88:89]
	s_waitcnt lgkmcnt(0)
	; wave barrier
	s_and_saveexec_b64 s[2:3], s[0:1]
	s_cbranch_execz .LBB105_10
; %bb.5:
	s_and_b64 vcc, exec, s[6:7]
	s_cbranch_vccz .LBB105_7
; %bb.6:
	scratch_load_dwordx2 v[88:89], v19, off
	ds_read_b64 v[90:91], v1
	s_waitcnt vmcnt(0) lgkmcnt(0)
	v_mul_f64 v[88:89], v[88:89], v[90:91]
	s_cbranch_execz .LBB105_8
	s_branch .LBB105_9
.LBB105_7:
                                        ; implicit-def: $vgpr88_vgpr89
.LBB105_8:
	ds_read_b64 v[88:89], v1
.LBB105_9:
	v_mov_b32_e32 v90, 0
	ds_read_b64 v[90:91], v90 offset:320
	s_waitcnt lgkmcnt(0)
	v_mul_f64 v[88:89], v[88:89], v[90:91]
	scratch_store_dwordx2 off, v[88:89], off offset:320
.LBB105_10:
	s_or_b64 exec, exec, s[2:3]
	scratch_load_dwordx2 v[88:89], off, off offset:312
	s_or_b32 s10, 0, 8
	s_mov_b32 s11, 16
	s_mov_b32 s12, 24
	;; [unrolled: 1-line block ×9, first 2 shown]
	v_cmp_lt_u32_e64 s[2:3], 39, v0
	s_waitcnt vmcnt(0)
	ds_write_b64 v1, v[88:89]
	s_waitcnt lgkmcnt(0)
	; wave barrier
	s_and_saveexec_b64 s[4:5], s[2:3]
	s_cbranch_execz .LBB105_16
; %bb.11:
	s_andn2_b64 vcc, exec, s[6:7]
	s_cbranch_vccnz .LBB105_13
; %bb.12:
	scratch_load_dwordx2 v[88:89], v19, off
	ds_read_b64 v[90:91], v1
	s_waitcnt vmcnt(0) lgkmcnt(0)
	v_mul_f64 v[88:89], v[88:89], v[90:91]
	s_cbranch_execz .LBB105_14
	s_branch .LBB105_15
.LBB105_13:
                                        ; implicit-def: $vgpr88_vgpr89
.LBB105_14:
	ds_read_b64 v[88:89], v1
.LBB105_15:
	scratch_load_dwordx2 v[94:95], off, off offset:320
	v_mov_b32_e32 v90, 0
	ds_read2_b64 v[90:93], v90 offset0:39 offset1:82
	s_waitcnt vmcnt(0) lgkmcnt(0)
	v_fma_f64 v[92:93], v[94:95], v[92:93], v[88:89]
	v_cndmask_b32_e64 v89, v89, v93, s[0:1]
	v_cndmask_b32_e64 v88, v88, v92, s[0:1]
	v_mul_f64 v[88:89], v[88:89], v[90:91]
	scratch_store_dwordx2 off, v[88:89], off offset:312
.LBB105_16:
	s_or_b64 exec, exec, s[4:5]
	scratch_load_dwordx2 v[88:89], off, off offset:304
	v_cmp_lt_u32_e64 s[0:1], 38, v0
	s_waitcnt vmcnt(0)
	ds_write_b64 v1, v[88:89]
	s_waitcnt lgkmcnt(0)
	; wave barrier
	s_and_saveexec_b64 s[4:5], s[0:1]
	s_cbranch_execz .LBB105_26
; %bb.17:
	s_andn2_b64 vcc, exec, s[6:7]
	s_cbranch_vccnz .LBB105_19
; %bb.18:
	scratch_load_dwordx2 v[88:89], v19, off
	ds_read_b64 v[90:91], v1
	s_waitcnt vmcnt(0) lgkmcnt(0)
	v_mul_f64 v[88:89], v[88:89], v[90:91]
	s_cbranch_execz .LBB105_20
	s_branch .LBB105_21
.LBB105_19:
                                        ; implicit-def: $vgpr88_vgpr89
.LBB105_20:
	ds_read_b64 v[88:89], v1
.LBB105_21:
	s_and_saveexec_b64 s[8:9], s[2:3]
	s_cbranch_execz .LBB105_25
; %bb.22:
	v_subrev_u32_e32 v90, 39, v0
	s_movk_i32 s50, 0x288
	s_mov_b64 s[2:3], 0
.LBB105_23:                             ; =>This Inner Loop Header: Depth=1
	scratch_load_dwordx2 v[92:93], off, s49
	v_mov_b32_e32 v91, s50
	ds_read_b64 v[94:95], v91
	v_add_u32_e32 v90, -1, v90
	s_add_i32 s50, s50, 8
	s_add_i32 s49, s49, 8
	v_cmp_eq_u32_e32 vcc, 0, v90
	s_or_b64 s[2:3], vcc, s[2:3]
	s_waitcnt vmcnt(0) lgkmcnt(0)
	v_fmac_f64_e32 v[88:89], v[92:93], v[94:95]
	s_andn2_b64 exec, exec, s[2:3]
	s_cbranch_execnz .LBB105_23
; %bb.24:
	s_or_b64 exec, exec, s[2:3]
.LBB105_25:
	s_or_b64 exec, exec, s[8:9]
	v_mov_b32_e32 v90, 0
	ds_read_b64 v[90:91], v90 offset:304
	s_waitcnt lgkmcnt(0)
	v_mul_f64 v[88:89], v[88:89], v[90:91]
	scratch_store_dwordx2 off, v[88:89], off offset:304
.LBB105_26:
	s_or_b64 exec, exec, s[4:5]
	scratch_load_dwordx2 v[88:89], off, off offset:296
	v_cmp_lt_u32_e64 s[2:3], 37, v0
	s_waitcnt vmcnt(0)
	ds_write_b64 v1, v[88:89]
	s_waitcnt lgkmcnt(0)
	; wave barrier
	s_and_saveexec_b64 s[4:5], s[2:3]
	s_cbranch_execz .LBB105_36
; %bb.27:
	s_andn2_b64 vcc, exec, s[6:7]
	s_cbranch_vccnz .LBB105_29
; %bb.28:
	scratch_load_dwordx2 v[88:89], v19, off
	ds_read_b64 v[90:91], v1
	s_waitcnt vmcnt(0) lgkmcnt(0)
	v_mul_f64 v[88:89], v[88:89], v[90:91]
	s_cbranch_execz .LBB105_30
	s_branch .LBB105_31
.LBB105_29:
                                        ; implicit-def: $vgpr88_vgpr89
.LBB105_30:
	ds_read_b64 v[88:89], v1
.LBB105_31:
	s_and_saveexec_b64 s[8:9], s[0:1]
	s_cbranch_execz .LBB105_35
; %bb.32:
	v_subrev_u32_e32 v90, 38, v0
	s_movk_i32 s49, 0x280
	s_mov_b64 s[0:1], 0
.LBB105_33:                             ; =>This Inner Loop Header: Depth=1
	scratch_load_dwordx2 v[92:93], off, s48
	v_mov_b32_e32 v91, s49
	ds_read_b64 v[94:95], v91
	v_add_u32_e32 v90, -1, v90
	s_add_i32 s49, s49, 8
	s_add_i32 s48, s48, 8
	v_cmp_eq_u32_e32 vcc, 0, v90
	s_or_b64 s[0:1], vcc, s[0:1]
	s_waitcnt vmcnt(0) lgkmcnt(0)
	v_fmac_f64_e32 v[88:89], v[92:93], v[94:95]
	s_andn2_b64 exec, exec, s[0:1]
	s_cbranch_execnz .LBB105_33
; %bb.34:
	s_or_b64 exec, exec, s[0:1]
.LBB105_35:
	s_or_b64 exec, exec, s[8:9]
	v_mov_b32_e32 v90, 0
	ds_read_b64 v[90:91], v90 offset:296
	s_waitcnt lgkmcnt(0)
	v_mul_f64 v[88:89], v[88:89], v[90:91]
	scratch_store_dwordx2 off, v[88:89], off offset:296
.LBB105_36:
	;; [unrolled: 53-line block ×8, first 2 shown]
	s_or_b64 exec, exec, s[4:5]
	scratch_load_dwordx2 v[88:89], off, off offset:240
	v_cmp_lt_u32_e64 s[0:1], 30, v0
	s_waitcnt vmcnt(0)
	ds_write_b64 v1, v[88:89]
	s_waitcnt lgkmcnt(0)
	; wave barrier
	s_and_saveexec_b64 s[4:5], s[0:1]
	s_cbranch_execz .LBB105_106
; %bb.97:
	s_andn2_b64 vcc, exec, s[6:7]
	s_cbranch_vccnz .LBB105_99
; %bb.98:
	scratch_load_dwordx2 v[88:89], v19, off
	ds_read_b64 v[90:91], v1
	s_waitcnt vmcnt(0) lgkmcnt(0)
	v_mul_f64 v[88:89], v[88:89], v[90:91]
	s_cbranch_execz .LBB105_100
	s_branch .LBB105_101
.LBB105_99:
                                        ; implicit-def: $vgpr88_vgpr89
.LBB105_100:
	ds_read_b64 v[88:89], v1
.LBB105_101:
	s_and_saveexec_b64 s[8:9], s[2:3]
	s_cbranch_execz .LBB105_105
; %bb.102:
	v_subrev_u32_e32 v90, 31, v0
	s_movk_i32 s42, 0x248
	s_mov_b64 s[2:3], 0
.LBB105_103:                            ; =>This Inner Loop Header: Depth=1
	scratch_load_dwordx2 v[92:93], off, s41
	v_mov_b32_e32 v91, s42
	ds_read_b64 v[94:95], v91
	v_add_u32_e32 v90, -1, v90
	s_add_i32 s42, s42, 8
	s_add_i32 s41, s41, 8
	v_cmp_eq_u32_e32 vcc, 0, v90
	s_or_b64 s[2:3], vcc, s[2:3]
	s_waitcnt vmcnt(0) lgkmcnt(0)
	v_fmac_f64_e32 v[88:89], v[92:93], v[94:95]
	s_andn2_b64 exec, exec, s[2:3]
	s_cbranch_execnz .LBB105_103
; %bb.104:
	s_or_b64 exec, exec, s[2:3]
.LBB105_105:
	s_or_b64 exec, exec, s[8:9]
	v_mov_b32_e32 v90, 0
	ds_read_b64 v[90:91], v90 offset:240
	s_waitcnt lgkmcnt(0)
	v_mul_f64 v[88:89], v[88:89], v[90:91]
	scratch_store_dwordx2 off, v[88:89], off offset:240
.LBB105_106:
	s_or_b64 exec, exec, s[4:5]
	scratch_load_dwordx2 v[88:89], off, off offset:232
	v_cmp_lt_u32_e64 s[2:3], 29, v0
	s_waitcnt vmcnt(0)
	ds_write_b64 v1, v[88:89]
	s_waitcnt lgkmcnt(0)
	; wave barrier
	s_and_saveexec_b64 s[4:5], s[2:3]
	s_cbranch_execz .LBB105_116
; %bb.107:
	s_andn2_b64 vcc, exec, s[6:7]
	s_cbranch_vccnz .LBB105_109
; %bb.108:
	scratch_load_dwordx2 v[88:89], v19, off
	ds_read_b64 v[90:91], v1
	s_waitcnt vmcnt(0) lgkmcnt(0)
	v_mul_f64 v[88:89], v[88:89], v[90:91]
	s_cbranch_execz .LBB105_110
	s_branch .LBB105_111
.LBB105_109:
                                        ; implicit-def: $vgpr88_vgpr89
.LBB105_110:
	ds_read_b64 v[88:89], v1
.LBB105_111:
	s_and_saveexec_b64 s[8:9], s[0:1]
	s_cbranch_execz .LBB105_115
; %bb.112:
	v_subrev_u32_e32 v90, 30, v0
	s_movk_i32 s41, 0x240
	s_mov_b64 s[0:1], 0
.LBB105_113:                            ; =>This Inner Loop Header: Depth=1
	scratch_load_dwordx2 v[92:93], off, s40
	v_mov_b32_e32 v91, s41
	ds_read_b64 v[94:95], v91
	v_add_u32_e32 v90, -1, v90
	s_add_i32 s41, s41, 8
	s_add_i32 s40, s40, 8
	v_cmp_eq_u32_e32 vcc, 0, v90
	s_or_b64 s[0:1], vcc, s[0:1]
	s_waitcnt vmcnt(0) lgkmcnt(0)
	v_fmac_f64_e32 v[88:89], v[92:93], v[94:95]
	s_andn2_b64 exec, exec, s[0:1]
	s_cbranch_execnz .LBB105_113
; %bb.114:
	s_or_b64 exec, exec, s[0:1]
.LBB105_115:
	s_or_b64 exec, exec, s[8:9]
	v_mov_b32_e32 v90, 0
	ds_read_b64 v[90:91], v90 offset:232
	s_waitcnt lgkmcnt(0)
	v_mul_f64 v[88:89], v[88:89], v[90:91]
	scratch_store_dwordx2 off, v[88:89], off offset:232
.LBB105_116:
	;; [unrolled: 53-line block ×15, first 2 shown]
	s_or_b64 exec, exec, s[4:5]
	scratch_load_dwordx2 v[88:89], off, off offset:120
	v_cmp_lt_u32_e64 s[2:3], 15, v0
	s_waitcnt vmcnt(0)
	ds_write_b64 v1, v[88:89]
	s_waitcnt lgkmcnt(0)
	; wave barrier
	s_and_saveexec_b64 s[4:5], s[2:3]
	s_cbranch_execz .LBB105_256
; %bb.247:
	s_andn2_b64 vcc, exec, s[6:7]
	s_cbranch_vccnz .LBB105_249
; %bb.248:
	scratch_load_dwordx2 v[88:89], v19, off
	ds_read_b64 v[90:91], v1
	s_waitcnt vmcnt(0) lgkmcnt(0)
	v_mul_f64 v[88:89], v[88:89], v[90:91]
	s_cbranch_execz .LBB105_250
	s_branch .LBB105_251
.LBB105_249:
                                        ; implicit-def: $vgpr88_vgpr89
.LBB105_250:
	ds_read_b64 v[88:89], v1
.LBB105_251:
	s_and_saveexec_b64 s[8:9], s[0:1]
	s_cbranch_execz .LBB105_255
; %bb.252:
	v_add_u32_e32 v90, -16, v0
	s_movk_i32 s26, 0x1d0
	s_mov_b64 s[0:1], 0
.LBB105_253:                            ; =>This Inner Loop Header: Depth=1
	scratch_load_dwordx2 v[92:93], off, s25
	v_mov_b32_e32 v91, s26
	ds_read_b64 v[94:95], v91
	v_add_u32_e32 v90, -1, v90
	s_add_i32 s26, s26, 8
	s_add_i32 s25, s25, 8
	v_cmp_eq_u32_e32 vcc, 0, v90
	s_or_b64 s[0:1], vcc, s[0:1]
	s_waitcnt vmcnt(0) lgkmcnt(0)
	v_fmac_f64_e32 v[88:89], v[92:93], v[94:95]
	s_andn2_b64 exec, exec, s[0:1]
	s_cbranch_execnz .LBB105_253
; %bb.254:
	s_or_b64 exec, exec, s[0:1]
.LBB105_255:
	s_or_b64 exec, exec, s[8:9]
	v_mov_b32_e32 v90, 0
	ds_read_b64 v[90:91], v90 offset:120
	s_waitcnt lgkmcnt(0)
	v_mul_f64 v[88:89], v[88:89], v[90:91]
	scratch_store_dwordx2 off, v[88:89], off offset:120
.LBB105_256:
	s_or_b64 exec, exec, s[4:5]
	scratch_load_dwordx2 v[88:89], off, off offset:112
	v_cmp_lt_u32_e64 s[0:1], 14, v0
	s_waitcnt vmcnt(0)
	ds_write_b64 v1, v[88:89]
	s_waitcnt lgkmcnt(0)
	; wave barrier
	s_and_saveexec_b64 s[4:5], s[0:1]
	s_cbranch_execz .LBB105_266
; %bb.257:
	s_andn2_b64 vcc, exec, s[6:7]
	s_cbranch_vccnz .LBB105_259
; %bb.258:
	scratch_load_dwordx2 v[88:89], v19, off
	ds_read_b64 v[90:91], v1
	s_waitcnt vmcnt(0) lgkmcnt(0)
	v_mul_f64 v[88:89], v[88:89], v[90:91]
	s_cbranch_execz .LBB105_260
	s_branch .LBB105_261
.LBB105_259:
                                        ; implicit-def: $vgpr88_vgpr89
.LBB105_260:
	ds_read_b64 v[88:89], v1
.LBB105_261:
	s_and_saveexec_b64 s[8:9], s[2:3]
	s_cbranch_execz .LBB105_265
; %bb.262:
	v_add_u32_e32 v90, -15, v0
	s_movk_i32 s25, 0x1c8
	s_mov_b64 s[2:3], 0
.LBB105_263:                            ; =>This Inner Loop Header: Depth=1
	scratch_load_dwordx2 v[92:93], off, s24
	v_mov_b32_e32 v91, s25
	ds_read_b64 v[94:95], v91
	v_add_u32_e32 v90, -1, v90
	s_add_i32 s25, s25, 8
	s_add_i32 s24, s24, 8
	v_cmp_eq_u32_e32 vcc, 0, v90
	s_or_b64 s[2:3], vcc, s[2:3]
	s_waitcnt vmcnt(0) lgkmcnt(0)
	v_fmac_f64_e32 v[88:89], v[92:93], v[94:95]
	s_andn2_b64 exec, exec, s[2:3]
	s_cbranch_execnz .LBB105_263
; %bb.264:
	s_or_b64 exec, exec, s[2:3]
.LBB105_265:
	s_or_b64 exec, exec, s[8:9]
	v_mov_b32_e32 v90, 0
	ds_read_b64 v[90:91], v90 offset:112
	s_waitcnt lgkmcnt(0)
	v_mul_f64 v[88:89], v[88:89], v[90:91]
	scratch_store_dwordx2 off, v[88:89], off offset:112
.LBB105_266:
	;; [unrolled: 53-line block ×15, first 2 shown]
	s_or_b64 exec, exec, s[4:5]
	scratch_load_dwordx2 v[88:89], off, off
	v_cmp_ne_u32_e32 vcc, 0, v0
	s_waitcnt vmcnt(0)
	ds_write_b64 v1, v[88:89]
	s_waitcnt lgkmcnt(0)
	; wave barrier
	s_and_saveexec_b64 s[0:1], vcc
	s_cbranch_execz .LBB105_406
; %bb.397:
	s_andn2_b64 vcc, exec, s[6:7]
	s_cbranch_vccnz .LBB105_399
; %bb.398:
	scratch_load_dwordx2 v[88:89], v19, off
	ds_read_b64 v[90:91], v1
	s_waitcnt vmcnt(0) lgkmcnt(0)
	v_mul_f64 v[88:89], v[88:89], v[90:91]
	s_cbranch_execz .LBB105_400
	s_branch .LBB105_401
.LBB105_399:
                                        ; implicit-def: $vgpr88_vgpr89
.LBB105_400:
	ds_read_b64 v[88:89], v1
.LBB105_401:
	s_and_saveexec_b64 s[4:5], s[2:3]
	s_cbranch_execz .LBB105_405
; %bb.402:
	v_add_u32_e32 v90, -1, v0
	s_movk_i32 s8, 0x158
	s_mov_b64 s[2:3], 0
.LBB105_403:                            ; =>This Inner Loop Header: Depth=1
	scratch_load_dwordx2 v[92:93], off, s10
	v_mov_b32_e32 v91, s8
	ds_read_b64 v[94:95], v91
	v_add_u32_e32 v90, -1, v90
	s_add_i32 s8, s8, 8
	s_add_i32 s10, s10, 8
	v_cmp_eq_u32_e32 vcc, 0, v90
	s_or_b64 s[2:3], vcc, s[2:3]
	s_waitcnt vmcnt(0) lgkmcnt(0)
	v_fmac_f64_e32 v[88:89], v[92:93], v[94:95]
	s_andn2_b64 exec, exec, s[2:3]
	s_cbranch_execnz .LBB105_403
; %bb.404:
	s_or_b64 exec, exec, s[2:3]
.LBB105_405:
	s_or_b64 exec, exec, s[4:5]
	v_mov_b32_e32 v90, 0
	ds_read_b64 v[90:91], v90
	s_waitcnt lgkmcnt(0)
	v_mul_f64 v[88:89], v[88:89], v[90:91]
	scratch_store_dwordx2 off, v[88:89], off
.LBB105_406:
	s_or_b64 exec, exec, s[0:1]
	s_mov_b64 s[0:1], 0
.LBB105_407:
	s_and_b64 vcc, exec, s[0:1]
	s_cbranch_vccz .LBB105_809
; %bb.408:
	scratch_load_dwordx2 v[88:89], off, off offset:8
	v_cmp_eq_u32_e64 s[2:3], 0, v0
	s_waitcnt vmcnt(0)
	ds_write_b64 v1, v[88:89]
	s_waitcnt lgkmcnt(0)
	; wave barrier
	s_and_saveexec_b64 s[0:1], s[2:3]
	s_cbranch_execz .LBB105_414
; %bb.409:
	s_and_b64 vcc, exec, s[6:7]
	s_cbranch_vccz .LBB105_411
; %bb.410:
	scratch_load_dwordx2 v[88:89], v19, off
	ds_read_b64 v[90:91], v1
	s_waitcnt vmcnt(0) lgkmcnt(0)
	v_mul_f64 v[88:89], v[88:89], v[90:91]
	s_cbranch_execz .LBB105_412
	s_branch .LBB105_413
.LBB105_411:
                                        ; implicit-def: $vgpr88_vgpr89
.LBB105_412:
	ds_read_b64 v[88:89], v1
.LBB105_413:
	v_mov_b32_e32 v90, 0
	ds_read_b64 v[90:91], v90 offset:8
	s_waitcnt lgkmcnt(0)
	v_mul_f64 v[88:89], v[88:89], v[90:91]
	scratch_store_dwordx2 off, v[88:89], off offset:8
.LBB105_414:
	s_or_b64 exec, exec, s[0:1]
	scratch_load_dwordx2 v[88:89], off, off offset:16
	v_cndmask_b32_e64 v90, 0, 1, s[6:7]
	v_cmp_gt_u32_e32 vcc, 2, v0
	v_cmp_ne_u32_e64 s[0:1], 1, v90
	s_waitcnt vmcnt(0)
	ds_write_b64 v1, v[88:89]
	s_waitcnt lgkmcnt(0)
	; wave barrier
	s_and_saveexec_b64 s[4:5], vcc
	s_cbranch_execz .LBB105_420
; %bb.415:
	s_and_b64 vcc, exec, s[0:1]
	s_cbranch_vccnz .LBB105_417
; %bb.416:
	scratch_load_dwordx2 v[88:89], v19, off
	ds_read_b64 v[90:91], v1
	s_waitcnt vmcnt(0) lgkmcnt(0)
	v_mul_f64 v[88:89], v[88:89], v[90:91]
	s_cbranch_execz .LBB105_418
	s_branch .LBB105_419
.LBB105_417:
                                        ; implicit-def: $vgpr88_vgpr89
.LBB105_418:
	ds_read_b64 v[88:89], v1
.LBB105_419:
	scratch_load_dwordx2 v[94:95], off, off offset:8
	v_mov_b32_e32 v90, 0
	ds_read2_b64 v[90:93], v90 offset0:2 offset1:43
	s_waitcnt vmcnt(0) lgkmcnt(0)
	v_fma_f64 v[92:93], v[94:95], v[92:93], v[88:89]
	v_cndmask_b32_e64 v89, v89, v93, s[2:3]
	v_cndmask_b32_e64 v88, v88, v92, s[2:3]
	v_mul_f64 v[88:89], v[88:89], v[90:91]
	scratch_store_dwordx2 off, v[88:89], off offset:16
.LBB105_420:
	s_or_b64 exec, exec, s[4:5]
	scratch_load_dwordx2 v[88:89], off, off offset:24
	v_cmp_gt_u32_e32 vcc, 3, v0
	s_waitcnt vmcnt(0)
	ds_write_b64 v1, v[88:89]
	s_waitcnt lgkmcnt(0)
	; wave barrier
	s_and_saveexec_b64 s[4:5], vcc
	s_cbranch_execz .LBB105_428
; %bb.421:
	s_and_b64 vcc, exec, s[0:1]
	s_cbranch_vccnz .LBB105_423
; %bb.422:
	scratch_load_dwordx2 v[88:89], v19, off
	ds_read_b64 v[90:91], v1
	s_waitcnt vmcnt(0) lgkmcnt(0)
	v_mul_f64 v[88:89], v[88:89], v[90:91]
	s_cbranch_execz .LBB105_424
	s_branch .LBB105_425
.LBB105_423:
                                        ; implicit-def: $vgpr88_vgpr89
.LBB105_424:
	ds_read_b64 v[88:89], v1
.LBB105_425:
	v_cmp_ne_u32_e32 vcc, 2, v0
	s_and_saveexec_b64 s[6:7], vcc
	s_cbranch_execz .LBB105_427
; %bb.426:
	scratch_load_dwordx2 v[90:91], v19, off offset:8
	scratch_load_dwordx2 v[92:93], off, off offset:16
	ds_read_b64 v[94:95], v1 offset:8
	v_mov_b32_e32 v96, 0
	ds_read_b64 v[96:97], v96 offset:352
	s_waitcnt vmcnt(1) lgkmcnt(1)
	v_fmac_f64_e32 v[88:89], v[90:91], v[94:95]
	s_waitcnt vmcnt(0) lgkmcnt(0)
	v_fma_f64 v[90:91], v[92:93], v[96:97], v[88:89]
	v_cndmask_b32_e64 v89, v89, v91, s[2:3]
	v_cndmask_b32_e64 v88, v88, v90, s[2:3]
.LBB105_427:
	s_or_b64 exec, exec, s[6:7]
	v_mov_b32_e32 v90, 0
	ds_read_b64 v[90:91], v90 offset:24
	s_waitcnt lgkmcnt(0)
	v_mul_f64 v[88:89], v[88:89], v[90:91]
	scratch_store_dwordx2 off, v[88:89], off offset:24
.LBB105_428:
	s_or_b64 exec, exec, s[4:5]
	scratch_load_dwordx2 v[88:89], off, off offset:32
	v_cmp_gt_u32_e32 vcc, 4, v0
	s_waitcnt vmcnt(0)
	ds_write_b64 v1, v[88:89]
	s_waitcnt lgkmcnt(0)
	; wave barrier
	s_and_saveexec_b64 s[2:3], vcc
	s_cbranch_execz .LBB105_438
; %bb.429:
	s_and_b64 vcc, exec, s[0:1]
	s_cbranch_vccnz .LBB105_431
; %bb.430:
	scratch_load_dwordx2 v[88:89], v19, off
	ds_read_b64 v[90:91], v1
	s_waitcnt vmcnt(0) lgkmcnt(0)
	v_mul_f64 v[88:89], v[88:89], v[90:91]
	s_cbranch_execz .LBB105_432
	s_branch .LBB105_433
.LBB105_431:
                                        ; implicit-def: $vgpr88_vgpr89
.LBB105_432:
	ds_read_b64 v[88:89], v1
.LBB105_433:
	v_cmp_ne_u32_e32 vcc, 3, v0
	s_and_saveexec_b64 s[4:5], vcc
	s_cbranch_execz .LBB105_437
; %bb.434:
	s_mov_b32 s6, 0
	v_add_u32_e32 v90, 0x158, v18
	v_add3_u32 v91, v18, s6, 8
	s_mov_b64 s[6:7], 0
	v_mov_b32_e32 v92, v0
.LBB105_435:                            ; =>This Inner Loop Header: Depth=1
	scratch_load_dwordx2 v[94:95], v91, off
	ds_read_b64 v[96:97], v90
	v_add_u32_e32 v92, 1, v92
	v_cmp_lt_u32_e32 vcc, 2, v92
	v_add_u32_e32 v90, 8, v90
	v_add_u32_e32 v91, 8, v91
	s_or_b64 s[6:7], vcc, s[6:7]
	s_waitcnt vmcnt(0) lgkmcnt(0)
	v_fmac_f64_e32 v[88:89], v[94:95], v[96:97]
	s_andn2_b64 exec, exec, s[6:7]
	s_cbranch_execnz .LBB105_435
; %bb.436:
	s_or_b64 exec, exec, s[6:7]
.LBB105_437:
	s_or_b64 exec, exec, s[4:5]
	v_mov_b32_e32 v90, 0
	ds_read_b64 v[90:91], v90 offset:32
	s_waitcnt lgkmcnt(0)
	v_mul_f64 v[88:89], v[88:89], v[90:91]
	scratch_store_dwordx2 off, v[88:89], off offset:32
.LBB105_438:
	s_or_b64 exec, exec, s[2:3]
	scratch_load_dwordx2 v[88:89], off, off offset:40
	v_cmp_gt_u32_e32 vcc, 5, v0
	s_waitcnt vmcnt(0)
	ds_write_b64 v1, v[88:89]
	s_waitcnt lgkmcnt(0)
	; wave barrier
	s_and_saveexec_b64 s[2:3], vcc
	s_cbranch_execz .LBB105_448
; %bb.439:
	s_and_b64 vcc, exec, s[0:1]
	s_cbranch_vccnz .LBB105_441
; %bb.440:
	scratch_load_dwordx2 v[88:89], v19, off
	ds_read_b64 v[90:91], v1
	s_waitcnt vmcnt(0) lgkmcnt(0)
	v_mul_f64 v[88:89], v[88:89], v[90:91]
	s_cbranch_execz .LBB105_442
	s_branch .LBB105_443
.LBB105_441:
                                        ; implicit-def: $vgpr88_vgpr89
.LBB105_442:
	ds_read_b64 v[88:89], v1
.LBB105_443:
	v_cmp_ne_u32_e32 vcc, 4, v0
	s_and_saveexec_b64 s[4:5], vcc
	s_cbranch_execz .LBB105_447
; %bb.444:
	s_mov_b32 s6, 0
	v_add_u32_e32 v90, 0x158, v18
	v_add3_u32 v91, v18, s6, 8
	s_mov_b64 s[6:7], 0
	v_mov_b32_e32 v92, v0
.LBB105_445:                            ; =>This Inner Loop Header: Depth=1
	scratch_load_dwordx2 v[94:95], v91, off
	ds_read_b64 v[96:97], v90
	v_add_u32_e32 v92, 1, v92
	v_cmp_lt_u32_e32 vcc, 3, v92
	v_add_u32_e32 v90, 8, v90
	v_add_u32_e32 v91, 8, v91
	s_or_b64 s[6:7], vcc, s[6:7]
	s_waitcnt vmcnt(0) lgkmcnt(0)
	v_fmac_f64_e32 v[88:89], v[94:95], v[96:97]
	s_andn2_b64 exec, exec, s[6:7]
	s_cbranch_execnz .LBB105_445
; %bb.446:
	s_or_b64 exec, exec, s[6:7]
.LBB105_447:
	s_or_b64 exec, exec, s[4:5]
	v_mov_b32_e32 v90, 0
	ds_read_b64 v[90:91], v90 offset:40
	s_waitcnt lgkmcnt(0)
	v_mul_f64 v[88:89], v[88:89], v[90:91]
	scratch_store_dwordx2 off, v[88:89], off offset:40
.LBB105_448:
	;; [unrolled: 55-line block ×36, first 2 shown]
	s_or_b64 exec, exec, s[2:3]
	scratch_load_dwordx2 v[88:89], off, off offset:320
	v_cmp_gt_u32_e64 s[2:3], 40, v0
	s_waitcnt vmcnt(0)
	ds_write_b64 v1, v[88:89]
	s_waitcnt lgkmcnt(0)
	; wave barrier
	s_and_saveexec_b64 s[4:5], s[2:3]
	s_cbranch_execz .LBB105_798
; %bb.789:
	s_and_b64 vcc, exec, s[0:1]
	s_cbranch_vccnz .LBB105_791
; %bb.790:
	scratch_load_dwordx2 v[88:89], v19, off
	ds_read_b64 v[90:91], v1
	s_waitcnt vmcnt(0) lgkmcnt(0)
	v_mul_f64 v[88:89], v[88:89], v[90:91]
	s_cbranch_execz .LBB105_792
	s_branch .LBB105_793
.LBB105_791:
                                        ; implicit-def: $vgpr88_vgpr89
.LBB105_792:
	ds_read_b64 v[88:89], v1
.LBB105_793:
	v_cmp_ne_u32_e32 vcc, 39, v0
	s_and_saveexec_b64 s[6:7], vcc
	s_cbranch_execz .LBB105_797
; %bb.794:
	s_mov_b32 s8, 0
	v_add_u32_e32 v90, 0x158, v18
	v_add3_u32 v91, v18, s8, 8
	s_mov_b64 s[8:9], 0
	v_mov_b32_e32 v92, v0
.LBB105_795:                            ; =>This Inner Loop Header: Depth=1
	scratch_load_dwordx2 v[94:95], v91, off
	ds_read_b64 v[96:97], v90
	v_add_u32_e32 v92, 1, v92
	v_cmp_lt_u32_e32 vcc, 38, v92
	v_add_u32_e32 v90, 8, v90
	v_add_u32_e32 v91, 8, v91
	s_or_b64 s[8:9], vcc, s[8:9]
	s_waitcnt vmcnt(0) lgkmcnt(0)
	v_fmac_f64_e32 v[88:89], v[94:95], v[96:97]
	s_andn2_b64 exec, exec, s[8:9]
	s_cbranch_execnz .LBB105_795
; %bb.796:
	s_or_b64 exec, exec, s[8:9]
.LBB105_797:
	s_or_b64 exec, exec, s[6:7]
	v_mov_b32_e32 v90, 0
	ds_read_b64 v[90:91], v90 offset:320
	s_waitcnt lgkmcnt(0)
	v_mul_f64 v[88:89], v[88:89], v[90:91]
	scratch_store_dwordx2 off, v[88:89], off offset:320
.LBB105_798:
	s_or_b64 exec, exec, s[4:5]
	scratch_load_dwordx2 v[88:89], off, off offset:328
	v_cmp_ne_u32_e32 vcc, 41, v0
	s_waitcnt vmcnt(0)
	ds_write_b64 v1, v[88:89]
	s_waitcnt lgkmcnt(0)
	; wave barrier
	s_and_saveexec_b64 s[4:5], vcc
	s_cbranch_execz .LBB105_808
; %bb.799:
	s_and_b64 vcc, exec, s[0:1]
	s_cbranch_vccnz .LBB105_801
; %bb.800:
	scratch_load_dwordx2 v[88:89], v19, off
	ds_read_b64 v[90:91], v1
	s_waitcnt vmcnt(0) lgkmcnt(0)
	v_mul_f64 v[88:89], v[88:89], v[90:91]
	s_cbranch_execz .LBB105_802
	s_branch .LBB105_803
.LBB105_801:
                                        ; implicit-def: $vgpr88_vgpr89
.LBB105_802:
	ds_read_b64 v[88:89], v1
.LBB105_803:
	s_and_saveexec_b64 s[0:1], s[2:3]
	s_cbranch_execz .LBB105_807
; %bb.804:
	s_mov_b32 s2, 0
	v_add_u32_e32 v1, 0x158, v18
	v_add3_u32 v18, v18, s2, 8
	s_mov_b64 s[2:3], 0
.LBB105_805:                            ; =>This Inner Loop Header: Depth=1
	scratch_load_dwordx2 v[90:91], v18, off
	ds_read_b64 v[92:93], v1
	v_add_u32_e32 v0, 1, v0
	v_cmp_lt_u32_e32 vcc, 39, v0
	v_add_u32_e32 v1, 8, v1
	v_add_u32_e32 v18, 8, v18
	s_or_b64 s[2:3], vcc, s[2:3]
	s_waitcnt vmcnt(0) lgkmcnt(0)
	v_fmac_f64_e32 v[88:89], v[90:91], v[92:93]
	s_andn2_b64 exec, exec, s[2:3]
	s_cbranch_execnz .LBB105_805
; %bb.806:
	s_or_b64 exec, exec, s[2:3]
.LBB105_807:
	s_or_b64 exec, exec, s[0:1]
	v_mov_b32_e32 v0, 0
	ds_read_b64 v[0:1], v0 offset:328
	s_waitcnt lgkmcnt(0)
	v_mul_f64 v[0:1], v[88:89], v[0:1]
	scratch_store_dwordx2 off, v[0:1], off offset:328
.LBB105_808:
	s_or_b64 exec, exec, s[4:5]
.LBB105_809:
	scratch_load_dwordx2 v[0:1], off, off
	s_waitcnt vmcnt(0)
	flat_store_dwordx2 v[2:3], v[0:1]
	scratch_load_dwordx2 v[0:1], off, off offset:8
	s_waitcnt vmcnt(0)
	flat_store_dwordx2 v[4:5], v[0:1]
	scratch_load_dwordx2 v[0:1], off, off offset:16
	;; [unrolled: 3-line block ×41, first 2 shown]
	s_waitcnt vmcnt(0)
	flat_store_dwordx2 v[86:87], v[0:1]
.LBB105_810:
	s_endpgm
	.section	.rodata,"a",@progbits
	.p2align	6, 0x0
	.amdhsa_kernel _ZN9rocsolver6v33100L18trti2_kernel_smallILi42EdPKPdEEv13rocblas_fill_17rocblas_diagonal_T1_iil
		.amdhsa_group_segment_fixed_size 672
		.amdhsa_private_segment_fixed_size 352
		.amdhsa_kernarg_size 32
		.amdhsa_user_sgpr_count 2
		.amdhsa_user_sgpr_dispatch_ptr 0
		.amdhsa_user_sgpr_queue_ptr 0
		.amdhsa_user_sgpr_kernarg_segment_ptr 1
		.amdhsa_user_sgpr_dispatch_id 0
		.amdhsa_user_sgpr_kernarg_preload_length 0
		.amdhsa_user_sgpr_kernarg_preload_offset 0
		.amdhsa_user_sgpr_private_segment_size 0
		.amdhsa_uses_dynamic_stack 0
		.amdhsa_enable_private_segment 1
		.amdhsa_system_sgpr_workgroup_id_x 1
		.amdhsa_system_sgpr_workgroup_id_y 0
		.amdhsa_system_sgpr_workgroup_id_z 0
		.amdhsa_system_sgpr_workgroup_info 0
		.amdhsa_system_vgpr_workitem_id 0
		.amdhsa_next_free_vgpr 98
		.amdhsa_next_free_sgpr 51
		.amdhsa_accum_offset 100
		.amdhsa_reserve_vcc 1
		.amdhsa_float_round_mode_32 0
		.amdhsa_float_round_mode_16_64 0
		.amdhsa_float_denorm_mode_32 3
		.amdhsa_float_denorm_mode_16_64 3
		.amdhsa_dx10_clamp 1
		.amdhsa_ieee_mode 1
		.amdhsa_fp16_overflow 0
		.amdhsa_tg_split 0
		.amdhsa_exception_fp_ieee_invalid_op 0
		.amdhsa_exception_fp_denorm_src 0
		.amdhsa_exception_fp_ieee_div_zero 0
		.amdhsa_exception_fp_ieee_overflow 0
		.amdhsa_exception_fp_ieee_underflow 0
		.amdhsa_exception_fp_ieee_inexact 0
		.amdhsa_exception_int_div_zero 0
	.end_amdhsa_kernel
	.section	.text._ZN9rocsolver6v33100L18trti2_kernel_smallILi42EdPKPdEEv13rocblas_fill_17rocblas_diagonal_T1_iil,"axG",@progbits,_ZN9rocsolver6v33100L18trti2_kernel_smallILi42EdPKPdEEv13rocblas_fill_17rocblas_diagonal_T1_iil,comdat
.Lfunc_end105:
	.size	_ZN9rocsolver6v33100L18trti2_kernel_smallILi42EdPKPdEEv13rocblas_fill_17rocblas_diagonal_T1_iil, .Lfunc_end105-_ZN9rocsolver6v33100L18trti2_kernel_smallILi42EdPKPdEEv13rocblas_fill_17rocblas_diagonal_T1_iil
                                        ; -- End function
	.set _ZN9rocsolver6v33100L18trti2_kernel_smallILi42EdPKPdEEv13rocblas_fill_17rocblas_diagonal_T1_iil.num_vgpr, 98
	.set _ZN9rocsolver6v33100L18trti2_kernel_smallILi42EdPKPdEEv13rocblas_fill_17rocblas_diagonal_T1_iil.num_agpr, 0
	.set _ZN9rocsolver6v33100L18trti2_kernel_smallILi42EdPKPdEEv13rocblas_fill_17rocblas_diagonal_T1_iil.numbered_sgpr, 51
	.set _ZN9rocsolver6v33100L18trti2_kernel_smallILi42EdPKPdEEv13rocblas_fill_17rocblas_diagonal_T1_iil.num_named_barrier, 0
	.set _ZN9rocsolver6v33100L18trti2_kernel_smallILi42EdPKPdEEv13rocblas_fill_17rocblas_diagonal_T1_iil.private_seg_size, 352
	.set _ZN9rocsolver6v33100L18trti2_kernel_smallILi42EdPKPdEEv13rocblas_fill_17rocblas_diagonal_T1_iil.uses_vcc, 1
	.set _ZN9rocsolver6v33100L18trti2_kernel_smallILi42EdPKPdEEv13rocblas_fill_17rocblas_diagonal_T1_iil.uses_flat_scratch, 0
	.set _ZN9rocsolver6v33100L18trti2_kernel_smallILi42EdPKPdEEv13rocblas_fill_17rocblas_diagonal_T1_iil.has_dyn_sized_stack, 0
	.set _ZN9rocsolver6v33100L18trti2_kernel_smallILi42EdPKPdEEv13rocblas_fill_17rocblas_diagonal_T1_iil.has_recursion, 0
	.set _ZN9rocsolver6v33100L18trti2_kernel_smallILi42EdPKPdEEv13rocblas_fill_17rocblas_diagonal_T1_iil.has_indirect_call, 0
	.section	.AMDGPU.csdata,"",@progbits
; Kernel info:
; codeLenInByte = 20344
; TotalNumSgprs: 57
; NumVgprs: 98
; NumAgprs: 0
; TotalNumVgprs: 98
; ScratchSize: 352
; MemoryBound: 0
; FloatMode: 240
; IeeeMode: 1
; LDSByteSize: 672 bytes/workgroup (compile time only)
; SGPRBlocks: 7
; VGPRBlocks: 12
; NumSGPRsForWavesPerEU: 57
; NumVGPRsForWavesPerEU: 98
; AccumOffset: 100
; Occupancy: 4
; WaveLimiterHint : 1
; COMPUTE_PGM_RSRC2:SCRATCH_EN: 1
; COMPUTE_PGM_RSRC2:USER_SGPR: 2
; COMPUTE_PGM_RSRC2:TRAP_HANDLER: 0
; COMPUTE_PGM_RSRC2:TGID_X_EN: 1
; COMPUTE_PGM_RSRC2:TGID_Y_EN: 0
; COMPUTE_PGM_RSRC2:TGID_Z_EN: 0
; COMPUTE_PGM_RSRC2:TIDIG_COMP_CNT: 0
; COMPUTE_PGM_RSRC3_GFX90A:ACCUM_OFFSET: 24
; COMPUTE_PGM_RSRC3_GFX90A:TG_SPLIT: 0
	.section	.text._ZN9rocsolver6v33100L18trti2_kernel_smallILi43EdPKPdEEv13rocblas_fill_17rocblas_diagonal_T1_iil,"axG",@progbits,_ZN9rocsolver6v33100L18trti2_kernel_smallILi43EdPKPdEEv13rocblas_fill_17rocblas_diagonal_T1_iil,comdat
	.globl	_ZN9rocsolver6v33100L18trti2_kernel_smallILi43EdPKPdEEv13rocblas_fill_17rocblas_diagonal_T1_iil ; -- Begin function _ZN9rocsolver6v33100L18trti2_kernel_smallILi43EdPKPdEEv13rocblas_fill_17rocblas_diagonal_T1_iil
	.p2align	8
	.type	_ZN9rocsolver6v33100L18trti2_kernel_smallILi43EdPKPdEEv13rocblas_fill_17rocblas_diagonal_T1_iil,@function
_ZN9rocsolver6v33100L18trti2_kernel_smallILi43EdPKPdEEv13rocblas_fill_17rocblas_diagonal_T1_iil: ; @_ZN9rocsolver6v33100L18trti2_kernel_smallILi43EdPKPdEEv13rocblas_fill_17rocblas_diagonal_T1_iil
; %bb.0:
	v_cmp_gt_u32_e32 vcc, 43, v0
	s_and_saveexec_b64 s[4:5], vcc
	s_cbranch_execz .LBB106_830
; %bb.1:
	s_load_dwordx2 s[8:9], s[0:1], 0x10
	s_load_dwordx4 s[4:7], s[0:1], 0x0
	s_ashr_i32 s3, s2, 31
	s_lshl_b64 s[0:1], s[2:3], 3
	v_lshlrev_b32_e32 v18, 3, v0
	s_waitcnt lgkmcnt(0)
	s_ashr_i32 s3, s8, 31
	s_add_u32 s0, s6, s0
	s_addc_u32 s1, s7, s1
	s_load_dwordx2 s[0:1], s[0:1], 0x0
	s_mov_b32 s2, s8
	s_lshl_b64 s[2:3], s[2:3], 3
	v_mov_b32_e32 v19, 0
	s_waitcnt lgkmcnt(0)
	s_add_u32 s0, s0, s2
	s_addc_u32 s1, s1, s3
	v_lshl_add_u64 v[2:3], s[0:1], 0, v[18:19]
	flat_load_dwordx2 v[6:7], v[2:3]
	s_mov_b32 s2, s9
	s_ashr_i32 s3, s9, 31
	v_lshl_add_u64 v[4:5], s[2:3], 3, v[2:3]
	s_add_i32 s2, s9, s9
	v_add_u32_e32 v10, s2, v0
	v_ashrrev_i32_e32 v11, 31, v10
	s_cmpk_lg_i32 s5, 0x84
	s_cselect_b64 s[6:7], -1, 0
	s_cmpk_eq_i32 s5, 0x84
	s_waitcnt vmcnt(0) lgkmcnt(0)
	scratch_store_dwordx2 off, v[6:7], off
	flat_load_dwordx2 v[8:9], v[4:5]
	v_lshl_add_u64 v[6:7], v[10:11], 3, s[0:1]
	v_add_u32_e32 v10, s9, v10
	v_ashrrev_i32_e32 v11, 31, v10
	v_add_u32_e32 v14, s9, v10
	v_ashrrev_i32_e32 v15, 31, v14
	s_waitcnt vmcnt(0) lgkmcnt(0)
	scratch_store_dwordx2 off, v[8:9], off offset:8
	flat_load_dwordx2 v[12:13], v[6:7]
	v_lshl_add_u64 v[8:9], v[10:11], 3, s[0:1]
	v_lshl_add_u64 v[10:11], v[14:15], 3, s[0:1]
	v_add_u32_e32 v14, s9, v14
	v_ashrrev_i32_e32 v15, 31, v14
	v_add_u32_e32 v20, s9, v14
	v_ashrrev_i32_e32 v21, 31, v20
	s_waitcnt vmcnt(0) lgkmcnt(0)
	scratch_store_dwordx2 off, v[12:13], off offset:16
	flat_load_dwordx2 v[12:13], v[8:9]
	s_waitcnt vmcnt(0) lgkmcnt(0)
	scratch_store_dwordx2 off, v[12:13], off offset:24
	flat_load_dwordx2 v[16:17], v[10:11]
	v_lshl_add_u64 v[12:13], v[14:15], 3, s[0:1]
	v_lshl_add_u64 v[14:15], v[20:21], 3, s[0:1]
	v_add_u32_e32 v20, s9, v20
	v_ashrrev_i32_e32 v21, 31, v20
	v_add_u32_e32 v24, s9, v20
	v_ashrrev_i32_e32 v25, 31, v24
	s_waitcnt vmcnt(0) lgkmcnt(0)
	scratch_store_dwordx2 off, v[16:17], off offset:32
	flat_load_dwordx2 v[16:17], v[12:13]
	;; [unrolled: 12-line block ×18, first 2 shown]
	s_waitcnt vmcnt(0) lgkmcnt(0)
	scratch_store_dwordx2 off, v[82:83], off offset:296
	flat_load_dwordx2 v[86:87], v[80:81]
	v_lshl_add_u64 v[82:83], v[84:85], 3, s[0:1]
	v_lshl_add_u64 v[84:85], v[88:89], 3, s[0:1]
	v_add_u32_e32 v88, s9, v88
	v_ashrrev_i32_e32 v89, 31, v88
	s_waitcnt vmcnt(0) lgkmcnt(0)
	scratch_store_dwordx2 off, v[86:87], off offset:304
	flat_load_dwordx2 v[86:87], v[82:83]
	s_waitcnt vmcnt(0) lgkmcnt(0)
	scratch_store_dwordx2 off, v[86:87], off offset:312
	flat_load_dwordx2 v[90:91], v[84:85]
	v_lshl_add_u64 v[86:87], v[88:89], 3, s[0:1]
	v_add_u32_e32 v88, s9, v88
	v_ashrrev_i32_e32 v89, 31, v88
	v_lshl_add_u64 v[88:89], v[88:89], 3, s[0:1]
	s_waitcnt vmcnt(0) lgkmcnt(0)
	scratch_store_dwordx2 off, v[90:91], off offset:320
	flat_load_dwordx2 v[90:91], v[86:87]
	s_waitcnt vmcnt(0) lgkmcnt(0)
	scratch_store_dwordx2 off, v[90:91], off offset:328
	flat_load_dwordx2 v[90:91], v[88:89]
	s_waitcnt vmcnt(0) lgkmcnt(0)
	scratch_store_dwordx2 off, v[90:91], off offset:336
	v_mov_b64_e32 v[90:91], -1.0
	s_cbranch_scc1 .LBB106_3
; %bb.2:
	scratch_load_dwordx2 v[90:91], v18, off
	s_waitcnt vmcnt(0)
	v_div_scale_f64 v[92:93], s[0:1], v[90:91], v[90:91], 1.0
	v_rcp_f64_e32 v[94:95], v[92:93]
	v_div_scale_f64 v[96:97], vcc, 1.0, v[90:91], 1.0
	v_fma_f64 v[98:99], -v[92:93], v[94:95], 1.0
	v_fmac_f64_e32 v[94:95], v[94:95], v[98:99]
	v_fma_f64 v[98:99], -v[92:93], v[94:95], 1.0
	v_fmac_f64_e32 v[94:95], v[94:95], v[98:99]
	v_mul_f64 v[98:99], v[96:97], v[94:95]
	v_fma_f64 v[92:93], -v[92:93], v[98:99], v[96:97]
	v_div_fmas_f64 v[92:93], v[92:93], v[94:95], v[98:99]
	v_div_fixup_f64 v[90:91], v[92:93], v[90:91], 1.0
	scratch_store_dwordx2 v18, v[90:91], off
	v_xor_b32_e32 v91, 0x80000000, v91
.LBB106_3:
	s_cmpk_eq_i32 s4, 0x79
	v_add_u32_e32 v1, 0x160, v18
	v_mov_b32_e32 v19, v18
	s_mov_b64 s[0:1], -1
	ds_write_b64 v18, v[90:91]
	s_cbranch_scc1 .LBB106_417
; %bb.4:
	scratch_load_dwordx2 v[90:91], off, off offset:328
	s_movk_i32 s8, 0x48
	s_movk_i32 s9, 0x50
	;; [unrolled: 1-line block ×32, first 2 shown]
	v_cmp_eq_u32_e64 s[0:1], 42, v0
	s_waitcnt vmcnt(0)
	ds_write_b64 v1, v[90:91]
	s_waitcnt lgkmcnt(0)
	; wave barrier
	s_and_saveexec_b64 s[2:3], s[0:1]
	s_cbranch_execz .LBB106_10
; %bb.5:
	s_and_b64 vcc, exec, s[6:7]
	s_cbranch_vccz .LBB106_7
; %bb.6:
	scratch_load_dwordx2 v[90:91], v19, off
	ds_read_b64 v[92:93], v1
	s_waitcnt vmcnt(0) lgkmcnt(0)
	v_mul_f64 v[90:91], v[90:91], v[92:93]
	s_cbranch_execz .LBB106_8
	s_branch .LBB106_9
.LBB106_7:
                                        ; implicit-def: $vgpr90_vgpr91
.LBB106_8:
	ds_read_b64 v[90:91], v1
.LBB106_9:
	v_mov_b32_e32 v92, 0
	ds_read_b64 v[92:93], v92 offset:328
	s_waitcnt lgkmcnt(0)
	v_mul_f64 v[90:91], v[90:91], v[92:93]
	scratch_store_dwordx2 off, v[90:91], off offset:328
.LBB106_10:
	s_or_b64 exec, exec, s[2:3]
	scratch_load_dwordx2 v[90:91], off, off offset:320
	s_or_b32 s10, 0, 8
	s_mov_b32 s11, 16
	s_mov_b32 s12, 24
	;; [unrolled: 1-line block ×9, first 2 shown]
	v_cmp_lt_u32_e64 s[2:3], 40, v0
	s_waitcnt vmcnt(0)
	ds_write_b64 v1, v[90:91]
	s_waitcnt lgkmcnt(0)
	; wave barrier
	s_and_saveexec_b64 s[4:5], s[2:3]
	s_cbranch_execz .LBB106_16
; %bb.11:
	s_andn2_b64 vcc, exec, s[6:7]
	s_cbranch_vccnz .LBB106_13
; %bb.12:
	scratch_load_dwordx2 v[90:91], v19, off
	ds_read_b64 v[92:93], v1
	s_waitcnt vmcnt(0) lgkmcnt(0)
	v_mul_f64 v[90:91], v[90:91], v[92:93]
	s_cbranch_execz .LBB106_14
	s_branch .LBB106_15
.LBB106_13:
                                        ; implicit-def: $vgpr90_vgpr91
.LBB106_14:
	ds_read_b64 v[90:91], v1
.LBB106_15:
	scratch_load_dwordx2 v[96:97], off, off offset:328
	v_mov_b32_e32 v92, 0
	ds_read2_b64 v[92:95], v92 offset0:40 offset1:85
	s_waitcnt vmcnt(0) lgkmcnt(0)
	v_fma_f64 v[94:95], v[96:97], v[94:95], v[90:91]
	v_cndmask_b32_e64 v91, v91, v95, s[0:1]
	v_cndmask_b32_e64 v90, v90, v94, s[0:1]
	v_mul_f64 v[90:91], v[90:91], v[92:93]
	scratch_store_dwordx2 off, v[90:91], off offset:320
.LBB106_16:
	s_or_b64 exec, exec, s[4:5]
	scratch_load_dwordx2 v[90:91], off, off offset:312
	v_cmp_lt_u32_e64 s[0:1], 39, v0
	s_waitcnt vmcnt(0)
	ds_write_b64 v1, v[90:91]
	s_waitcnt lgkmcnt(0)
	; wave barrier
	s_and_saveexec_b64 s[4:5], s[0:1]
	s_cbranch_execz .LBB106_26
; %bb.17:
	s_andn2_b64 vcc, exec, s[6:7]
	s_cbranch_vccnz .LBB106_19
; %bb.18:
	scratch_load_dwordx2 v[90:91], v19, off
	ds_read_b64 v[92:93], v1
	s_waitcnt vmcnt(0) lgkmcnt(0)
	v_mul_f64 v[90:91], v[90:91], v[92:93]
	s_cbranch_execz .LBB106_20
	s_branch .LBB106_21
.LBB106_19:
                                        ; implicit-def: $vgpr90_vgpr91
.LBB106_20:
	ds_read_b64 v[90:91], v1
.LBB106_21:
	s_and_saveexec_b64 s[8:9], s[2:3]
	s_cbranch_execz .LBB106_25
; %bb.22:
	v_subrev_u32_e32 v92, 40, v0
	s_movk_i32 s51, 0x2a0
	s_mov_b64 s[2:3], 0
.LBB106_23:                             ; =>This Inner Loop Header: Depth=1
	scratch_load_dwordx2 v[94:95], off, s50
	v_mov_b32_e32 v93, s51
	ds_read_b64 v[96:97], v93
	v_add_u32_e32 v92, -1, v92
	s_add_i32 s51, s51, 8
	s_add_i32 s50, s50, 8
	v_cmp_eq_u32_e32 vcc, 0, v92
	s_or_b64 s[2:3], vcc, s[2:3]
	s_waitcnt vmcnt(0) lgkmcnt(0)
	v_fmac_f64_e32 v[90:91], v[94:95], v[96:97]
	s_andn2_b64 exec, exec, s[2:3]
	s_cbranch_execnz .LBB106_23
; %bb.24:
	s_or_b64 exec, exec, s[2:3]
.LBB106_25:
	s_or_b64 exec, exec, s[8:9]
	v_mov_b32_e32 v92, 0
	ds_read_b64 v[92:93], v92 offset:312
	s_waitcnt lgkmcnt(0)
	v_mul_f64 v[90:91], v[90:91], v[92:93]
	scratch_store_dwordx2 off, v[90:91], off offset:312
.LBB106_26:
	s_or_b64 exec, exec, s[4:5]
	scratch_load_dwordx2 v[90:91], off, off offset:304
	v_cmp_lt_u32_e64 s[2:3], 38, v0
	s_waitcnt vmcnt(0)
	ds_write_b64 v1, v[90:91]
	s_waitcnt lgkmcnt(0)
	; wave barrier
	s_and_saveexec_b64 s[4:5], s[2:3]
	s_cbranch_execz .LBB106_36
; %bb.27:
	s_andn2_b64 vcc, exec, s[6:7]
	s_cbranch_vccnz .LBB106_29
; %bb.28:
	scratch_load_dwordx2 v[90:91], v19, off
	ds_read_b64 v[92:93], v1
	s_waitcnt vmcnt(0) lgkmcnt(0)
	v_mul_f64 v[90:91], v[90:91], v[92:93]
	s_cbranch_execz .LBB106_30
	s_branch .LBB106_31
.LBB106_29:
                                        ; implicit-def: $vgpr90_vgpr91
.LBB106_30:
	ds_read_b64 v[90:91], v1
.LBB106_31:
	s_and_saveexec_b64 s[8:9], s[0:1]
	s_cbranch_execz .LBB106_35
; %bb.32:
	v_subrev_u32_e32 v92, 39, v0
	s_movk_i32 s50, 0x298
	s_mov_b64 s[0:1], 0
.LBB106_33:                             ; =>This Inner Loop Header: Depth=1
	scratch_load_dwordx2 v[94:95], off, s49
	v_mov_b32_e32 v93, s50
	ds_read_b64 v[96:97], v93
	v_add_u32_e32 v92, -1, v92
	s_add_i32 s50, s50, 8
	s_add_i32 s49, s49, 8
	v_cmp_eq_u32_e32 vcc, 0, v92
	s_or_b64 s[0:1], vcc, s[0:1]
	s_waitcnt vmcnt(0) lgkmcnt(0)
	v_fmac_f64_e32 v[90:91], v[94:95], v[96:97]
	s_andn2_b64 exec, exec, s[0:1]
	s_cbranch_execnz .LBB106_33
; %bb.34:
	s_or_b64 exec, exec, s[0:1]
.LBB106_35:
	s_or_b64 exec, exec, s[8:9]
	v_mov_b32_e32 v92, 0
	ds_read_b64 v[92:93], v92 offset:304
	s_waitcnt lgkmcnt(0)
	v_mul_f64 v[90:91], v[90:91], v[92:93]
	scratch_store_dwordx2 off, v[90:91], off offset:304
.LBB106_36:
	;; [unrolled: 53-line block ×8, first 2 shown]
	s_or_b64 exec, exec, s[4:5]
	scratch_load_dwordx2 v[90:91], off, off offset:248
	v_cmp_lt_u32_e64 s[0:1], 31, v0
	s_waitcnt vmcnt(0)
	ds_write_b64 v1, v[90:91]
	s_waitcnt lgkmcnt(0)
	; wave barrier
	s_and_saveexec_b64 s[4:5], s[0:1]
	s_cbranch_execz .LBB106_106
; %bb.97:
	s_andn2_b64 vcc, exec, s[6:7]
	s_cbranch_vccnz .LBB106_99
; %bb.98:
	scratch_load_dwordx2 v[90:91], v19, off
	ds_read_b64 v[92:93], v1
	s_waitcnt vmcnt(0) lgkmcnt(0)
	v_mul_f64 v[90:91], v[90:91], v[92:93]
	s_cbranch_execz .LBB106_100
	s_branch .LBB106_101
.LBB106_99:
                                        ; implicit-def: $vgpr90_vgpr91
.LBB106_100:
	ds_read_b64 v[90:91], v1
.LBB106_101:
	s_and_saveexec_b64 s[8:9], s[2:3]
	s_cbranch_execz .LBB106_105
; %bb.102:
	v_subrev_u32_e32 v92, 32, v0
	s_movk_i32 s43, 0x260
	s_mov_b64 s[2:3], 0
.LBB106_103:                            ; =>This Inner Loop Header: Depth=1
	scratch_load_dwordx2 v[94:95], off, s42
	v_mov_b32_e32 v93, s43
	ds_read_b64 v[96:97], v93
	v_add_u32_e32 v92, -1, v92
	s_add_i32 s43, s43, 8
	s_add_i32 s42, s42, 8
	v_cmp_eq_u32_e32 vcc, 0, v92
	s_or_b64 s[2:3], vcc, s[2:3]
	s_waitcnt vmcnt(0) lgkmcnt(0)
	v_fmac_f64_e32 v[90:91], v[94:95], v[96:97]
	s_andn2_b64 exec, exec, s[2:3]
	s_cbranch_execnz .LBB106_103
; %bb.104:
	s_or_b64 exec, exec, s[2:3]
.LBB106_105:
	s_or_b64 exec, exec, s[8:9]
	v_mov_b32_e32 v92, 0
	ds_read_b64 v[92:93], v92 offset:248
	s_waitcnt lgkmcnt(0)
	v_mul_f64 v[90:91], v[90:91], v[92:93]
	scratch_store_dwordx2 off, v[90:91], off offset:248
.LBB106_106:
	s_or_b64 exec, exec, s[4:5]
	scratch_load_dwordx2 v[90:91], off, off offset:240
	v_cmp_lt_u32_e64 s[2:3], 30, v0
	s_waitcnt vmcnt(0)
	ds_write_b64 v1, v[90:91]
	s_waitcnt lgkmcnt(0)
	; wave barrier
	s_and_saveexec_b64 s[4:5], s[2:3]
	s_cbranch_execz .LBB106_116
; %bb.107:
	s_andn2_b64 vcc, exec, s[6:7]
	s_cbranch_vccnz .LBB106_109
; %bb.108:
	scratch_load_dwordx2 v[90:91], v19, off
	ds_read_b64 v[92:93], v1
	s_waitcnt vmcnt(0) lgkmcnt(0)
	v_mul_f64 v[90:91], v[90:91], v[92:93]
	s_cbranch_execz .LBB106_110
	s_branch .LBB106_111
.LBB106_109:
                                        ; implicit-def: $vgpr90_vgpr91
.LBB106_110:
	ds_read_b64 v[90:91], v1
.LBB106_111:
	s_and_saveexec_b64 s[8:9], s[0:1]
	s_cbranch_execz .LBB106_115
; %bb.112:
	v_subrev_u32_e32 v92, 31, v0
	s_movk_i32 s42, 0x258
	s_mov_b64 s[0:1], 0
.LBB106_113:                            ; =>This Inner Loop Header: Depth=1
	scratch_load_dwordx2 v[94:95], off, s41
	v_mov_b32_e32 v93, s42
	ds_read_b64 v[96:97], v93
	v_add_u32_e32 v92, -1, v92
	s_add_i32 s42, s42, 8
	s_add_i32 s41, s41, 8
	v_cmp_eq_u32_e32 vcc, 0, v92
	s_or_b64 s[0:1], vcc, s[0:1]
	s_waitcnt vmcnt(0) lgkmcnt(0)
	v_fmac_f64_e32 v[90:91], v[94:95], v[96:97]
	s_andn2_b64 exec, exec, s[0:1]
	s_cbranch_execnz .LBB106_113
; %bb.114:
	s_or_b64 exec, exec, s[0:1]
.LBB106_115:
	s_or_b64 exec, exec, s[8:9]
	v_mov_b32_e32 v92, 0
	ds_read_b64 v[92:93], v92 offset:240
	s_waitcnt lgkmcnt(0)
	v_mul_f64 v[90:91], v[90:91], v[92:93]
	scratch_store_dwordx2 off, v[90:91], off offset:240
.LBB106_116:
	;; [unrolled: 53-line block ×16, first 2 shown]
	s_or_b64 exec, exec, s[4:5]
	scratch_load_dwordx2 v[90:91], off, off offset:120
	v_cmp_lt_u32_e64 s[0:1], 15, v0
	s_waitcnt vmcnt(0)
	ds_write_b64 v1, v[90:91]
	s_waitcnt lgkmcnt(0)
	; wave barrier
	s_and_saveexec_b64 s[4:5], s[0:1]
	s_cbranch_execz .LBB106_266
; %bb.257:
	s_andn2_b64 vcc, exec, s[6:7]
	s_cbranch_vccnz .LBB106_259
; %bb.258:
	scratch_load_dwordx2 v[90:91], v19, off
	ds_read_b64 v[92:93], v1
	s_waitcnt vmcnt(0) lgkmcnt(0)
	v_mul_f64 v[90:91], v[90:91], v[92:93]
	s_cbranch_execz .LBB106_260
	s_branch .LBB106_261
.LBB106_259:
                                        ; implicit-def: $vgpr90_vgpr91
.LBB106_260:
	ds_read_b64 v[90:91], v1
.LBB106_261:
	s_and_saveexec_b64 s[8:9], s[2:3]
	s_cbranch_execz .LBB106_265
; %bb.262:
	v_add_u32_e32 v92, -16, v0
	s_movk_i32 s26, 0x1e0
	s_mov_b64 s[2:3], 0
.LBB106_263:                            ; =>This Inner Loop Header: Depth=1
	scratch_load_dwordx2 v[94:95], off, s25
	v_mov_b32_e32 v93, s26
	ds_read_b64 v[96:97], v93
	v_add_u32_e32 v92, -1, v92
	s_add_i32 s26, s26, 8
	s_add_i32 s25, s25, 8
	v_cmp_eq_u32_e32 vcc, 0, v92
	s_or_b64 s[2:3], vcc, s[2:3]
	s_waitcnt vmcnt(0) lgkmcnt(0)
	v_fmac_f64_e32 v[90:91], v[94:95], v[96:97]
	s_andn2_b64 exec, exec, s[2:3]
	s_cbranch_execnz .LBB106_263
; %bb.264:
	s_or_b64 exec, exec, s[2:3]
.LBB106_265:
	s_or_b64 exec, exec, s[8:9]
	v_mov_b32_e32 v92, 0
	ds_read_b64 v[92:93], v92 offset:120
	s_waitcnt lgkmcnt(0)
	v_mul_f64 v[90:91], v[90:91], v[92:93]
	scratch_store_dwordx2 off, v[90:91], off offset:120
.LBB106_266:
	s_or_b64 exec, exec, s[4:5]
	scratch_load_dwordx2 v[90:91], off, off offset:112
	v_cmp_lt_u32_e64 s[2:3], 14, v0
	s_waitcnt vmcnt(0)
	ds_write_b64 v1, v[90:91]
	s_waitcnt lgkmcnt(0)
	; wave barrier
	s_and_saveexec_b64 s[4:5], s[2:3]
	s_cbranch_execz .LBB106_276
; %bb.267:
	s_andn2_b64 vcc, exec, s[6:7]
	s_cbranch_vccnz .LBB106_269
; %bb.268:
	scratch_load_dwordx2 v[90:91], v19, off
	ds_read_b64 v[92:93], v1
	s_waitcnt vmcnt(0) lgkmcnt(0)
	v_mul_f64 v[90:91], v[90:91], v[92:93]
	s_cbranch_execz .LBB106_270
	s_branch .LBB106_271
.LBB106_269:
                                        ; implicit-def: $vgpr90_vgpr91
.LBB106_270:
	ds_read_b64 v[90:91], v1
.LBB106_271:
	s_and_saveexec_b64 s[8:9], s[0:1]
	s_cbranch_execz .LBB106_275
; %bb.272:
	v_add_u32_e32 v92, -15, v0
	s_movk_i32 s25, 0x1d8
	s_mov_b64 s[0:1], 0
.LBB106_273:                            ; =>This Inner Loop Header: Depth=1
	scratch_load_dwordx2 v[94:95], off, s24
	v_mov_b32_e32 v93, s25
	ds_read_b64 v[96:97], v93
	v_add_u32_e32 v92, -1, v92
	s_add_i32 s25, s25, 8
	s_add_i32 s24, s24, 8
	v_cmp_eq_u32_e32 vcc, 0, v92
	s_or_b64 s[0:1], vcc, s[0:1]
	s_waitcnt vmcnt(0) lgkmcnt(0)
	v_fmac_f64_e32 v[90:91], v[94:95], v[96:97]
	s_andn2_b64 exec, exec, s[0:1]
	s_cbranch_execnz .LBB106_273
; %bb.274:
	s_or_b64 exec, exec, s[0:1]
.LBB106_275:
	s_or_b64 exec, exec, s[8:9]
	v_mov_b32_e32 v92, 0
	ds_read_b64 v[92:93], v92 offset:112
	s_waitcnt lgkmcnt(0)
	v_mul_f64 v[90:91], v[90:91], v[92:93]
	scratch_store_dwordx2 off, v[90:91], off offset:112
.LBB106_276:
	;; [unrolled: 53-line block ×15, first 2 shown]
	s_or_b64 exec, exec, s[4:5]
	scratch_load_dwordx2 v[90:91], off, off
	v_cmp_ne_u32_e32 vcc, 0, v0
	s_waitcnt vmcnt(0)
	ds_write_b64 v1, v[90:91]
	s_waitcnt lgkmcnt(0)
	; wave barrier
	s_and_saveexec_b64 s[2:3], vcc
	s_cbranch_execz .LBB106_416
; %bb.407:
	s_andn2_b64 vcc, exec, s[6:7]
	s_cbranch_vccnz .LBB106_409
; %bb.408:
	scratch_load_dwordx2 v[90:91], v19, off
	ds_read_b64 v[92:93], v1
	s_waitcnt vmcnt(0) lgkmcnt(0)
	v_mul_f64 v[90:91], v[90:91], v[92:93]
	s_cbranch_execz .LBB106_410
	s_branch .LBB106_411
.LBB106_409:
                                        ; implicit-def: $vgpr90_vgpr91
.LBB106_410:
	ds_read_b64 v[90:91], v1
.LBB106_411:
	s_and_saveexec_b64 s[4:5], s[0:1]
	s_cbranch_execz .LBB106_415
; %bb.412:
	v_add_u32_e32 v92, -1, v0
	s_movk_i32 s8, 0x168
	s_mov_b64 s[0:1], 0
.LBB106_413:                            ; =>This Inner Loop Header: Depth=1
	scratch_load_dwordx2 v[94:95], off, s10
	v_mov_b32_e32 v93, s8
	ds_read_b64 v[96:97], v93
	v_add_u32_e32 v92, -1, v92
	s_add_i32 s8, s8, 8
	s_add_i32 s10, s10, 8
	v_cmp_eq_u32_e32 vcc, 0, v92
	s_or_b64 s[0:1], vcc, s[0:1]
	s_waitcnt vmcnt(0) lgkmcnt(0)
	v_fmac_f64_e32 v[90:91], v[94:95], v[96:97]
	s_andn2_b64 exec, exec, s[0:1]
	s_cbranch_execnz .LBB106_413
; %bb.414:
	s_or_b64 exec, exec, s[0:1]
.LBB106_415:
	s_or_b64 exec, exec, s[4:5]
	v_mov_b32_e32 v92, 0
	ds_read_b64 v[92:93], v92
	s_waitcnt lgkmcnt(0)
	v_mul_f64 v[90:91], v[90:91], v[92:93]
	scratch_store_dwordx2 off, v[90:91], off
.LBB106_416:
	s_or_b64 exec, exec, s[2:3]
	s_mov_b64 s[0:1], 0
.LBB106_417:
	s_and_b64 vcc, exec, s[0:1]
	s_cbranch_vccz .LBB106_829
; %bb.418:
	scratch_load_dwordx2 v[90:91], off, off offset:8
	v_cmp_eq_u32_e64 s[2:3], 0, v0
	s_waitcnt vmcnt(0)
	ds_write_b64 v1, v[90:91]
	s_waitcnt lgkmcnt(0)
	; wave barrier
	s_and_saveexec_b64 s[0:1], s[2:3]
	s_cbranch_execz .LBB106_424
; %bb.419:
	s_and_b64 vcc, exec, s[6:7]
	s_cbranch_vccz .LBB106_421
; %bb.420:
	scratch_load_dwordx2 v[90:91], v19, off
	ds_read_b64 v[92:93], v1
	s_waitcnt vmcnt(0) lgkmcnt(0)
	v_mul_f64 v[90:91], v[90:91], v[92:93]
	s_cbranch_execz .LBB106_422
	s_branch .LBB106_423
.LBB106_421:
                                        ; implicit-def: $vgpr90_vgpr91
.LBB106_422:
	ds_read_b64 v[90:91], v1
.LBB106_423:
	v_mov_b32_e32 v92, 0
	ds_read_b64 v[92:93], v92 offset:8
	s_waitcnt lgkmcnt(0)
	v_mul_f64 v[90:91], v[90:91], v[92:93]
	scratch_store_dwordx2 off, v[90:91], off offset:8
.LBB106_424:
	s_or_b64 exec, exec, s[0:1]
	scratch_load_dwordx2 v[90:91], off, off offset:16
	v_cndmask_b32_e64 v92, 0, 1, s[6:7]
	v_cmp_gt_u32_e32 vcc, 2, v0
	v_cmp_ne_u32_e64 s[0:1], 1, v92
	s_waitcnt vmcnt(0)
	ds_write_b64 v1, v[90:91]
	s_waitcnt lgkmcnt(0)
	; wave barrier
	s_and_saveexec_b64 s[4:5], vcc
	s_cbranch_execz .LBB106_430
; %bb.425:
	s_and_b64 vcc, exec, s[0:1]
	s_cbranch_vccnz .LBB106_427
; %bb.426:
	scratch_load_dwordx2 v[90:91], v19, off
	ds_read_b64 v[92:93], v1
	s_waitcnt vmcnt(0) lgkmcnt(0)
	v_mul_f64 v[90:91], v[90:91], v[92:93]
	s_cbranch_execz .LBB106_428
	s_branch .LBB106_429
.LBB106_427:
                                        ; implicit-def: $vgpr90_vgpr91
.LBB106_428:
	ds_read_b64 v[90:91], v1
.LBB106_429:
	scratch_load_dwordx2 v[96:97], off, off offset:8
	v_mov_b32_e32 v92, 0
	ds_read2_b64 v[92:95], v92 offset0:2 offset1:45
	s_waitcnt vmcnt(0) lgkmcnt(0)
	v_fma_f64 v[94:95], v[96:97], v[94:95], v[90:91]
	v_cndmask_b32_e64 v91, v91, v95, s[2:3]
	v_cndmask_b32_e64 v90, v90, v94, s[2:3]
	v_mul_f64 v[90:91], v[90:91], v[92:93]
	scratch_store_dwordx2 off, v[90:91], off offset:16
.LBB106_430:
	s_or_b64 exec, exec, s[4:5]
	scratch_load_dwordx2 v[90:91], off, off offset:24
	v_cmp_gt_u32_e32 vcc, 3, v0
	s_waitcnt vmcnt(0)
	ds_write_b64 v1, v[90:91]
	s_waitcnt lgkmcnt(0)
	; wave barrier
	s_and_saveexec_b64 s[4:5], vcc
	s_cbranch_execz .LBB106_438
; %bb.431:
	s_and_b64 vcc, exec, s[0:1]
	s_cbranch_vccnz .LBB106_433
; %bb.432:
	scratch_load_dwordx2 v[90:91], v19, off
	ds_read_b64 v[92:93], v1
	s_waitcnt vmcnt(0) lgkmcnt(0)
	v_mul_f64 v[90:91], v[90:91], v[92:93]
	s_cbranch_execz .LBB106_434
	s_branch .LBB106_435
.LBB106_433:
                                        ; implicit-def: $vgpr90_vgpr91
.LBB106_434:
	ds_read_b64 v[90:91], v1
.LBB106_435:
	v_cmp_ne_u32_e32 vcc, 2, v0
	s_and_saveexec_b64 s[6:7], vcc
	s_cbranch_execz .LBB106_437
; %bb.436:
	scratch_load_dwordx2 v[92:93], v19, off offset:8
	scratch_load_dwordx2 v[94:95], off, off offset:16
	ds_read_b64 v[96:97], v1 offset:8
	v_mov_b32_e32 v98, 0
	ds_read_b64 v[98:99], v98 offset:368
	s_waitcnt vmcnt(1) lgkmcnt(1)
	v_fmac_f64_e32 v[90:91], v[92:93], v[96:97]
	s_waitcnt vmcnt(0) lgkmcnt(0)
	v_fma_f64 v[92:93], v[94:95], v[98:99], v[90:91]
	v_cndmask_b32_e64 v91, v91, v93, s[2:3]
	v_cndmask_b32_e64 v90, v90, v92, s[2:3]
.LBB106_437:
	s_or_b64 exec, exec, s[6:7]
	v_mov_b32_e32 v92, 0
	ds_read_b64 v[92:93], v92 offset:24
	s_waitcnt lgkmcnt(0)
	v_mul_f64 v[90:91], v[90:91], v[92:93]
	scratch_store_dwordx2 off, v[90:91], off offset:24
.LBB106_438:
	s_or_b64 exec, exec, s[4:5]
	scratch_load_dwordx2 v[90:91], off, off offset:32
	v_cmp_gt_u32_e32 vcc, 4, v0
	s_waitcnt vmcnt(0)
	ds_write_b64 v1, v[90:91]
	s_waitcnt lgkmcnt(0)
	; wave barrier
	s_and_saveexec_b64 s[2:3], vcc
	s_cbranch_execz .LBB106_448
; %bb.439:
	s_and_b64 vcc, exec, s[0:1]
	s_cbranch_vccnz .LBB106_441
; %bb.440:
	scratch_load_dwordx2 v[90:91], v19, off
	ds_read_b64 v[92:93], v1
	s_waitcnt vmcnt(0) lgkmcnt(0)
	v_mul_f64 v[90:91], v[90:91], v[92:93]
	s_cbranch_execz .LBB106_442
	s_branch .LBB106_443
.LBB106_441:
                                        ; implicit-def: $vgpr90_vgpr91
.LBB106_442:
	ds_read_b64 v[90:91], v1
.LBB106_443:
	v_cmp_ne_u32_e32 vcc, 3, v0
	s_and_saveexec_b64 s[4:5], vcc
	s_cbranch_execz .LBB106_447
; %bb.444:
	s_mov_b32 s6, 0
	v_add_u32_e32 v92, 0x168, v18
	v_add3_u32 v93, v18, s6, 8
	s_mov_b64 s[6:7], 0
	v_mov_b32_e32 v94, v0
.LBB106_445:                            ; =>This Inner Loop Header: Depth=1
	scratch_load_dwordx2 v[96:97], v93, off
	ds_read_b64 v[98:99], v92
	v_add_u32_e32 v94, 1, v94
	v_cmp_lt_u32_e32 vcc, 2, v94
	v_add_u32_e32 v92, 8, v92
	v_add_u32_e32 v93, 8, v93
	s_or_b64 s[6:7], vcc, s[6:7]
	s_waitcnt vmcnt(0) lgkmcnt(0)
	v_fmac_f64_e32 v[90:91], v[96:97], v[98:99]
	s_andn2_b64 exec, exec, s[6:7]
	s_cbranch_execnz .LBB106_445
; %bb.446:
	s_or_b64 exec, exec, s[6:7]
.LBB106_447:
	s_or_b64 exec, exec, s[4:5]
	v_mov_b32_e32 v92, 0
	ds_read_b64 v[92:93], v92 offset:32
	s_waitcnt lgkmcnt(0)
	v_mul_f64 v[90:91], v[90:91], v[92:93]
	scratch_store_dwordx2 off, v[90:91], off offset:32
.LBB106_448:
	s_or_b64 exec, exec, s[2:3]
	scratch_load_dwordx2 v[90:91], off, off offset:40
	v_cmp_gt_u32_e32 vcc, 5, v0
	s_waitcnt vmcnt(0)
	ds_write_b64 v1, v[90:91]
	s_waitcnt lgkmcnt(0)
	; wave barrier
	s_and_saveexec_b64 s[2:3], vcc
	s_cbranch_execz .LBB106_458
; %bb.449:
	s_and_b64 vcc, exec, s[0:1]
	s_cbranch_vccnz .LBB106_451
; %bb.450:
	scratch_load_dwordx2 v[90:91], v19, off
	ds_read_b64 v[92:93], v1
	s_waitcnt vmcnt(0) lgkmcnt(0)
	v_mul_f64 v[90:91], v[90:91], v[92:93]
	s_cbranch_execz .LBB106_452
	s_branch .LBB106_453
.LBB106_451:
                                        ; implicit-def: $vgpr90_vgpr91
.LBB106_452:
	ds_read_b64 v[90:91], v1
.LBB106_453:
	v_cmp_ne_u32_e32 vcc, 4, v0
	s_and_saveexec_b64 s[4:5], vcc
	s_cbranch_execz .LBB106_457
; %bb.454:
	s_mov_b32 s6, 0
	v_add_u32_e32 v92, 0x168, v18
	v_add3_u32 v93, v18, s6, 8
	s_mov_b64 s[6:7], 0
	v_mov_b32_e32 v94, v0
.LBB106_455:                            ; =>This Inner Loop Header: Depth=1
	scratch_load_dwordx2 v[96:97], v93, off
	ds_read_b64 v[98:99], v92
	v_add_u32_e32 v94, 1, v94
	v_cmp_lt_u32_e32 vcc, 3, v94
	v_add_u32_e32 v92, 8, v92
	v_add_u32_e32 v93, 8, v93
	s_or_b64 s[6:7], vcc, s[6:7]
	s_waitcnt vmcnt(0) lgkmcnt(0)
	v_fmac_f64_e32 v[90:91], v[96:97], v[98:99]
	s_andn2_b64 exec, exec, s[6:7]
	s_cbranch_execnz .LBB106_455
; %bb.456:
	s_or_b64 exec, exec, s[6:7]
.LBB106_457:
	s_or_b64 exec, exec, s[4:5]
	v_mov_b32_e32 v92, 0
	ds_read_b64 v[92:93], v92 offset:40
	s_waitcnt lgkmcnt(0)
	v_mul_f64 v[90:91], v[90:91], v[92:93]
	scratch_store_dwordx2 off, v[90:91], off offset:40
.LBB106_458:
	;; [unrolled: 55-line block ×37, first 2 shown]
	s_or_b64 exec, exec, s[2:3]
	scratch_load_dwordx2 v[90:91], off, off offset:328
	v_cmp_gt_u32_e64 s[2:3], 41, v0
	s_waitcnt vmcnt(0)
	ds_write_b64 v1, v[90:91]
	s_waitcnt lgkmcnt(0)
	; wave barrier
	s_and_saveexec_b64 s[4:5], s[2:3]
	s_cbranch_execz .LBB106_818
; %bb.809:
	s_and_b64 vcc, exec, s[0:1]
	s_cbranch_vccnz .LBB106_811
; %bb.810:
	scratch_load_dwordx2 v[90:91], v19, off
	ds_read_b64 v[92:93], v1
	s_waitcnt vmcnt(0) lgkmcnt(0)
	v_mul_f64 v[90:91], v[90:91], v[92:93]
	s_cbranch_execz .LBB106_812
	s_branch .LBB106_813
.LBB106_811:
                                        ; implicit-def: $vgpr90_vgpr91
.LBB106_812:
	ds_read_b64 v[90:91], v1
.LBB106_813:
	v_cmp_ne_u32_e32 vcc, 40, v0
	s_and_saveexec_b64 s[6:7], vcc
	s_cbranch_execz .LBB106_817
; %bb.814:
	s_mov_b32 s8, 0
	v_add_u32_e32 v92, 0x168, v18
	v_add3_u32 v93, v18, s8, 8
	s_mov_b64 s[8:9], 0
	v_mov_b32_e32 v94, v0
.LBB106_815:                            ; =>This Inner Loop Header: Depth=1
	scratch_load_dwordx2 v[96:97], v93, off
	ds_read_b64 v[98:99], v92
	v_add_u32_e32 v94, 1, v94
	v_cmp_lt_u32_e32 vcc, 39, v94
	v_add_u32_e32 v92, 8, v92
	v_add_u32_e32 v93, 8, v93
	s_or_b64 s[8:9], vcc, s[8:9]
	s_waitcnt vmcnt(0) lgkmcnt(0)
	v_fmac_f64_e32 v[90:91], v[96:97], v[98:99]
	s_andn2_b64 exec, exec, s[8:9]
	s_cbranch_execnz .LBB106_815
; %bb.816:
	s_or_b64 exec, exec, s[8:9]
.LBB106_817:
	s_or_b64 exec, exec, s[6:7]
	v_mov_b32_e32 v92, 0
	ds_read_b64 v[92:93], v92 offset:328
	s_waitcnt lgkmcnt(0)
	v_mul_f64 v[90:91], v[90:91], v[92:93]
	scratch_store_dwordx2 off, v[90:91], off offset:328
.LBB106_818:
	s_or_b64 exec, exec, s[4:5]
	scratch_load_dwordx2 v[90:91], off, off offset:336
	v_cmp_ne_u32_e32 vcc, 42, v0
	s_waitcnt vmcnt(0)
	ds_write_b64 v1, v[90:91]
	s_waitcnt lgkmcnt(0)
	; wave barrier
	s_and_saveexec_b64 s[4:5], vcc
	s_cbranch_execz .LBB106_828
; %bb.819:
	s_and_b64 vcc, exec, s[0:1]
	s_cbranch_vccnz .LBB106_821
; %bb.820:
	scratch_load_dwordx2 v[90:91], v19, off
	ds_read_b64 v[92:93], v1
	s_waitcnt vmcnt(0) lgkmcnt(0)
	v_mul_f64 v[90:91], v[90:91], v[92:93]
	s_cbranch_execz .LBB106_822
	s_branch .LBB106_823
.LBB106_821:
                                        ; implicit-def: $vgpr90_vgpr91
.LBB106_822:
	ds_read_b64 v[90:91], v1
.LBB106_823:
	s_and_saveexec_b64 s[0:1], s[2:3]
	s_cbranch_execz .LBB106_827
; %bb.824:
	s_mov_b32 s2, 0
	v_add_u32_e32 v1, 0x168, v18
	v_add3_u32 v18, v18, s2, 8
	s_mov_b64 s[2:3], 0
.LBB106_825:                            ; =>This Inner Loop Header: Depth=1
	scratch_load_dwordx2 v[92:93], v18, off
	ds_read_b64 v[94:95], v1
	v_add_u32_e32 v0, 1, v0
	v_cmp_lt_u32_e32 vcc, 40, v0
	v_add_u32_e32 v1, 8, v1
	v_add_u32_e32 v18, 8, v18
	s_or_b64 s[2:3], vcc, s[2:3]
	s_waitcnt vmcnt(0) lgkmcnt(0)
	v_fmac_f64_e32 v[90:91], v[92:93], v[94:95]
	s_andn2_b64 exec, exec, s[2:3]
	s_cbranch_execnz .LBB106_825
; %bb.826:
	s_or_b64 exec, exec, s[2:3]
.LBB106_827:
	s_or_b64 exec, exec, s[0:1]
	v_mov_b32_e32 v0, 0
	ds_read_b64 v[0:1], v0 offset:336
	s_waitcnt lgkmcnt(0)
	v_mul_f64 v[0:1], v[90:91], v[0:1]
	scratch_store_dwordx2 off, v[0:1], off offset:336
.LBB106_828:
	s_or_b64 exec, exec, s[4:5]
.LBB106_829:
	scratch_load_dwordx2 v[0:1], off, off
	s_waitcnt vmcnt(0)
	flat_store_dwordx2 v[2:3], v[0:1]
	scratch_load_dwordx2 v[0:1], off, off offset:8
	s_waitcnt vmcnt(0)
	flat_store_dwordx2 v[4:5], v[0:1]
	scratch_load_dwordx2 v[0:1], off, off offset:16
	;; [unrolled: 3-line block ×42, first 2 shown]
	s_waitcnt vmcnt(0)
	flat_store_dwordx2 v[88:89], v[0:1]
.LBB106_830:
	s_endpgm
	.section	.rodata,"a",@progbits
	.p2align	6, 0x0
	.amdhsa_kernel _ZN9rocsolver6v33100L18trti2_kernel_smallILi43EdPKPdEEv13rocblas_fill_17rocblas_diagonal_T1_iil
		.amdhsa_group_segment_fixed_size 696
		.amdhsa_private_segment_fixed_size 352
		.amdhsa_kernarg_size 32
		.amdhsa_user_sgpr_count 2
		.amdhsa_user_sgpr_dispatch_ptr 0
		.amdhsa_user_sgpr_queue_ptr 0
		.amdhsa_user_sgpr_kernarg_segment_ptr 1
		.amdhsa_user_sgpr_dispatch_id 0
		.amdhsa_user_sgpr_kernarg_preload_length 0
		.amdhsa_user_sgpr_kernarg_preload_offset 0
		.amdhsa_user_sgpr_private_segment_size 0
		.amdhsa_uses_dynamic_stack 0
		.amdhsa_enable_private_segment 1
		.amdhsa_system_sgpr_workgroup_id_x 1
		.amdhsa_system_sgpr_workgroup_id_y 0
		.amdhsa_system_sgpr_workgroup_id_z 0
		.amdhsa_system_sgpr_workgroup_info 0
		.amdhsa_system_vgpr_workitem_id 0
		.amdhsa_next_free_vgpr 100
		.amdhsa_next_free_sgpr 52
		.amdhsa_accum_offset 100
		.amdhsa_reserve_vcc 1
		.amdhsa_float_round_mode_32 0
		.amdhsa_float_round_mode_16_64 0
		.amdhsa_float_denorm_mode_32 3
		.amdhsa_float_denorm_mode_16_64 3
		.amdhsa_dx10_clamp 1
		.amdhsa_ieee_mode 1
		.amdhsa_fp16_overflow 0
		.amdhsa_tg_split 0
		.amdhsa_exception_fp_ieee_invalid_op 0
		.amdhsa_exception_fp_denorm_src 0
		.amdhsa_exception_fp_ieee_div_zero 0
		.amdhsa_exception_fp_ieee_overflow 0
		.amdhsa_exception_fp_ieee_underflow 0
		.amdhsa_exception_fp_ieee_inexact 0
		.amdhsa_exception_int_div_zero 0
	.end_amdhsa_kernel
	.section	.text._ZN9rocsolver6v33100L18trti2_kernel_smallILi43EdPKPdEEv13rocblas_fill_17rocblas_diagonal_T1_iil,"axG",@progbits,_ZN9rocsolver6v33100L18trti2_kernel_smallILi43EdPKPdEEv13rocblas_fill_17rocblas_diagonal_T1_iil,comdat
.Lfunc_end106:
	.size	_ZN9rocsolver6v33100L18trti2_kernel_smallILi43EdPKPdEEv13rocblas_fill_17rocblas_diagonal_T1_iil, .Lfunc_end106-_ZN9rocsolver6v33100L18trti2_kernel_smallILi43EdPKPdEEv13rocblas_fill_17rocblas_diagonal_T1_iil
                                        ; -- End function
	.set _ZN9rocsolver6v33100L18trti2_kernel_smallILi43EdPKPdEEv13rocblas_fill_17rocblas_diagonal_T1_iil.num_vgpr, 100
	.set _ZN9rocsolver6v33100L18trti2_kernel_smallILi43EdPKPdEEv13rocblas_fill_17rocblas_diagonal_T1_iil.num_agpr, 0
	.set _ZN9rocsolver6v33100L18trti2_kernel_smallILi43EdPKPdEEv13rocblas_fill_17rocblas_diagonal_T1_iil.numbered_sgpr, 52
	.set _ZN9rocsolver6v33100L18trti2_kernel_smallILi43EdPKPdEEv13rocblas_fill_17rocblas_diagonal_T1_iil.num_named_barrier, 0
	.set _ZN9rocsolver6v33100L18trti2_kernel_smallILi43EdPKPdEEv13rocblas_fill_17rocblas_diagonal_T1_iil.private_seg_size, 352
	.set _ZN9rocsolver6v33100L18trti2_kernel_smallILi43EdPKPdEEv13rocblas_fill_17rocblas_diagonal_T1_iil.uses_vcc, 1
	.set _ZN9rocsolver6v33100L18trti2_kernel_smallILi43EdPKPdEEv13rocblas_fill_17rocblas_diagonal_T1_iil.uses_flat_scratch, 0
	.set _ZN9rocsolver6v33100L18trti2_kernel_smallILi43EdPKPdEEv13rocblas_fill_17rocblas_diagonal_T1_iil.has_dyn_sized_stack, 0
	.set _ZN9rocsolver6v33100L18trti2_kernel_smallILi43EdPKPdEEv13rocblas_fill_17rocblas_diagonal_T1_iil.has_recursion, 0
	.set _ZN9rocsolver6v33100L18trti2_kernel_smallILi43EdPKPdEEv13rocblas_fill_17rocblas_diagonal_T1_iil.has_indirect_call, 0
	.section	.AMDGPU.csdata,"",@progbits
; Kernel info:
; codeLenInByte = 20840
; TotalNumSgprs: 58
; NumVgprs: 100
; NumAgprs: 0
; TotalNumVgprs: 100
; ScratchSize: 352
; MemoryBound: 0
; FloatMode: 240
; IeeeMode: 1
; LDSByteSize: 696 bytes/workgroup (compile time only)
; SGPRBlocks: 7
; VGPRBlocks: 12
; NumSGPRsForWavesPerEU: 58
; NumVGPRsForWavesPerEU: 100
; AccumOffset: 100
; Occupancy: 4
; WaveLimiterHint : 1
; COMPUTE_PGM_RSRC2:SCRATCH_EN: 1
; COMPUTE_PGM_RSRC2:USER_SGPR: 2
; COMPUTE_PGM_RSRC2:TRAP_HANDLER: 0
; COMPUTE_PGM_RSRC2:TGID_X_EN: 1
; COMPUTE_PGM_RSRC2:TGID_Y_EN: 0
; COMPUTE_PGM_RSRC2:TGID_Z_EN: 0
; COMPUTE_PGM_RSRC2:TIDIG_COMP_CNT: 0
; COMPUTE_PGM_RSRC3_GFX90A:ACCUM_OFFSET: 24
; COMPUTE_PGM_RSRC3_GFX90A:TG_SPLIT: 0
	.section	.text._ZN9rocsolver6v33100L18trti2_kernel_smallILi44EdPKPdEEv13rocblas_fill_17rocblas_diagonal_T1_iil,"axG",@progbits,_ZN9rocsolver6v33100L18trti2_kernel_smallILi44EdPKPdEEv13rocblas_fill_17rocblas_diagonal_T1_iil,comdat
	.globl	_ZN9rocsolver6v33100L18trti2_kernel_smallILi44EdPKPdEEv13rocblas_fill_17rocblas_diagonal_T1_iil ; -- Begin function _ZN9rocsolver6v33100L18trti2_kernel_smallILi44EdPKPdEEv13rocblas_fill_17rocblas_diagonal_T1_iil
	.p2align	8
	.type	_ZN9rocsolver6v33100L18trti2_kernel_smallILi44EdPKPdEEv13rocblas_fill_17rocblas_diagonal_T1_iil,@function
_ZN9rocsolver6v33100L18trti2_kernel_smallILi44EdPKPdEEv13rocblas_fill_17rocblas_diagonal_T1_iil: ; @_ZN9rocsolver6v33100L18trti2_kernel_smallILi44EdPKPdEEv13rocblas_fill_17rocblas_diagonal_T1_iil
; %bb.0:
	v_cmp_gt_u32_e32 vcc, 44, v0
	s_and_saveexec_b64 s[4:5], vcc
	s_cbranch_execz .LBB107_850
; %bb.1:
	s_load_dwordx2 s[8:9], s[0:1], 0x10
	s_load_dwordx4 s[4:7], s[0:1], 0x0
	s_ashr_i32 s3, s2, 31
	s_lshl_b64 s[0:1], s[2:3], 3
	v_lshlrev_b32_e32 v18, 3, v0
	s_waitcnt lgkmcnt(0)
	s_ashr_i32 s3, s8, 31
	s_add_u32 s0, s6, s0
	s_addc_u32 s1, s7, s1
	s_load_dwordx2 s[0:1], s[0:1], 0x0
	s_mov_b32 s2, s8
	s_lshl_b64 s[2:3], s[2:3], 3
	v_mov_b32_e32 v19, 0
	s_waitcnt lgkmcnt(0)
	s_add_u32 s0, s0, s2
	s_addc_u32 s1, s1, s3
	v_lshl_add_u64 v[2:3], s[0:1], 0, v[18:19]
	flat_load_dwordx2 v[6:7], v[2:3]
	s_mov_b32 s2, s9
	s_ashr_i32 s3, s9, 31
	v_lshl_add_u64 v[4:5], s[2:3], 3, v[2:3]
	s_add_i32 s2, s9, s9
	v_add_u32_e32 v10, s2, v0
	v_ashrrev_i32_e32 v11, 31, v10
	s_cmpk_lg_i32 s5, 0x84
	s_cselect_b64 s[6:7], -1, 0
	s_cmpk_eq_i32 s5, 0x84
	s_waitcnt vmcnt(0) lgkmcnt(0)
	scratch_store_dwordx2 off, v[6:7], off
	flat_load_dwordx2 v[8:9], v[4:5]
	v_lshl_add_u64 v[6:7], v[10:11], 3, s[0:1]
	v_add_u32_e32 v10, s9, v10
	v_ashrrev_i32_e32 v11, 31, v10
	v_add_u32_e32 v14, s9, v10
	v_ashrrev_i32_e32 v15, 31, v14
	s_waitcnt vmcnt(0) lgkmcnt(0)
	scratch_store_dwordx2 off, v[8:9], off offset:8
	flat_load_dwordx2 v[12:13], v[6:7]
	v_lshl_add_u64 v[8:9], v[10:11], 3, s[0:1]
	v_lshl_add_u64 v[10:11], v[14:15], 3, s[0:1]
	v_add_u32_e32 v14, s9, v14
	v_ashrrev_i32_e32 v15, 31, v14
	v_add_u32_e32 v20, s9, v14
	v_ashrrev_i32_e32 v21, 31, v20
	s_waitcnt vmcnt(0) lgkmcnt(0)
	scratch_store_dwordx2 off, v[12:13], off offset:16
	flat_load_dwordx2 v[12:13], v[8:9]
	s_waitcnt vmcnt(0) lgkmcnt(0)
	scratch_store_dwordx2 off, v[12:13], off offset:24
	flat_load_dwordx2 v[16:17], v[10:11]
	v_lshl_add_u64 v[12:13], v[14:15], 3, s[0:1]
	v_lshl_add_u64 v[14:15], v[20:21], 3, s[0:1]
	v_add_u32_e32 v20, s9, v20
	v_ashrrev_i32_e32 v21, 31, v20
	v_add_u32_e32 v24, s9, v20
	v_ashrrev_i32_e32 v25, 31, v24
	s_waitcnt vmcnt(0) lgkmcnt(0)
	scratch_store_dwordx2 off, v[16:17], off offset:32
	flat_load_dwordx2 v[16:17], v[12:13]
	;; [unrolled: 12-line block ×19, first 2 shown]
	s_waitcnt vmcnt(0) lgkmcnt(0)
	scratch_store_dwordx2 off, v[86:87], off offset:312
	flat_load_dwordx2 v[90:91], v[84:85]
	v_lshl_add_u64 v[86:87], v[88:89], 3, s[0:1]
	v_lshl_add_u64 v[88:89], v[92:93], 3, s[0:1]
	s_waitcnt vmcnt(0) lgkmcnt(0)
	scratch_store_dwordx2 off, v[90:91], off offset:320
	flat_load_dwordx2 v[90:91], v[86:87]
	s_waitcnt vmcnt(0) lgkmcnt(0)
	scratch_store_dwordx2 off, v[90:91], off offset:328
	flat_load_dwordx2 v[94:95], v[88:89]
	v_add_u32_e32 v90, s9, v92
	v_ashrrev_i32_e32 v91, 31, v90
	v_lshl_add_u64 v[90:91], v[90:91], 3, s[0:1]
	s_waitcnt vmcnt(0) lgkmcnt(0)
	scratch_store_dwordx2 off, v[94:95], off offset:336
	flat_load_dwordx2 v[92:93], v[90:91]
	s_waitcnt vmcnt(0) lgkmcnt(0)
	scratch_store_dwordx2 off, v[92:93], off offset:344
	v_mov_b64_e32 v[92:93], -1.0
	s_cbranch_scc1 .LBB107_3
; %bb.2:
	scratch_load_dwordx2 v[92:93], v18, off
	s_waitcnt vmcnt(0)
	v_div_scale_f64 v[94:95], s[0:1], v[92:93], v[92:93], 1.0
	v_rcp_f64_e32 v[96:97], v[94:95]
	v_div_scale_f64 v[98:99], vcc, 1.0, v[92:93], 1.0
	v_fma_f64 v[100:101], -v[94:95], v[96:97], 1.0
	v_fmac_f64_e32 v[96:97], v[96:97], v[100:101]
	v_fma_f64 v[100:101], -v[94:95], v[96:97], 1.0
	v_fmac_f64_e32 v[96:97], v[96:97], v[100:101]
	v_mul_f64 v[100:101], v[98:99], v[96:97]
	v_fma_f64 v[94:95], -v[94:95], v[100:101], v[98:99]
	v_div_fmas_f64 v[94:95], v[94:95], v[96:97], v[100:101]
	v_div_fixup_f64 v[92:93], v[94:95], v[92:93], 1.0
	scratch_store_dwordx2 v18, v[92:93], off
	v_xor_b32_e32 v93, 0x80000000, v93
.LBB107_3:
	s_cmpk_eq_i32 s4, 0x79
	v_add_u32_e32 v1, 0x160, v18
	v_mov_b32_e32 v19, v18
	s_mov_b64 s[0:1], -1
	ds_write_b64 v18, v[92:93]
	s_cbranch_scc1 .LBB107_427
; %bb.4:
	scratch_load_dwordx2 v[92:93], off, off offset:336
	s_movk_i32 s8, 0x48
	s_movk_i32 s9, 0x50
	;; [unrolled: 1-line block ×33, first 2 shown]
	v_cmp_eq_u32_e64 s[0:1], 43, v0
	s_waitcnt vmcnt(0)
	ds_write_b64 v1, v[92:93]
	s_waitcnt lgkmcnt(0)
	; wave barrier
	s_and_saveexec_b64 s[2:3], s[0:1]
	s_cbranch_execz .LBB107_10
; %bb.5:
	s_and_b64 vcc, exec, s[6:7]
	s_cbranch_vccz .LBB107_7
; %bb.6:
	scratch_load_dwordx2 v[92:93], v19, off
	ds_read_b64 v[94:95], v1
	s_waitcnt vmcnt(0) lgkmcnt(0)
	v_mul_f64 v[92:93], v[92:93], v[94:95]
	s_cbranch_execz .LBB107_8
	s_branch .LBB107_9
.LBB107_7:
                                        ; implicit-def: $vgpr92_vgpr93
.LBB107_8:
	ds_read_b64 v[92:93], v1
.LBB107_9:
	v_mov_b32_e32 v94, 0
	ds_read_b64 v[94:95], v94 offset:336
	s_waitcnt lgkmcnt(0)
	v_mul_f64 v[92:93], v[92:93], v[94:95]
	scratch_store_dwordx2 off, v[92:93], off offset:336
.LBB107_10:
	s_or_b64 exec, exec, s[2:3]
	scratch_load_dwordx2 v[92:93], off, off offset:328
	s_or_b32 s10, 0, 8
	s_mov_b32 s11, 16
	s_mov_b32 s12, 24
	s_mov_b32 s13, 32
	s_mov_b32 s14, 40
	s_mov_b32 s15, 48
	s_mov_b32 s16, 56
	s_mov_b32 s17, 64
	s_mov_b32 s18, s8
	s_mov_b32 s19, s9
	v_cmp_lt_u32_e64 s[2:3], 41, v0
	s_waitcnt vmcnt(0)
	ds_write_b64 v1, v[92:93]
	s_waitcnt lgkmcnt(0)
	; wave barrier
	s_and_saveexec_b64 s[4:5], s[2:3]
	s_cbranch_execz .LBB107_16
; %bb.11:
	s_andn2_b64 vcc, exec, s[6:7]
	s_cbranch_vccnz .LBB107_13
; %bb.12:
	scratch_load_dwordx2 v[92:93], v19, off
	ds_read_b64 v[94:95], v1
	s_waitcnt vmcnt(0) lgkmcnt(0)
	v_mul_f64 v[92:93], v[92:93], v[94:95]
	s_cbranch_execz .LBB107_14
	s_branch .LBB107_15
.LBB107_13:
                                        ; implicit-def: $vgpr92_vgpr93
.LBB107_14:
	ds_read_b64 v[92:93], v1
.LBB107_15:
	scratch_load_dwordx2 v[98:99], off, off offset:336
	v_mov_b32_e32 v94, 0
	ds_read2_b64 v[94:97], v94 offset0:41 offset1:86
	s_waitcnt vmcnt(0) lgkmcnt(0)
	v_fma_f64 v[96:97], v[98:99], v[96:97], v[92:93]
	v_cndmask_b32_e64 v93, v93, v97, s[0:1]
	v_cndmask_b32_e64 v92, v92, v96, s[0:1]
	v_mul_f64 v[92:93], v[92:93], v[94:95]
	scratch_store_dwordx2 off, v[92:93], off offset:328
.LBB107_16:
	s_or_b64 exec, exec, s[4:5]
	scratch_load_dwordx2 v[92:93], off, off offset:320
	v_cmp_lt_u32_e64 s[0:1], 40, v0
	s_waitcnt vmcnt(0)
	ds_write_b64 v1, v[92:93]
	s_waitcnt lgkmcnt(0)
	; wave barrier
	s_and_saveexec_b64 s[4:5], s[0:1]
	s_cbranch_execz .LBB107_26
; %bb.17:
	s_andn2_b64 vcc, exec, s[6:7]
	s_cbranch_vccnz .LBB107_19
; %bb.18:
	scratch_load_dwordx2 v[92:93], v19, off
	ds_read_b64 v[94:95], v1
	s_waitcnt vmcnt(0) lgkmcnt(0)
	v_mul_f64 v[92:93], v[92:93], v[94:95]
	s_cbranch_execz .LBB107_20
	s_branch .LBB107_21
.LBB107_19:
                                        ; implicit-def: $vgpr92_vgpr93
.LBB107_20:
	ds_read_b64 v[92:93], v1
.LBB107_21:
	s_and_saveexec_b64 s[8:9], s[2:3]
	s_cbranch_execz .LBB107_25
; %bb.22:
	v_subrev_u32_e32 v94, 41, v0
	s_movk_i32 s52, 0x2a8
	s_mov_b64 s[2:3], 0
.LBB107_23:                             ; =>This Inner Loop Header: Depth=1
	scratch_load_dwordx2 v[96:97], off, s51
	v_mov_b32_e32 v95, s52
	ds_read_b64 v[98:99], v95
	v_add_u32_e32 v94, -1, v94
	s_add_i32 s52, s52, 8
	s_add_i32 s51, s51, 8
	v_cmp_eq_u32_e32 vcc, 0, v94
	s_or_b64 s[2:3], vcc, s[2:3]
	s_waitcnt vmcnt(0) lgkmcnt(0)
	v_fmac_f64_e32 v[92:93], v[96:97], v[98:99]
	s_andn2_b64 exec, exec, s[2:3]
	s_cbranch_execnz .LBB107_23
; %bb.24:
	s_or_b64 exec, exec, s[2:3]
.LBB107_25:
	s_or_b64 exec, exec, s[8:9]
	v_mov_b32_e32 v94, 0
	ds_read_b64 v[94:95], v94 offset:320
	s_waitcnt lgkmcnt(0)
	v_mul_f64 v[92:93], v[92:93], v[94:95]
	scratch_store_dwordx2 off, v[92:93], off offset:320
.LBB107_26:
	s_or_b64 exec, exec, s[4:5]
	scratch_load_dwordx2 v[92:93], off, off offset:312
	v_cmp_lt_u32_e64 s[2:3], 39, v0
	s_waitcnt vmcnt(0)
	ds_write_b64 v1, v[92:93]
	s_waitcnt lgkmcnt(0)
	; wave barrier
	s_and_saveexec_b64 s[4:5], s[2:3]
	s_cbranch_execz .LBB107_36
; %bb.27:
	s_andn2_b64 vcc, exec, s[6:7]
	s_cbranch_vccnz .LBB107_29
; %bb.28:
	scratch_load_dwordx2 v[92:93], v19, off
	ds_read_b64 v[94:95], v1
	s_waitcnt vmcnt(0) lgkmcnt(0)
	v_mul_f64 v[92:93], v[92:93], v[94:95]
	s_cbranch_execz .LBB107_30
	s_branch .LBB107_31
.LBB107_29:
                                        ; implicit-def: $vgpr92_vgpr93
.LBB107_30:
	ds_read_b64 v[92:93], v1
.LBB107_31:
	s_and_saveexec_b64 s[8:9], s[0:1]
	s_cbranch_execz .LBB107_35
; %bb.32:
	v_subrev_u32_e32 v94, 40, v0
	s_movk_i32 s51, 0x2a0
	s_mov_b64 s[0:1], 0
.LBB107_33:                             ; =>This Inner Loop Header: Depth=1
	scratch_load_dwordx2 v[96:97], off, s50
	v_mov_b32_e32 v95, s51
	ds_read_b64 v[98:99], v95
	v_add_u32_e32 v94, -1, v94
	s_add_i32 s51, s51, 8
	s_add_i32 s50, s50, 8
	v_cmp_eq_u32_e32 vcc, 0, v94
	s_or_b64 s[0:1], vcc, s[0:1]
	s_waitcnt vmcnt(0) lgkmcnt(0)
	v_fmac_f64_e32 v[92:93], v[96:97], v[98:99]
	s_andn2_b64 exec, exec, s[0:1]
	s_cbranch_execnz .LBB107_33
; %bb.34:
	s_or_b64 exec, exec, s[0:1]
.LBB107_35:
	s_or_b64 exec, exec, s[8:9]
	v_mov_b32_e32 v94, 0
	ds_read_b64 v[94:95], v94 offset:312
	s_waitcnt lgkmcnt(0)
	v_mul_f64 v[92:93], v[92:93], v[94:95]
	scratch_store_dwordx2 off, v[92:93], off offset:312
.LBB107_36:
	;; [unrolled: 53-line block ×8, first 2 shown]
	s_or_b64 exec, exec, s[4:5]
	scratch_load_dwordx2 v[92:93], off, off offset:256
	v_cmp_lt_u32_e64 s[0:1], 32, v0
	s_waitcnt vmcnt(0)
	ds_write_b64 v1, v[92:93]
	s_waitcnt lgkmcnt(0)
	; wave barrier
	s_and_saveexec_b64 s[4:5], s[0:1]
	s_cbranch_execz .LBB107_106
; %bb.97:
	s_andn2_b64 vcc, exec, s[6:7]
	s_cbranch_vccnz .LBB107_99
; %bb.98:
	scratch_load_dwordx2 v[92:93], v19, off
	ds_read_b64 v[94:95], v1
	s_waitcnt vmcnt(0) lgkmcnt(0)
	v_mul_f64 v[92:93], v[92:93], v[94:95]
	s_cbranch_execz .LBB107_100
	s_branch .LBB107_101
.LBB107_99:
                                        ; implicit-def: $vgpr92_vgpr93
.LBB107_100:
	ds_read_b64 v[92:93], v1
.LBB107_101:
	s_and_saveexec_b64 s[8:9], s[2:3]
	s_cbranch_execz .LBB107_105
; %bb.102:
	v_subrev_u32_e32 v94, 33, v0
	s_movk_i32 s44, 0x268
	s_mov_b64 s[2:3], 0
.LBB107_103:                            ; =>This Inner Loop Header: Depth=1
	scratch_load_dwordx2 v[96:97], off, s43
	v_mov_b32_e32 v95, s44
	ds_read_b64 v[98:99], v95
	v_add_u32_e32 v94, -1, v94
	s_add_i32 s44, s44, 8
	s_add_i32 s43, s43, 8
	v_cmp_eq_u32_e32 vcc, 0, v94
	s_or_b64 s[2:3], vcc, s[2:3]
	s_waitcnt vmcnt(0) lgkmcnt(0)
	v_fmac_f64_e32 v[92:93], v[96:97], v[98:99]
	s_andn2_b64 exec, exec, s[2:3]
	s_cbranch_execnz .LBB107_103
; %bb.104:
	s_or_b64 exec, exec, s[2:3]
.LBB107_105:
	s_or_b64 exec, exec, s[8:9]
	v_mov_b32_e32 v94, 0
	ds_read_b64 v[94:95], v94 offset:256
	s_waitcnt lgkmcnt(0)
	v_mul_f64 v[92:93], v[92:93], v[94:95]
	scratch_store_dwordx2 off, v[92:93], off offset:256
.LBB107_106:
	s_or_b64 exec, exec, s[4:5]
	scratch_load_dwordx2 v[92:93], off, off offset:248
	v_cmp_lt_u32_e64 s[2:3], 31, v0
	s_waitcnt vmcnt(0)
	ds_write_b64 v1, v[92:93]
	s_waitcnt lgkmcnt(0)
	; wave barrier
	s_and_saveexec_b64 s[4:5], s[2:3]
	s_cbranch_execz .LBB107_116
; %bb.107:
	s_andn2_b64 vcc, exec, s[6:7]
	s_cbranch_vccnz .LBB107_109
; %bb.108:
	scratch_load_dwordx2 v[92:93], v19, off
	ds_read_b64 v[94:95], v1
	s_waitcnt vmcnt(0) lgkmcnt(0)
	v_mul_f64 v[92:93], v[92:93], v[94:95]
	s_cbranch_execz .LBB107_110
	s_branch .LBB107_111
.LBB107_109:
                                        ; implicit-def: $vgpr92_vgpr93
.LBB107_110:
	ds_read_b64 v[92:93], v1
.LBB107_111:
	s_and_saveexec_b64 s[8:9], s[0:1]
	s_cbranch_execz .LBB107_115
; %bb.112:
	v_subrev_u32_e32 v94, 32, v0
	s_movk_i32 s43, 0x260
	s_mov_b64 s[0:1], 0
.LBB107_113:                            ; =>This Inner Loop Header: Depth=1
	scratch_load_dwordx2 v[96:97], off, s42
	v_mov_b32_e32 v95, s43
	ds_read_b64 v[98:99], v95
	v_add_u32_e32 v94, -1, v94
	s_add_i32 s43, s43, 8
	s_add_i32 s42, s42, 8
	v_cmp_eq_u32_e32 vcc, 0, v94
	s_or_b64 s[0:1], vcc, s[0:1]
	s_waitcnt vmcnt(0) lgkmcnt(0)
	v_fmac_f64_e32 v[92:93], v[96:97], v[98:99]
	s_andn2_b64 exec, exec, s[0:1]
	s_cbranch_execnz .LBB107_113
; %bb.114:
	s_or_b64 exec, exec, s[0:1]
.LBB107_115:
	s_or_b64 exec, exec, s[8:9]
	v_mov_b32_e32 v94, 0
	ds_read_b64 v[94:95], v94 offset:248
	s_waitcnt lgkmcnt(0)
	v_mul_f64 v[92:93], v[92:93], v[94:95]
	scratch_store_dwordx2 off, v[92:93], off offset:248
.LBB107_116:
	;; [unrolled: 53-line block ×17, first 2 shown]
	s_or_b64 exec, exec, s[4:5]
	scratch_load_dwordx2 v[92:93], off, off offset:120
	v_cmp_lt_u32_e64 s[2:3], 15, v0
	s_waitcnt vmcnt(0)
	ds_write_b64 v1, v[92:93]
	s_waitcnt lgkmcnt(0)
	; wave barrier
	s_and_saveexec_b64 s[4:5], s[2:3]
	s_cbranch_execz .LBB107_276
; %bb.267:
	s_andn2_b64 vcc, exec, s[6:7]
	s_cbranch_vccnz .LBB107_269
; %bb.268:
	scratch_load_dwordx2 v[92:93], v19, off
	ds_read_b64 v[94:95], v1
	s_waitcnt vmcnt(0) lgkmcnt(0)
	v_mul_f64 v[92:93], v[92:93], v[94:95]
	s_cbranch_execz .LBB107_270
	s_branch .LBB107_271
.LBB107_269:
                                        ; implicit-def: $vgpr92_vgpr93
.LBB107_270:
	ds_read_b64 v[92:93], v1
.LBB107_271:
	s_and_saveexec_b64 s[8:9], s[0:1]
	s_cbranch_execz .LBB107_275
; %bb.272:
	v_add_u32_e32 v94, -16, v0
	s_movk_i32 s26, 0x1e0
	s_mov_b64 s[0:1], 0
.LBB107_273:                            ; =>This Inner Loop Header: Depth=1
	scratch_load_dwordx2 v[96:97], off, s25
	v_mov_b32_e32 v95, s26
	ds_read_b64 v[98:99], v95
	v_add_u32_e32 v94, -1, v94
	s_add_i32 s26, s26, 8
	s_add_i32 s25, s25, 8
	v_cmp_eq_u32_e32 vcc, 0, v94
	s_or_b64 s[0:1], vcc, s[0:1]
	s_waitcnt vmcnt(0) lgkmcnt(0)
	v_fmac_f64_e32 v[92:93], v[96:97], v[98:99]
	s_andn2_b64 exec, exec, s[0:1]
	s_cbranch_execnz .LBB107_273
; %bb.274:
	s_or_b64 exec, exec, s[0:1]
.LBB107_275:
	s_or_b64 exec, exec, s[8:9]
	v_mov_b32_e32 v94, 0
	ds_read_b64 v[94:95], v94 offset:120
	s_waitcnt lgkmcnt(0)
	v_mul_f64 v[92:93], v[92:93], v[94:95]
	scratch_store_dwordx2 off, v[92:93], off offset:120
.LBB107_276:
	s_or_b64 exec, exec, s[4:5]
	scratch_load_dwordx2 v[92:93], off, off offset:112
	v_cmp_lt_u32_e64 s[0:1], 14, v0
	s_waitcnt vmcnt(0)
	ds_write_b64 v1, v[92:93]
	s_waitcnt lgkmcnt(0)
	; wave barrier
	s_and_saveexec_b64 s[4:5], s[0:1]
	s_cbranch_execz .LBB107_286
; %bb.277:
	s_andn2_b64 vcc, exec, s[6:7]
	s_cbranch_vccnz .LBB107_279
; %bb.278:
	scratch_load_dwordx2 v[92:93], v19, off
	ds_read_b64 v[94:95], v1
	s_waitcnt vmcnt(0) lgkmcnt(0)
	v_mul_f64 v[92:93], v[92:93], v[94:95]
	s_cbranch_execz .LBB107_280
	s_branch .LBB107_281
.LBB107_279:
                                        ; implicit-def: $vgpr92_vgpr93
.LBB107_280:
	ds_read_b64 v[92:93], v1
.LBB107_281:
	s_and_saveexec_b64 s[8:9], s[2:3]
	s_cbranch_execz .LBB107_285
; %bb.282:
	v_add_u32_e32 v94, -15, v0
	s_movk_i32 s25, 0x1d8
	s_mov_b64 s[2:3], 0
.LBB107_283:                            ; =>This Inner Loop Header: Depth=1
	scratch_load_dwordx2 v[96:97], off, s24
	v_mov_b32_e32 v95, s25
	ds_read_b64 v[98:99], v95
	v_add_u32_e32 v94, -1, v94
	s_add_i32 s25, s25, 8
	s_add_i32 s24, s24, 8
	v_cmp_eq_u32_e32 vcc, 0, v94
	s_or_b64 s[2:3], vcc, s[2:3]
	s_waitcnt vmcnt(0) lgkmcnt(0)
	v_fmac_f64_e32 v[92:93], v[96:97], v[98:99]
	s_andn2_b64 exec, exec, s[2:3]
	s_cbranch_execnz .LBB107_283
; %bb.284:
	s_or_b64 exec, exec, s[2:3]
.LBB107_285:
	s_or_b64 exec, exec, s[8:9]
	v_mov_b32_e32 v94, 0
	ds_read_b64 v[94:95], v94 offset:112
	s_waitcnt lgkmcnt(0)
	v_mul_f64 v[92:93], v[92:93], v[94:95]
	scratch_store_dwordx2 off, v[92:93], off offset:112
.LBB107_286:
	;; [unrolled: 53-line block ×15, first 2 shown]
	s_or_b64 exec, exec, s[4:5]
	scratch_load_dwordx2 v[92:93], off, off
	v_cmp_ne_u32_e32 vcc, 0, v0
	s_waitcnt vmcnt(0)
	ds_write_b64 v1, v[92:93]
	s_waitcnt lgkmcnt(0)
	; wave barrier
	s_and_saveexec_b64 s[0:1], vcc
	s_cbranch_execz .LBB107_426
; %bb.417:
	s_andn2_b64 vcc, exec, s[6:7]
	s_cbranch_vccnz .LBB107_419
; %bb.418:
	scratch_load_dwordx2 v[92:93], v19, off
	ds_read_b64 v[94:95], v1
	s_waitcnt vmcnt(0) lgkmcnt(0)
	v_mul_f64 v[92:93], v[92:93], v[94:95]
	s_cbranch_execz .LBB107_420
	s_branch .LBB107_421
.LBB107_419:
                                        ; implicit-def: $vgpr92_vgpr93
.LBB107_420:
	ds_read_b64 v[92:93], v1
.LBB107_421:
	s_and_saveexec_b64 s[4:5], s[2:3]
	s_cbranch_execz .LBB107_425
; %bb.422:
	v_add_u32_e32 v94, -1, v0
	s_movk_i32 s8, 0x168
	s_mov_b64 s[2:3], 0
.LBB107_423:                            ; =>This Inner Loop Header: Depth=1
	scratch_load_dwordx2 v[96:97], off, s10
	v_mov_b32_e32 v95, s8
	ds_read_b64 v[98:99], v95
	v_add_u32_e32 v94, -1, v94
	s_add_i32 s8, s8, 8
	s_add_i32 s10, s10, 8
	v_cmp_eq_u32_e32 vcc, 0, v94
	s_or_b64 s[2:3], vcc, s[2:3]
	s_waitcnt vmcnt(0) lgkmcnt(0)
	v_fmac_f64_e32 v[92:93], v[96:97], v[98:99]
	s_andn2_b64 exec, exec, s[2:3]
	s_cbranch_execnz .LBB107_423
; %bb.424:
	s_or_b64 exec, exec, s[2:3]
.LBB107_425:
	s_or_b64 exec, exec, s[4:5]
	v_mov_b32_e32 v94, 0
	ds_read_b64 v[94:95], v94
	s_waitcnt lgkmcnt(0)
	v_mul_f64 v[92:93], v[92:93], v[94:95]
	scratch_store_dwordx2 off, v[92:93], off
.LBB107_426:
	s_or_b64 exec, exec, s[0:1]
	s_mov_b64 s[0:1], 0
.LBB107_427:
	s_and_b64 vcc, exec, s[0:1]
	s_cbranch_vccz .LBB107_849
; %bb.428:
	scratch_load_dwordx2 v[92:93], off, off offset:8
	v_cmp_eq_u32_e64 s[2:3], 0, v0
	s_waitcnt vmcnt(0)
	ds_write_b64 v1, v[92:93]
	s_waitcnt lgkmcnt(0)
	; wave barrier
	s_and_saveexec_b64 s[0:1], s[2:3]
	s_cbranch_execz .LBB107_434
; %bb.429:
	s_and_b64 vcc, exec, s[6:7]
	s_cbranch_vccz .LBB107_431
; %bb.430:
	scratch_load_dwordx2 v[92:93], v19, off
	ds_read_b64 v[94:95], v1
	s_waitcnt vmcnt(0) lgkmcnt(0)
	v_mul_f64 v[92:93], v[92:93], v[94:95]
	s_cbranch_execz .LBB107_432
	s_branch .LBB107_433
.LBB107_431:
                                        ; implicit-def: $vgpr92_vgpr93
.LBB107_432:
	ds_read_b64 v[92:93], v1
.LBB107_433:
	v_mov_b32_e32 v94, 0
	ds_read_b64 v[94:95], v94 offset:8
	s_waitcnt lgkmcnt(0)
	v_mul_f64 v[92:93], v[92:93], v[94:95]
	scratch_store_dwordx2 off, v[92:93], off offset:8
.LBB107_434:
	s_or_b64 exec, exec, s[0:1]
	scratch_load_dwordx2 v[92:93], off, off offset:16
	v_cndmask_b32_e64 v94, 0, 1, s[6:7]
	v_cmp_gt_u32_e32 vcc, 2, v0
	v_cmp_ne_u32_e64 s[0:1], 1, v94
	s_waitcnt vmcnt(0)
	ds_write_b64 v1, v[92:93]
	s_waitcnt lgkmcnt(0)
	; wave barrier
	s_and_saveexec_b64 s[4:5], vcc
	s_cbranch_execz .LBB107_440
; %bb.435:
	s_and_b64 vcc, exec, s[0:1]
	s_cbranch_vccnz .LBB107_437
; %bb.436:
	scratch_load_dwordx2 v[92:93], v19, off
	ds_read_b64 v[94:95], v1
	s_waitcnt vmcnt(0) lgkmcnt(0)
	v_mul_f64 v[92:93], v[92:93], v[94:95]
	s_cbranch_execz .LBB107_438
	s_branch .LBB107_439
.LBB107_437:
                                        ; implicit-def: $vgpr92_vgpr93
.LBB107_438:
	ds_read_b64 v[92:93], v1
.LBB107_439:
	scratch_load_dwordx2 v[98:99], off, off offset:8
	v_mov_b32_e32 v94, 0
	ds_read2_b64 v[94:97], v94 offset0:2 offset1:45
	s_waitcnt vmcnt(0) lgkmcnt(0)
	v_fma_f64 v[96:97], v[98:99], v[96:97], v[92:93]
	v_cndmask_b32_e64 v93, v93, v97, s[2:3]
	v_cndmask_b32_e64 v92, v92, v96, s[2:3]
	v_mul_f64 v[92:93], v[92:93], v[94:95]
	scratch_store_dwordx2 off, v[92:93], off offset:16
.LBB107_440:
	s_or_b64 exec, exec, s[4:5]
	scratch_load_dwordx2 v[92:93], off, off offset:24
	v_cmp_gt_u32_e32 vcc, 3, v0
	s_waitcnt vmcnt(0)
	ds_write_b64 v1, v[92:93]
	s_waitcnt lgkmcnt(0)
	; wave barrier
	s_and_saveexec_b64 s[4:5], vcc
	s_cbranch_execz .LBB107_448
; %bb.441:
	s_and_b64 vcc, exec, s[0:1]
	s_cbranch_vccnz .LBB107_443
; %bb.442:
	scratch_load_dwordx2 v[92:93], v19, off
	ds_read_b64 v[94:95], v1
	s_waitcnt vmcnt(0) lgkmcnt(0)
	v_mul_f64 v[92:93], v[92:93], v[94:95]
	s_cbranch_execz .LBB107_444
	s_branch .LBB107_445
.LBB107_443:
                                        ; implicit-def: $vgpr92_vgpr93
.LBB107_444:
	ds_read_b64 v[92:93], v1
.LBB107_445:
	v_cmp_ne_u32_e32 vcc, 2, v0
	s_and_saveexec_b64 s[6:7], vcc
	s_cbranch_execz .LBB107_447
; %bb.446:
	scratch_load_dwordx2 v[94:95], v19, off offset:8
	scratch_load_dwordx2 v[96:97], off, off offset:16
	ds_read_b64 v[98:99], v1 offset:8
	v_mov_b32_e32 v100, 0
	ds_read_b64 v[100:101], v100 offset:368
	s_waitcnt vmcnt(1) lgkmcnt(1)
	v_fmac_f64_e32 v[92:93], v[94:95], v[98:99]
	s_waitcnt vmcnt(0) lgkmcnt(0)
	v_fma_f64 v[94:95], v[96:97], v[100:101], v[92:93]
	v_cndmask_b32_e64 v93, v93, v95, s[2:3]
	v_cndmask_b32_e64 v92, v92, v94, s[2:3]
.LBB107_447:
	s_or_b64 exec, exec, s[6:7]
	v_mov_b32_e32 v94, 0
	ds_read_b64 v[94:95], v94 offset:24
	s_waitcnt lgkmcnt(0)
	v_mul_f64 v[92:93], v[92:93], v[94:95]
	scratch_store_dwordx2 off, v[92:93], off offset:24
.LBB107_448:
	s_or_b64 exec, exec, s[4:5]
	scratch_load_dwordx2 v[92:93], off, off offset:32
	v_cmp_gt_u32_e32 vcc, 4, v0
	s_waitcnt vmcnt(0)
	ds_write_b64 v1, v[92:93]
	s_waitcnt lgkmcnt(0)
	; wave barrier
	s_and_saveexec_b64 s[2:3], vcc
	s_cbranch_execz .LBB107_458
; %bb.449:
	s_and_b64 vcc, exec, s[0:1]
	s_cbranch_vccnz .LBB107_451
; %bb.450:
	scratch_load_dwordx2 v[92:93], v19, off
	ds_read_b64 v[94:95], v1
	s_waitcnt vmcnt(0) lgkmcnt(0)
	v_mul_f64 v[92:93], v[92:93], v[94:95]
	s_cbranch_execz .LBB107_452
	s_branch .LBB107_453
.LBB107_451:
                                        ; implicit-def: $vgpr92_vgpr93
.LBB107_452:
	ds_read_b64 v[92:93], v1
.LBB107_453:
	v_cmp_ne_u32_e32 vcc, 3, v0
	s_and_saveexec_b64 s[4:5], vcc
	s_cbranch_execz .LBB107_457
; %bb.454:
	s_mov_b32 s6, 0
	v_add_u32_e32 v94, 0x168, v18
	v_add3_u32 v95, v18, s6, 8
	s_mov_b64 s[6:7], 0
	v_mov_b32_e32 v96, v0
.LBB107_455:                            ; =>This Inner Loop Header: Depth=1
	scratch_load_dwordx2 v[98:99], v95, off
	ds_read_b64 v[100:101], v94
	v_add_u32_e32 v96, 1, v96
	v_cmp_lt_u32_e32 vcc, 2, v96
	v_add_u32_e32 v94, 8, v94
	v_add_u32_e32 v95, 8, v95
	s_or_b64 s[6:7], vcc, s[6:7]
	s_waitcnt vmcnt(0) lgkmcnt(0)
	v_fmac_f64_e32 v[92:93], v[98:99], v[100:101]
	s_andn2_b64 exec, exec, s[6:7]
	s_cbranch_execnz .LBB107_455
; %bb.456:
	s_or_b64 exec, exec, s[6:7]
.LBB107_457:
	s_or_b64 exec, exec, s[4:5]
	v_mov_b32_e32 v94, 0
	ds_read_b64 v[94:95], v94 offset:32
	s_waitcnt lgkmcnt(0)
	v_mul_f64 v[92:93], v[92:93], v[94:95]
	scratch_store_dwordx2 off, v[92:93], off offset:32
.LBB107_458:
	s_or_b64 exec, exec, s[2:3]
	scratch_load_dwordx2 v[92:93], off, off offset:40
	v_cmp_gt_u32_e32 vcc, 5, v0
	s_waitcnt vmcnt(0)
	ds_write_b64 v1, v[92:93]
	s_waitcnt lgkmcnt(0)
	; wave barrier
	s_and_saveexec_b64 s[2:3], vcc
	s_cbranch_execz .LBB107_468
; %bb.459:
	s_and_b64 vcc, exec, s[0:1]
	s_cbranch_vccnz .LBB107_461
; %bb.460:
	scratch_load_dwordx2 v[92:93], v19, off
	ds_read_b64 v[94:95], v1
	s_waitcnt vmcnt(0) lgkmcnt(0)
	v_mul_f64 v[92:93], v[92:93], v[94:95]
	s_cbranch_execz .LBB107_462
	s_branch .LBB107_463
.LBB107_461:
                                        ; implicit-def: $vgpr92_vgpr93
.LBB107_462:
	ds_read_b64 v[92:93], v1
.LBB107_463:
	v_cmp_ne_u32_e32 vcc, 4, v0
	s_and_saveexec_b64 s[4:5], vcc
	s_cbranch_execz .LBB107_467
; %bb.464:
	s_mov_b32 s6, 0
	v_add_u32_e32 v94, 0x168, v18
	v_add3_u32 v95, v18, s6, 8
	s_mov_b64 s[6:7], 0
	v_mov_b32_e32 v96, v0
.LBB107_465:                            ; =>This Inner Loop Header: Depth=1
	scratch_load_dwordx2 v[98:99], v95, off
	ds_read_b64 v[100:101], v94
	v_add_u32_e32 v96, 1, v96
	v_cmp_lt_u32_e32 vcc, 3, v96
	v_add_u32_e32 v94, 8, v94
	v_add_u32_e32 v95, 8, v95
	s_or_b64 s[6:7], vcc, s[6:7]
	s_waitcnt vmcnt(0) lgkmcnt(0)
	v_fmac_f64_e32 v[92:93], v[98:99], v[100:101]
	s_andn2_b64 exec, exec, s[6:7]
	s_cbranch_execnz .LBB107_465
; %bb.466:
	s_or_b64 exec, exec, s[6:7]
.LBB107_467:
	s_or_b64 exec, exec, s[4:5]
	v_mov_b32_e32 v94, 0
	ds_read_b64 v[94:95], v94 offset:40
	s_waitcnt lgkmcnt(0)
	v_mul_f64 v[92:93], v[92:93], v[94:95]
	scratch_store_dwordx2 off, v[92:93], off offset:40
.LBB107_468:
	;; [unrolled: 55-line block ×38, first 2 shown]
	s_or_b64 exec, exec, s[2:3]
	scratch_load_dwordx2 v[92:93], off, off offset:336
	v_cmp_gt_u32_e64 s[2:3], 42, v0
	s_waitcnt vmcnt(0)
	ds_write_b64 v1, v[92:93]
	s_waitcnt lgkmcnt(0)
	; wave barrier
	s_and_saveexec_b64 s[4:5], s[2:3]
	s_cbranch_execz .LBB107_838
; %bb.829:
	s_and_b64 vcc, exec, s[0:1]
	s_cbranch_vccnz .LBB107_831
; %bb.830:
	scratch_load_dwordx2 v[92:93], v19, off
	ds_read_b64 v[94:95], v1
	s_waitcnt vmcnt(0) lgkmcnt(0)
	v_mul_f64 v[92:93], v[92:93], v[94:95]
	s_cbranch_execz .LBB107_832
	s_branch .LBB107_833
.LBB107_831:
                                        ; implicit-def: $vgpr92_vgpr93
.LBB107_832:
	ds_read_b64 v[92:93], v1
.LBB107_833:
	v_cmp_ne_u32_e32 vcc, 41, v0
	s_and_saveexec_b64 s[6:7], vcc
	s_cbranch_execz .LBB107_837
; %bb.834:
	s_mov_b32 s8, 0
	v_add_u32_e32 v94, 0x168, v18
	v_add3_u32 v95, v18, s8, 8
	s_mov_b64 s[8:9], 0
	v_mov_b32_e32 v96, v0
.LBB107_835:                            ; =>This Inner Loop Header: Depth=1
	scratch_load_dwordx2 v[98:99], v95, off
	ds_read_b64 v[100:101], v94
	v_add_u32_e32 v96, 1, v96
	v_cmp_lt_u32_e32 vcc, 40, v96
	v_add_u32_e32 v94, 8, v94
	v_add_u32_e32 v95, 8, v95
	s_or_b64 s[8:9], vcc, s[8:9]
	s_waitcnt vmcnt(0) lgkmcnt(0)
	v_fmac_f64_e32 v[92:93], v[98:99], v[100:101]
	s_andn2_b64 exec, exec, s[8:9]
	s_cbranch_execnz .LBB107_835
; %bb.836:
	s_or_b64 exec, exec, s[8:9]
.LBB107_837:
	s_or_b64 exec, exec, s[6:7]
	v_mov_b32_e32 v94, 0
	ds_read_b64 v[94:95], v94 offset:336
	s_waitcnt lgkmcnt(0)
	v_mul_f64 v[92:93], v[92:93], v[94:95]
	scratch_store_dwordx2 off, v[92:93], off offset:336
.LBB107_838:
	s_or_b64 exec, exec, s[4:5]
	scratch_load_dwordx2 v[92:93], off, off offset:344
	v_cmp_ne_u32_e32 vcc, 43, v0
	s_waitcnt vmcnt(0)
	ds_write_b64 v1, v[92:93]
	s_waitcnt lgkmcnt(0)
	; wave barrier
	s_and_saveexec_b64 s[4:5], vcc
	s_cbranch_execz .LBB107_848
; %bb.839:
	s_and_b64 vcc, exec, s[0:1]
	s_cbranch_vccnz .LBB107_841
; %bb.840:
	scratch_load_dwordx2 v[92:93], v19, off
	ds_read_b64 v[94:95], v1
	s_waitcnt vmcnt(0) lgkmcnt(0)
	v_mul_f64 v[92:93], v[92:93], v[94:95]
	s_cbranch_execz .LBB107_842
	s_branch .LBB107_843
.LBB107_841:
                                        ; implicit-def: $vgpr92_vgpr93
.LBB107_842:
	ds_read_b64 v[92:93], v1
.LBB107_843:
	s_and_saveexec_b64 s[0:1], s[2:3]
	s_cbranch_execz .LBB107_847
; %bb.844:
	s_mov_b32 s2, 0
	v_add_u32_e32 v1, 0x168, v18
	v_add3_u32 v18, v18, s2, 8
	s_mov_b64 s[2:3], 0
.LBB107_845:                            ; =>This Inner Loop Header: Depth=1
	scratch_load_dwordx2 v[94:95], v18, off
	ds_read_b64 v[96:97], v1
	v_add_u32_e32 v0, 1, v0
	v_cmp_lt_u32_e32 vcc, 41, v0
	v_add_u32_e32 v1, 8, v1
	v_add_u32_e32 v18, 8, v18
	s_or_b64 s[2:3], vcc, s[2:3]
	s_waitcnt vmcnt(0) lgkmcnt(0)
	v_fmac_f64_e32 v[92:93], v[94:95], v[96:97]
	s_andn2_b64 exec, exec, s[2:3]
	s_cbranch_execnz .LBB107_845
; %bb.846:
	s_or_b64 exec, exec, s[2:3]
.LBB107_847:
	s_or_b64 exec, exec, s[0:1]
	v_mov_b32_e32 v0, 0
	ds_read_b64 v[0:1], v0 offset:344
	s_waitcnt lgkmcnt(0)
	v_mul_f64 v[0:1], v[92:93], v[0:1]
	scratch_store_dwordx2 off, v[0:1], off offset:344
.LBB107_848:
	s_or_b64 exec, exec, s[4:5]
.LBB107_849:
	scratch_load_dwordx2 v[0:1], off, off
	s_waitcnt vmcnt(0)
	flat_store_dwordx2 v[2:3], v[0:1]
	scratch_load_dwordx2 v[0:1], off, off offset:8
	s_waitcnt vmcnt(0)
	flat_store_dwordx2 v[4:5], v[0:1]
	scratch_load_dwordx2 v[0:1], off, off offset:16
	;; [unrolled: 3-line block ×43, first 2 shown]
	s_waitcnt vmcnt(0)
	flat_store_dwordx2 v[90:91], v[0:1]
.LBB107_850:
	s_endpgm
	.section	.rodata,"a",@progbits
	.p2align	6, 0x0
	.amdhsa_kernel _ZN9rocsolver6v33100L18trti2_kernel_smallILi44EdPKPdEEv13rocblas_fill_17rocblas_diagonal_T1_iil
		.amdhsa_group_segment_fixed_size 704
		.amdhsa_private_segment_fixed_size 368
		.amdhsa_kernarg_size 32
		.amdhsa_user_sgpr_count 2
		.amdhsa_user_sgpr_dispatch_ptr 0
		.amdhsa_user_sgpr_queue_ptr 0
		.amdhsa_user_sgpr_kernarg_segment_ptr 1
		.amdhsa_user_sgpr_dispatch_id 0
		.amdhsa_user_sgpr_kernarg_preload_length 0
		.amdhsa_user_sgpr_kernarg_preload_offset 0
		.amdhsa_user_sgpr_private_segment_size 0
		.amdhsa_uses_dynamic_stack 0
		.amdhsa_enable_private_segment 1
		.amdhsa_system_sgpr_workgroup_id_x 1
		.amdhsa_system_sgpr_workgroup_id_y 0
		.amdhsa_system_sgpr_workgroup_id_z 0
		.amdhsa_system_sgpr_workgroup_info 0
		.amdhsa_system_vgpr_workitem_id 0
		.amdhsa_next_free_vgpr 102
		.amdhsa_next_free_sgpr 53
		.amdhsa_accum_offset 104
		.amdhsa_reserve_vcc 1
		.amdhsa_float_round_mode_32 0
		.amdhsa_float_round_mode_16_64 0
		.amdhsa_float_denorm_mode_32 3
		.amdhsa_float_denorm_mode_16_64 3
		.amdhsa_dx10_clamp 1
		.amdhsa_ieee_mode 1
		.amdhsa_fp16_overflow 0
		.amdhsa_tg_split 0
		.amdhsa_exception_fp_ieee_invalid_op 0
		.amdhsa_exception_fp_denorm_src 0
		.amdhsa_exception_fp_ieee_div_zero 0
		.amdhsa_exception_fp_ieee_overflow 0
		.amdhsa_exception_fp_ieee_underflow 0
		.amdhsa_exception_fp_ieee_inexact 0
		.amdhsa_exception_int_div_zero 0
	.end_amdhsa_kernel
	.section	.text._ZN9rocsolver6v33100L18trti2_kernel_smallILi44EdPKPdEEv13rocblas_fill_17rocblas_diagonal_T1_iil,"axG",@progbits,_ZN9rocsolver6v33100L18trti2_kernel_smallILi44EdPKPdEEv13rocblas_fill_17rocblas_diagonal_T1_iil,comdat
.Lfunc_end107:
	.size	_ZN9rocsolver6v33100L18trti2_kernel_smallILi44EdPKPdEEv13rocblas_fill_17rocblas_diagonal_T1_iil, .Lfunc_end107-_ZN9rocsolver6v33100L18trti2_kernel_smallILi44EdPKPdEEv13rocblas_fill_17rocblas_diagonal_T1_iil
                                        ; -- End function
	.set _ZN9rocsolver6v33100L18trti2_kernel_smallILi44EdPKPdEEv13rocblas_fill_17rocblas_diagonal_T1_iil.num_vgpr, 102
	.set _ZN9rocsolver6v33100L18trti2_kernel_smallILi44EdPKPdEEv13rocblas_fill_17rocblas_diagonal_T1_iil.num_agpr, 0
	.set _ZN9rocsolver6v33100L18trti2_kernel_smallILi44EdPKPdEEv13rocblas_fill_17rocblas_diagonal_T1_iil.numbered_sgpr, 53
	.set _ZN9rocsolver6v33100L18trti2_kernel_smallILi44EdPKPdEEv13rocblas_fill_17rocblas_diagonal_T1_iil.num_named_barrier, 0
	.set _ZN9rocsolver6v33100L18trti2_kernel_smallILi44EdPKPdEEv13rocblas_fill_17rocblas_diagonal_T1_iil.private_seg_size, 368
	.set _ZN9rocsolver6v33100L18trti2_kernel_smallILi44EdPKPdEEv13rocblas_fill_17rocblas_diagonal_T1_iil.uses_vcc, 1
	.set _ZN9rocsolver6v33100L18trti2_kernel_smallILi44EdPKPdEEv13rocblas_fill_17rocblas_diagonal_T1_iil.uses_flat_scratch, 0
	.set _ZN9rocsolver6v33100L18trti2_kernel_smallILi44EdPKPdEEv13rocblas_fill_17rocblas_diagonal_T1_iil.has_dyn_sized_stack, 0
	.set _ZN9rocsolver6v33100L18trti2_kernel_smallILi44EdPKPdEEv13rocblas_fill_17rocblas_diagonal_T1_iil.has_recursion, 0
	.set _ZN9rocsolver6v33100L18trti2_kernel_smallILi44EdPKPdEEv13rocblas_fill_17rocblas_diagonal_T1_iil.has_indirect_call, 0
	.section	.AMDGPU.csdata,"",@progbits
; Kernel info:
; codeLenInByte = 21336
; TotalNumSgprs: 59
; NumVgprs: 102
; NumAgprs: 0
; TotalNumVgprs: 102
; ScratchSize: 368
; MemoryBound: 0
; FloatMode: 240
; IeeeMode: 1
; LDSByteSize: 704 bytes/workgroup (compile time only)
; SGPRBlocks: 7
; VGPRBlocks: 12
; NumSGPRsForWavesPerEU: 59
; NumVGPRsForWavesPerEU: 102
; AccumOffset: 104
; Occupancy: 4
; WaveLimiterHint : 1
; COMPUTE_PGM_RSRC2:SCRATCH_EN: 1
; COMPUTE_PGM_RSRC2:USER_SGPR: 2
; COMPUTE_PGM_RSRC2:TRAP_HANDLER: 0
; COMPUTE_PGM_RSRC2:TGID_X_EN: 1
; COMPUTE_PGM_RSRC2:TGID_Y_EN: 0
; COMPUTE_PGM_RSRC2:TGID_Z_EN: 0
; COMPUTE_PGM_RSRC2:TIDIG_COMP_CNT: 0
; COMPUTE_PGM_RSRC3_GFX90A:ACCUM_OFFSET: 25
; COMPUTE_PGM_RSRC3_GFX90A:TG_SPLIT: 0
	.section	.text._ZN9rocsolver6v33100L18trti2_kernel_smallILi45EdPKPdEEv13rocblas_fill_17rocblas_diagonal_T1_iil,"axG",@progbits,_ZN9rocsolver6v33100L18trti2_kernel_smallILi45EdPKPdEEv13rocblas_fill_17rocblas_diagonal_T1_iil,comdat
	.globl	_ZN9rocsolver6v33100L18trti2_kernel_smallILi45EdPKPdEEv13rocblas_fill_17rocblas_diagonal_T1_iil ; -- Begin function _ZN9rocsolver6v33100L18trti2_kernel_smallILi45EdPKPdEEv13rocblas_fill_17rocblas_diagonal_T1_iil
	.p2align	8
	.type	_ZN9rocsolver6v33100L18trti2_kernel_smallILi45EdPKPdEEv13rocblas_fill_17rocblas_diagonal_T1_iil,@function
_ZN9rocsolver6v33100L18trti2_kernel_smallILi45EdPKPdEEv13rocblas_fill_17rocblas_diagonal_T1_iil: ; @_ZN9rocsolver6v33100L18trti2_kernel_smallILi45EdPKPdEEv13rocblas_fill_17rocblas_diagonal_T1_iil
; %bb.0:
	v_cmp_gt_u32_e32 vcc, 45, v0
	s_and_saveexec_b64 s[4:5], vcc
	s_cbranch_execz .LBB108_870
; %bb.1:
	s_load_dwordx2 s[8:9], s[0:1], 0x10
	s_load_dwordx4 s[4:7], s[0:1], 0x0
	s_ashr_i32 s3, s2, 31
	s_lshl_b64 s[0:1], s[2:3], 3
	v_lshlrev_b32_e32 v18, 3, v0
	s_waitcnt lgkmcnt(0)
	s_ashr_i32 s3, s8, 31
	s_add_u32 s0, s6, s0
	s_addc_u32 s1, s7, s1
	s_load_dwordx2 s[0:1], s[0:1], 0x0
	s_mov_b32 s2, s8
	s_lshl_b64 s[2:3], s[2:3], 3
	v_mov_b32_e32 v19, 0
	s_waitcnt lgkmcnt(0)
	s_add_u32 s0, s0, s2
	s_addc_u32 s1, s1, s3
	v_lshl_add_u64 v[2:3], s[0:1], 0, v[18:19]
	flat_load_dwordx2 v[6:7], v[2:3]
	s_mov_b32 s2, s9
	s_ashr_i32 s3, s9, 31
	v_lshl_add_u64 v[4:5], s[2:3], 3, v[2:3]
	s_add_i32 s2, s9, s9
	v_add_u32_e32 v10, s2, v0
	v_ashrrev_i32_e32 v11, 31, v10
	s_cmpk_lg_i32 s5, 0x84
	s_cselect_b64 s[6:7], -1, 0
	s_cmpk_eq_i32 s5, 0x84
	s_waitcnt vmcnt(0) lgkmcnt(0)
	scratch_store_dwordx2 off, v[6:7], off
	flat_load_dwordx2 v[8:9], v[4:5]
	v_lshl_add_u64 v[6:7], v[10:11], 3, s[0:1]
	v_add_u32_e32 v10, s9, v10
	v_ashrrev_i32_e32 v11, 31, v10
	v_add_u32_e32 v14, s9, v10
	v_ashrrev_i32_e32 v15, 31, v14
	s_waitcnt vmcnt(0) lgkmcnt(0)
	scratch_store_dwordx2 off, v[8:9], off offset:8
	flat_load_dwordx2 v[12:13], v[6:7]
	v_lshl_add_u64 v[8:9], v[10:11], 3, s[0:1]
	v_lshl_add_u64 v[10:11], v[14:15], 3, s[0:1]
	v_add_u32_e32 v14, s9, v14
	v_ashrrev_i32_e32 v15, 31, v14
	v_add_u32_e32 v20, s9, v14
	v_ashrrev_i32_e32 v21, 31, v20
	s_waitcnt vmcnt(0) lgkmcnt(0)
	scratch_store_dwordx2 off, v[12:13], off offset:16
	flat_load_dwordx2 v[12:13], v[8:9]
	s_waitcnt vmcnt(0) lgkmcnt(0)
	scratch_store_dwordx2 off, v[12:13], off offset:24
	flat_load_dwordx2 v[16:17], v[10:11]
	v_lshl_add_u64 v[12:13], v[14:15], 3, s[0:1]
	v_lshl_add_u64 v[14:15], v[20:21], 3, s[0:1]
	v_add_u32_e32 v20, s9, v20
	v_ashrrev_i32_e32 v21, 31, v20
	v_add_u32_e32 v24, s9, v20
	v_ashrrev_i32_e32 v25, 31, v24
	s_waitcnt vmcnt(0) lgkmcnt(0)
	scratch_store_dwordx2 off, v[16:17], off offset:32
	flat_load_dwordx2 v[16:17], v[12:13]
	;; [unrolled: 12-line block ×19, first 2 shown]
	s_waitcnt vmcnt(0) lgkmcnt(0)
	scratch_store_dwordx2 off, v[86:87], off offset:312
	flat_load_dwordx2 v[90:91], v[84:85]
	v_lshl_add_u64 v[86:87], v[88:89], 3, s[0:1]
	v_lshl_add_u64 v[88:89], v[92:93], 3, s[0:1]
	v_add_u32_e32 v92, s9, v92
	v_ashrrev_i32_e32 v93, 31, v92
	s_waitcnt vmcnt(0) lgkmcnt(0)
	scratch_store_dwordx2 off, v[90:91], off offset:320
	flat_load_dwordx2 v[90:91], v[86:87]
	s_waitcnt vmcnt(0) lgkmcnt(0)
	scratch_store_dwordx2 off, v[90:91], off offset:328
	flat_load_dwordx2 v[94:95], v[88:89]
	v_lshl_add_u64 v[90:91], v[92:93], 3, s[0:1]
	v_add_u32_e32 v92, s9, v92
	v_ashrrev_i32_e32 v93, 31, v92
	v_lshl_add_u64 v[92:93], v[92:93], 3, s[0:1]
	s_waitcnt vmcnt(0) lgkmcnt(0)
	scratch_store_dwordx2 off, v[94:95], off offset:336
	flat_load_dwordx2 v[94:95], v[90:91]
	s_waitcnt vmcnt(0) lgkmcnt(0)
	scratch_store_dwordx2 off, v[94:95], off offset:344
	flat_load_dwordx2 v[94:95], v[92:93]
	s_waitcnt vmcnt(0) lgkmcnt(0)
	scratch_store_dwordx2 off, v[94:95], off offset:352
	v_mov_b64_e32 v[94:95], -1.0
	s_cbranch_scc1 .LBB108_3
; %bb.2:
	scratch_load_dwordx2 v[94:95], v18, off
	s_waitcnt vmcnt(0)
	v_div_scale_f64 v[96:97], s[0:1], v[94:95], v[94:95], 1.0
	v_rcp_f64_e32 v[98:99], v[96:97]
	v_div_scale_f64 v[100:101], vcc, 1.0, v[94:95], 1.0
	v_fma_f64 v[102:103], -v[96:97], v[98:99], 1.0
	v_fmac_f64_e32 v[98:99], v[98:99], v[102:103]
	v_fma_f64 v[102:103], -v[96:97], v[98:99], 1.0
	v_fmac_f64_e32 v[98:99], v[98:99], v[102:103]
	v_mul_f64 v[102:103], v[100:101], v[98:99]
	v_fma_f64 v[96:97], -v[96:97], v[102:103], v[100:101]
	v_div_fmas_f64 v[96:97], v[96:97], v[98:99], v[102:103]
	v_div_fixup_f64 v[94:95], v[96:97], v[94:95], 1.0
	scratch_store_dwordx2 v18, v[94:95], off
	v_xor_b32_e32 v95, 0x80000000, v95
.LBB108_3:
	s_cmpk_eq_i32 s4, 0x79
	v_add_u32_e32 v1, 0x170, v18
	v_mov_b32_e32 v19, v18
	s_mov_b64 s[0:1], -1
	ds_write_b64 v18, v[94:95]
	s_cbranch_scc1 .LBB108_437
; %bb.4:
	scratch_load_dwordx2 v[94:95], off, off offset:344
	s_movk_i32 s8, 0x48
	s_movk_i32 s9, 0x50
	;; [unrolled: 1-line block ×34, first 2 shown]
	v_cmp_eq_u32_e64 s[0:1], 44, v0
	s_waitcnt vmcnt(0)
	ds_write_b64 v1, v[94:95]
	s_waitcnt lgkmcnt(0)
	; wave barrier
	s_and_saveexec_b64 s[2:3], s[0:1]
	s_cbranch_execz .LBB108_10
; %bb.5:
	s_and_b64 vcc, exec, s[6:7]
	s_cbranch_vccz .LBB108_7
; %bb.6:
	scratch_load_dwordx2 v[94:95], v19, off
	ds_read_b64 v[96:97], v1
	s_waitcnt vmcnt(0) lgkmcnt(0)
	v_mul_f64 v[94:95], v[94:95], v[96:97]
	s_cbranch_execz .LBB108_8
	s_branch .LBB108_9
.LBB108_7:
                                        ; implicit-def: $vgpr94_vgpr95
.LBB108_8:
	ds_read_b64 v[94:95], v1
.LBB108_9:
	v_mov_b32_e32 v96, 0
	ds_read_b64 v[96:97], v96 offset:344
	s_waitcnt lgkmcnt(0)
	v_mul_f64 v[94:95], v[94:95], v[96:97]
	scratch_store_dwordx2 off, v[94:95], off offset:344
.LBB108_10:
	s_or_b64 exec, exec, s[2:3]
	scratch_load_dwordx2 v[94:95], off, off offset:336
	s_or_b32 s10, 0, 8
	s_mov_b32 s11, 16
	s_mov_b32 s12, 24
	;; [unrolled: 1-line block ×9, first 2 shown]
	v_cmp_lt_u32_e64 s[2:3], 42, v0
	s_waitcnt vmcnt(0)
	ds_write_b64 v1, v[94:95]
	s_waitcnt lgkmcnt(0)
	; wave barrier
	s_and_saveexec_b64 s[4:5], s[2:3]
	s_cbranch_execz .LBB108_16
; %bb.11:
	s_andn2_b64 vcc, exec, s[6:7]
	s_cbranch_vccnz .LBB108_13
; %bb.12:
	scratch_load_dwordx2 v[94:95], v19, off
	ds_read_b64 v[96:97], v1
	s_waitcnt vmcnt(0) lgkmcnt(0)
	v_mul_f64 v[94:95], v[94:95], v[96:97]
	s_cbranch_execz .LBB108_14
	s_branch .LBB108_15
.LBB108_13:
                                        ; implicit-def: $vgpr94_vgpr95
.LBB108_14:
	ds_read_b64 v[94:95], v1
.LBB108_15:
	scratch_load_dwordx2 v[100:101], off, off offset:344
	v_mov_b32_e32 v96, 0
	ds_read2_b64 v[96:99], v96 offset0:42 offset1:89
	s_waitcnt vmcnt(0) lgkmcnt(0)
	v_fma_f64 v[98:99], v[100:101], v[98:99], v[94:95]
	v_cndmask_b32_e64 v95, v95, v99, s[0:1]
	v_cndmask_b32_e64 v94, v94, v98, s[0:1]
	v_mul_f64 v[94:95], v[94:95], v[96:97]
	scratch_store_dwordx2 off, v[94:95], off offset:336
.LBB108_16:
	s_or_b64 exec, exec, s[4:5]
	scratch_load_dwordx2 v[94:95], off, off offset:328
	v_cmp_lt_u32_e64 s[0:1], 41, v0
	s_waitcnt vmcnt(0)
	ds_write_b64 v1, v[94:95]
	s_waitcnt lgkmcnt(0)
	; wave barrier
	s_and_saveexec_b64 s[4:5], s[0:1]
	s_cbranch_execz .LBB108_26
; %bb.17:
	s_andn2_b64 vcc, exec, s[6:7]
	s_cbranch_vccnz .LBB108_19
; %bb.18:
	scratch_load_dwordx2 v[94:95], v19, off
	ds_read_b64 v[96:97], v1
	s_waitcnt vmcnt(0) lgkmcnt(0)
	v_mul_f64 v[94:95], v[94:95], v[96:97]
	s_cbranch_execz .LBB108_20
	s_branch .LBB108_21
.LBB108_19:
                                        ; implicit-def: $vgpr94_vgpr95
.LBB108_20:
	ds_read_b64 v[94:95], v1
.LBB108_21:
	s_and_saveexec_b64 s[8:9], s[2:3]
	s_cbranch_execz .LBB108_25
; %bb.22:
	v_subrev_u32_e32 v96, 42, v0
	s_movk_i32 s53, 0x2c0
	s_mov_b64 s[2:3], 0
.LBB108_23:                             ; =>This Inner Loop Header: Depth=1
	scratch_load_dwordx2 v[98:99], off, s52
	v_mov_b32_e32 v97, s53
	ds_read_b64 v[100:101], v97
	v_add_u32_e32 v96, -1, v96
	s_add_i32 s53, s53, 8
	s_add_i32 s52, s52, 8
	v_cmp_eq_u32_e32 vcc, 0, v96
	s_or_b64 s[2:3], vcc, s[2:3]
	s_waitcnt vmcnt(0) lgkmcnt(0)
	v_fmac_f64_e32 v[94:95], v[98:99], v[100:101]
	s_andn2_b64 exec, exec, s[2:3]
	s_cbranch_execnz .LBB108_23
; %bb.24:
	s_or_b64 exec, exec, s[2:3]
.LBB108_25:
	s_or_b64 exec, exec, s[8:9]
	v_mov_b32_e32 v96, 0
	ds_read_b64 v[96:97], v96 offset:328
	s_waitcnt lgkmcnt(0)
	v_mul_f64 v[94:95], v[94:95], v[96:97]
	scratch_store_dwordx2 off, v[94:95], off offset:328
.LBB108_26:
	s_or_b64 exec, exec, s[4:5]
	scratch_load_dwordx2 v[94:95], off, off offset:320
	v_cmp_lt_u32_e64 s[2:3], 40, v0
	s_waitcnt vmcnt(0)
	ds_write_b64 v1, v[94:95]
	s_waitcnt lgkmcnt(0)
	; wave barrier
	s_and_saveexec_b64 s[4:5], s[2:3]
	s_cbranch_execz .LBB108_36
; %bb.27:
	s_andn2_b64 vcc, exec, s[6:7]
	s_cbranch_vccnz .LBB108_29
; %bb.28:
	scratch_load_dwordx2 v[94:95], v19, off
	ds_read_b64 v[96:97], v1
	s_waitcnt vmcnt(0) lgkmcnt(0)
	v_mul_f64 v[94:95], v[94:95], v[96:97]
	s_cbranch_execz .LBB108_30
	s_branch .LBB108_31
.LBB108_29:
                                        ; implicit-def: $vgpr94_vgpr95
.LBB108_30:
	ds_read_b64 v[94:95], v1
.LBB108_31:
	s_and_saveexec_b64 s[8:9], s[0:1]
	s_cbranch_execz .LBB108_35
; %bb.32:
	v_subrev_u32_e32 v96, 41, v0
	s_movk_i32 s52, 0x2b8
	s_mov_b64 s[0:1], 0
.LBB108_33:                             ; =>This Inner Loop Header: Depth=1
	scratch_load_dwordx2 v[98:99], off, s51
	v_mov_b32_e32 v97, s52
	ds_read_b64 v[100:101], v97
	v_add_u32_e32 v96, -1, v96
	s_add_i32 s52, s52, 8
	s_add_i32 s51, s51, 8
	v_cmp_eq_u32_e32 vcc, 0, v96
	s_or_b64 s[0:1], vcc, s[0:1]
	s_waitcnt vmcnt(0) lgkmcnt(0)
	v_fmac_f64_e32 v[94:95], v[98:99], v[100:101]
	s_andn2_b64 exec, exec, s[0:1]
	s_cbranch_execnz .LBB108_33
; %bb.34:
	s_or_b64 exec, exec, s[0:1]
.LBB108_35:
	s_or_b64 exec, exec, s[8:9]
	v_mov_b32_e32 v96, 0
	ds_read_b64 v[96:97], v96 offset:320
	s_waitcnt lgkmcnt(0)
	v_mul_f64 v[94:95], v[94:95], v[96:97]
	scratch_store_dwordx2 off, v[94:95], off offset:320
.LBB108_36:
	;; [unrolled: 53-line block ×8, first 2 shown]
	s_or_b64 exec, exec, s[4:5]
	scratch_load_dwordx2 v[94:95], off, off offset:264
	v_cmp_lt_u32_e64 s[0:1], 33, v0
	s_waitcnt vmcnt(0)
	ds_write_b64 v1, v[94:95]
	s_waitcnt lgkmcnt(0)
	; wave barrier
	s_and_saveexec_b64 s[4:5], s[0:1]
	s_cbranch_execz .LBB108_106
; %bb.97:
	s_andn2_b64 vcc, exec, s[6:7]
	s_cbranch_vccnz .LBB108_99
; %bb.98:
	scratch_load_dwordx2 v[94:95], v19, off
	ds_read_b64 v[96:97], v1
	s_waitcnt vmcnt(0) lgkmcnt(0)
	v_mul_f64 v[94:95], v[94:95], v[96:97]
	s_cbranch_execz .LBB108_100
	s_branch .LBB108_101
.LBB108_99:
                                        ; implicit-def: $vgpr94_vgpr95
.LBB108_100:
	ds_read_b64 v[94:95], v1
.LBB108_101:
	s_and_saveexec_b64 s[8:9], s[2:3]
	s_cbranch_execz .LBB108_105
; %bb.102:
	v_subrev_u32_e32 v96, 34, v0
	s_movk_i32 s45, 0x280
	s_mov_b64 s[2:3], 0
.LBB108_103:                            ; =>This Inner Loop Header: Depth=1
	scratch_load_dwordx2 v[98:99], off, s44
	v_mov_b32_e32 v97, s45
	ds_read_b64 v[100:101], v97
	v_add_u32_e32 v96, -1, v96
	s_add_i32 s45, s45, 8
	s_add_i32 s44, s44, 8
	v_cmp_eq_u32_e32 vcc, 0, v96
	s_or_b64 s[2:3], vcc, s[2:3]
	s_waitcnt vmcnt(0) lgkmcnt(0)
	v_fmac_f64_e32 v[94:95], v[98:99], v[100:101]
	s_andn2_b64 exec, exec, s[2:3]
	s_cbranch_execnz .LBB108_103
; %bb.104:
	s_or_b64 exec, exec, s[2:3]
.LBB108_105:
	s_or_b64 exec, exec, s[8:9]
	v_mov_b32_e32 v96, 0
	ds_read_b64 v[96:97], v96 offset:264
	s_waitcnt lgkmcnt(0)
	v_mul_f64 v[94:95], v[94:95], v[96:97]
	scratch_store_dwordx2 off, v[94:95], off offset:264
.LBB108_106:
	s_or_b64 exec, exec, s[4:5]
	scratch_load_dwordx2 v[94:95], off, off offset:256
	v_cmp_lt_u32_e64 s[2:3], 32, v0
	s_waitcnt vmcnt(0)
	ds_write_b64 v1, v[94:95]
	s_waitcnt lgkmcnt(0)
	; wave barrier
	s_and_saveexec_b64 s[4:5], s[2:3]
	s_cbranch_execz .LBB108_116
; %bb.107:
	s_andn2_b64 vcc, exec, s[6:7]
	s_cbranch_vccnz .LBB108_109
; %bb.108:
	scratch_load_dwordx2 v[94:95], v19, off
	ds_read_b64 v[96:97], v1
	s_waitcnt vmcnt(0) lgkmcnt(0)
	v_mul_f64 v[94:95], v[94:95], v[96:97]
	s_cbranch_execz .LBB108_110
	s_branch .LBB108_111
.LBB108_109:
                                        ; implicit-def: $vgpr94_vgpr95
.LBB108_110:
	ds_read_b64 v[94:95], v1
.LBB108_111:
	s_and_saveexec_b64 s[8:9], s[0:1]
	s_cbranch_execz .LBB108_115
; %bb.112:
	v_subrev_u32_e32 v96, 33, v0
	s_movk_i32 s44, 0x278
	s_mov_b64 s[0:1], 0
.LBB108_113:                            ; =>This Inner Loop Header: Depth=1
	scratch_load_dwordx2 v[98:99], off, s43
	v_mov_b32_e32 v97, s44
	ds_read_b64 v[100:101], v97
	v_add_u32_e32 v96, -1, v96
	s_add_i32 s44, s44, 8
	s_add_i32 s43, s43, 8
	v_cmp_eq_u32_e32 vcc, 0, v96
	s_or_b64 s[0:1], vcc, s[0:1]
	s_waitcnt vmcnt(0) lgkmcnt(0)
	v_fmac_f64_e32 v[94:95], v[98:99], v[100:101]
	s_andn2_b64 exec, exec, s[0:1]
	s_cbranch_execnz .LBB108_113
; %bb.114:
	s_or_b64 exec, exec, s[0:1]
.LBB108_115:
	s_or_b64 exec, exec, s[8:9]
	v_mov_b32_e32 v96, 0
	ds_read_b64 v[96:97], v96 offset:256
	s_waitcnt lgkmcnt(0)
	v_mul_f64 v[94:95], v[94:95], v[96:97]
	scratch_store_dwordx2 off, v[94:95], off offset:256
.LBB108_116:
	;; [unrolled: 53-line block ×18, first 2 shown]
	s_or_b64 exec, exec, s[4:5]
	scratch_load_dwordx2 v[94:95], off, off offset:120
	v_cmp_lt_u32_e64 s[0:1], 15, v0
	s_waitcnt vmcnt(0)
	ds_write_b64 v1, v[94:95]
	s_waitcnt lgkmcnt(0)
	; wave barrier
	s_and_saveexec_b64 s[4:5], s[0:1]
	s_cbranch_execz .LBB108_286
; %bb.277:
	s_andn2_b64 vcc, exec, s[6:7]
	s_cbranch_vccnz .LBB108_279
; %bb.278:
	scratch_load_dwordx2 v[94:95], v19, off
	ds_read_b64 v[96:97], v1
	s_waitcnt vmcnt(0) lgkmcnt(0)
	v_mul_f64 v[94:95], v[94:95], v[96:97]
	s_cbranch_execz .LBB108_280
	s_branch .LBB108_281
.LBB108_279:
                                        ; implicit-def: $vgpr94_vgpr95
.LBB108_280:
	ds_read_b64 v[94:95], v1
.LBB108_281:
	s_and_saveexec_b64 s[8:9], s[2:3]
	s_cbranch_execz .LBB108_285
; %bb.282:
	v_add_u32_e32 v96, -16, v0
	s_movk_i32 s26, 0x1f0
	s_mov_b64 s[2:3], 0
.LBB108_283:                            ; =>This Inner Loop Header: Depth=1
	scratch_load_dwordx2 v[98:99], off, s25
	v_mov_b32_e32 v97, s26
	ds_read_b64 v[100:101], v97
	v_add_u32_e32 v96, -1, v96
	s_add_i32 s26, s26, 8
	s_add_i32 s25, s25, 8
	v_cmp_eq_u32_e32 vcc, 0, v96
	s_or_b64 s[2:3], vcc, s[2:3]
	s_waitcnt vmcnt(0) lgkmcnt(0)
	v_fmac_f64_e32 v[94:95], v[98:99], v[100:101]
	s_andn2_b64 exec, exec, s[2:3]
	s_cbranch_execnz .LBB108_283
; %bb.284:
	s_or_b64 exec, exec, s[2:3]
.LBB108_285:
	s_or_b64 exec, exec, s[8:9]
	v_mov_b32_e32 v96, 0
	ds_read_b64 v[96:97], v96 offset:120
	s_waitcnt lgkmcnt(0)
	v_mul_f64 v[94:95], v[94:95], v[96:97]
	scratch_store_dwordx2 off, v[94:95], off offset:120
.LBB108_286:
	s_or_b64 exec, exec, s[4:5]
	scratch_load_dwordx2 v[94:95], off, off offset:112
	v_cmp_lt_u32_e64 s[2:3], 14, v0
	s_waitcnt vmcnt(0)
	ds_write_b64 v1, v[94:95]
	s_waitcnt lgkmcnt(0)
	; wave barrier
	s_and_saveexec_b64 s[4:5], s[2:3]
	s_cbranch_execz .LBB108_296
; %bb.287:
	s_andn2_b64 vcc, exec, s[6:7]
	s_cbranch_vccnz .LBB108_289
; %bb.288:
	scratch_load_dwordx2 v[94:95], v19, off
	ds_read_b64 v[96:97], v1
	s_waitcnt vmcnt(0) lgkmcnt(0)
	v_mul_f64 v[94:95], v[94:95], v[96:97]
	s_cbranch_execz .LBB108_290
	s_branch .LBB108_291
.LBB108_289:
                                        ; implicit-def: $vgpr94_vgpr95
.LBB108_290:
	ds_read_b64 v[94:95], v1
.LBB108_291:
	s_and_saveexec_b64 s[8:9], s[0:1]
	s_cbranch_execz .LBB108_295
; %bb.292:
	v_add_u32_e32 v96, -15, v0
	s_movk_i32 s25, 0x1e8
	s_mov_b64 s[0:1], 0
.LBB108_293:                            ; =>This Inner Loop Header: Depth=1
	scratch_load_dwordx2 v[98:99], off, s24
	v_mov_b32_e32 v97, s25
	ds_read_b64 v[100:101], v97
	v_add_u32_e32 v96, -1, v96
	s_add_i32 s25, s25, 8
	s_add_i32 s24, s24, 8
	v_cmp_eq_u32_e32 vcc, 0, v96
	s_or_b64 s[0:1], vcc, s[0:1]
	s_waitcnt vmcnt(0) lgkmcnt(0)
	v_fmac_f64_e32 v[94:95], v[98:99], v[100:101]
	s_andn2_b64 exec, exec, s[0:1]
	s_cbranch_execnz .LBB108_293
; %bb.294:
	s_or_b64 exec, exec, s[0:1]
.LBB108_295:
	s_or_b64 exec, exec, s[8:9]
	v_mov_b32_e32 v96, 0
	ds_read_b64 v[96:97], v96 offset:112
	s_waitcnt lgkmcnt(0)
	v_mul_f64 v[94:95], v[94:95], v[96:97]
	scratch_store_dwordx2 off, v[94:95], off offset:112
.LBB108_296:
	;; [unrolled: 53-line block ×15, first 2 shown]
	s_or_b64 exec, exec, s[4:5]
	scratch_load_dwordx2 v[94:95], off, off
	v_cmp_ne_u32_e32 vcc, 0, v0
	s_waitcnt vmcnt(0)
	ds_write_b64 v1, v[94:95]
	s_waitcnt lgkmcnt(0)
	; wave barrier
	s_and_saveexec_b64 s[2:3], vcc
	s_cbranch_execz .LBB108_436
; %bb.427:
	s_andn2_b64 vcc, exec, s[6:7]
	s_cbranch_vccnz .LBB108_429
; %bb.428:
	scratch_load_dwordx2 v[94:95], v19, off
	ds_read_b64 v[96:97], v1
	s_waitcnt vmcnt(0) lgkmcnt(0)
	v_mul_f64 v[94:95], v[94:95], v[96:97]
	s_cbranch_execz .LBB108_430
	s_branch .LBB108_431
.LBB108_429:
                                        ; implicit-def: $vgpr94_vgpr95
.LBB108_430:
	ds_read_b64 v[94:95], v1
.LBB108_431:
	s_and_saveexec_b64 s[4:5], s[0:1]
	s_cbranch_execz .LBB108_435
; %bb.432:
	v_add_u32_e32 v96, -1, v0
	s_movk_i32 s8, 0x178
	s_mov_b64 s[0:1], 0
.LBB108_433:                            ; =>This Inner Loop Header: Depth=1
	scratch_load_dwordx2 v[98:99], off, s10
	v_mov_b32_e32 v97, s8
	ds_read_b64 v[100:101], v97
	v_add_u32_e32 v96, -1, v96
	s_add_i32 s8, s8, 8
	s_add_i32 s10, s10, 8
	v_cmp_eq_u32_e32 vcc, 0, v96
	s_or_b64 s[0:1], vcc, s[0:1]
	s_waitcnt vmcnt(0) lgkmcnt(0)
	v_fmac_f64_e32 v[94:95], v[98:99], v[100:101]
	s_andn2_b64 exec, exec, s[0:1]
	s_cbranch_execnz .LBB108_433
; %bb.434:
	s_or_b64 exec, exec, s[0:1]
.LBB108_435:
	s_or_b64 exec, exec, s[4:5]
	v_mov_b32_e32 v96, 0
	ds_read_b64 v[96:97], v96
	s_waitcnt lgkmcnt(0)
	v_mul_f64 v[94:95], v[94:95], v[96:97]
	scratch_store_dwordx2 off, v[94:95], off
.LBB108_436:
	s_or_b64 exec, exec, s[2:3]
	s_mov_b64 s[0:1], 0
.LBB108_437:
	s_and_b64 vcc, exec, s[0:1]
	s_cbranch_vccz .LBB108_869
; %bb.438:
	scratch_load_dwordx2 v[94:95], off, off offset:8
	v_cmp_eq_u32_e64 s[2:3], 0, v0
	s_waitcnt vmcnt(0)
	ds_write_b64 v1, v[94:95]
	s_waitcnt lgkmcnt(0)
	; wave barrier
	s_and_saveexec_b64 s[0:1], s[2:3]
	s_cbranch_execz .LBB108_444
; %bb.439:
	s_and_b64 vcc, exec, s[6:7]
	s_cbranch_vccz .LBB108_441
; %bb.440:
	scratch_load_dwordx2 v[94:95], v19, off
	ds_read_b64 v[96:97], v1
	s_waitcnt vmcnt(0) lgkmcnt(0)
	v_mul_f64 v[94:95], v[94:95], v[96:97]
	s_cbranch_execz .LBB108_442
	s_branch .LBB108_443
.LBB108_441:
                                        ; implicit-def: $vgpr94_vgpr95
.LBB108_442:
	ds_read_b64 v[94:95], v1
.LBB108_443:
	v_mov_b32_e32 v96, 0
	ds_read_b64 v[96:97], v96 offset:8
	s_waitcnt lgkmcnt(0)
	v_mul_f64 v[94:95], v[94:95], v[96:97]
	scratch_store_dwordx2 off, v[94:95], off offset:8
.LBB108_444:
	s_or_b64 exec, exec, s[0:1]
	scratch_load_dwordx2 v[94:95], off, off offset:16
	v_cndmask_b32_e64 v96, 0, 1, s[6:7]
	v_cmp_gt_u32_e32 vcc, 2, v0
	v_cmp_ne_u32_e64 s[0:1], 1, v96
	s_waitcnt vmcnt(0)
	ds_write_b64 v1, v[94:95]
	s_waitcnt lgkmcnt(0)
	; wave barrier
	s_and_saveexec_b64 s[4:5], vcc
	s_cbranch_execz .LBB108_450
; %bb.445:
	s_and_b64 vcc, exec, s[0:1]
	s_cbranch_vccnz .LBB108_447
; %bb.446:
	scratch_load_dwordx2 v[94:95], v19, off
	ds_read_b64 v[96:97], v1
	s_waitcnt vmcnt(0) lgkmcnt(0)
	v_mul_f64 v[94:95], v[94:95], v[96:97]
	s_cbranch_execz .LBB108_448
	s_branch .LBB108_449
.LBB108_447:
                                        ; implicit-def: $vgpr94_vgpr95
.LBB108_448:
	ds_read_b64 v[94:95], v1
.LBB108_449:
	scratch_load_dwordx2 v[100:101], off, off offset:8
	v_mov_b32_e32 v96, 0
	ds_read2_b64 v[96:99], v96 offset0:2 offset1:47
	s_waitcnt vmcnt(0) lgkmcnt(0)
	v_fma_f64 v[98:99], v[100:101], v[98:99], v[94:95]
	v_cndmask_b32_e64 v95, v95, v99, s[2:3]
	v_cndmask_b32_e64 v94, v94, v98, s[2:3]
	v_mul_f64 v[94:95], v[94:95], v[96:97]
	scratch_store_dwordx2 off, v[94:95], off offset:16
.LBB108_450:
	s_or_b64 exec, exec, s[4:5]
	scratch_load_dwordx2 v[94:95], off, off offset:24
	v_cmp_gt_u32_e32 vcc, 3, v0
	s_waitcnt vmcnt(0)
	ds_write_b64 v1, v[94:95]
	s_waitcnt lgkmcnt(0)
	; wave barrier
	s_and_saveexec_b64 s[4:5], vcc
	s_cbranch_execz .LBB108_458
; %bb.451:
	s_and_b64 vcc, exec, s[0:1]
	s_cbranch_vccnz .LBB108_453
; %bb.452:
	scratch_load_dwordx2 v[94:95], v19, off
	ds_read_b64 v[96:97], v1
	s_waitcnt vmcnt(0) lgkmcnt(0)
	v_mul_f64 v[94:95], v[94:95], v[96:97]
	s_cbranch_execz .LBB108_454
	s_branch .LBB108_455
.LBB108_453:
                                        ; implicit-def: $vgpr94_vgpr95
.LBB108_454:
	ds_read_b64 v[94:95], v1
.LBB108_455:
	v_cmp_ne_u32_e32 vcc, 2, v0
	s_and_saveexec_b64 s[6:7], vcc
	s_cbranch_execz .LBB108_457
; %bb.456:
	scratch_load_dwordx2 v[96:97], v19, off offset:8
	scratch_load_dwordx2 v[98:99], off, off offset:16
	ds_read_b64 v[100:101], v1 offset:8
	v_mov_b32_e32 v102, 0
	ds_read_b64 v[102:103], v102 offset:384
	s_waitcnt vmcnt(1) lgkmcnt(1)
	v_fmac_f64_e32 v[94:95], v[96:97], v[100:101]
	s_waitcnt vmcnt(0) lgkmcnt(0)
	v_fma_f64 v[96:97], v[98:99], v[102:103], v[94:95]
	v_cndmask_b32_e64 v95, v95, v97, s[2:3]
	v_cndmask_b32_e64 v94, v94, v96, s[2:3]
.LBB108_457:
	s_or_b64 exec, exec, s[6:7]
	v_mov_b32_e32 v96, 0
	ds_read_b64 v[96:97], v96 offset:24
	s_waitcnt lgkmcnt(0)
	v_mul_f64 v[94:95], v[94:95], v[96:97]
	scratch_store_dwordx2 off, v[94:95], off offset:24
.LBB108_458:
	s_or_b64 exec, exec, s[4:5]
	scratch_load_dwordx2 v[94:95], off, off offset:32
	v_cmp_gt_u32_e32 vcc, 4, v0
	s_waitcnt vmcnt(0)
	ds_write_b64 v1, v[94:95]
	s_waitcnt lgkmcnt(0)
	; wave barrier
	s_and_saveexec_b64 s[2:3], vcc
	s_cbranch_execz .LBB108_468
; %bb.459:
	s_and_b64 vcc, exec, s[0:1]
	s_cbranch_vccnz .LBB108_461
; %bb.460:
	scratch_load_dwordx2 v[94:95], v19, off
	ds_read_b64 v[96:97], v1
	s_waitcnt vmcnt(0) lgkmcnt(0)
	v_mul_f64 v[94:95], v[94:95], v[96:97]
	s_cbranch_execz .LBB108_462
	s_branch .LBB108_463
.LBB108_461:
                                        ; implicit-def: $vgpr94_vgpr95
.LBB108_462:
	ds_read_b64 v[94:95], v1
.LBB108_463:
	v_cmp_ne_u32_e32 vcc, 3, v0
	s_and_saveexec_b64 s[4:5], vcc
	s_cbranch_execz .LBB108_467
; %bb.464:
	s_mov_b32 s6, 0
	v_add_u32_e32 v96, 0x178, v18
	v_add3_u32 v97, v18, s6, 8
	s_mov_b64 s[6:7], 0
	v_mov_b32_e32 v98, v0
.LBB108_465:                            ; =>This Inner Loop Header: Depth=1
	scratch_load_dwordx2 v[100:101], v97, off
	ds_read_b64 v[102:103], v96
	v_add_u32_e32 v98, 1, v98
	v_cmp_lt_u32_e32 vcc, 2, v98
	v_add_u32_e32 v96, 8, v96
	v_add_u32_e32 v97, 8, v97
	s_or_b64 s[6:7], vcc, s[6:7]
	s_waitcnt vmcnt(0) lgkmcnt(0)
	v_fmac_f64_e32 v[94:95], v[100:101], v[102:103]
	s_andn2_b64 exec, exec, s[6:7]
	s_cbranch_execnz .LBB108_465
; %bb.466:
	s_or_b64 exec, exec, s[6:7]
.LBB108_467:
	s_or_b64 exec, exec, s[4:5]
	v_mov_b32_e32 v96, 0
	ds_read_b64 v[96:97], v96 offset:32
	s_waitcnt lgkmcnt(0)
	v_mul_f64 v[94:95], v[94:95], v[96:97]
	scratch_store_dwordx2 off, v[94:95], off offset:32
.LBB108_468:
	s_or_b64 exec, exec, s[2:3]
	scratch_load_dwordx2 v[94:95], off, off offset:40
	v_cmp_gt_u32_e32 vcc, 5, v0
	s_waitcnt vmcnt(0)
	ds_write_b64 v1, v[94:95]
	s_waitcnt lgkmcnt(0)
	; wave barrier
	s_and_saveexec_b64 s[2:3], vcc
	s_cbranch_execz .LBB108_478
; %bb.469:
	s_and_b64 vcc, exec, s[0:1]
	s_cbranch_vccnz .LBB108_471
; %bb.470:
	scratch_load_dwordx2 v[94:95], v19, off
	ds_read_b64 v[96:97], v1
	s_waitcnt vmcnt(0) lgkmcnt(0)
	v_mul_f64 v[94:95], v[94:95], v[96:97]
	s_cbranch_execz .LBB108_472
	s_branch .LBB108_473
.LBB108_471:
                                        ; implicit-def: $vgpr94_vgpr95
.LBB108_472:
	ds_read_b64 v[94:95], v1
.LBB108_473:
	v_cmp_ne_u32_e32 vcc, 4, v0
	s_and_saveexec_b64 s[4:5], vcc
	s_cbranch_execz .LBB108_477
; %bb.474:
	s_mov_b32 s6, 0
	v_add_u32_e32 v96, 0x178, v18
	v_add3_u32 v97, v18, s6, 8
	s_mov_b64 s[6:7], 0
	v_mov_b32_e32 v98, v0
.LBB108_475:                            ; =>This Inner Loop Header: Depth=1
	scratch_load_dwordx2 v[100:101], v97, off
	ds_read_b64 v[102:103], v96
	v_add_u32_e32 v98, 1, v98
	v_cmp_lt_u32_e32 vcc, 3, v98
	v_add_u32_e32 v96, 8, v96
	v_add_u32_e32 v97, 8, v97
	s_or_b64 s[6:7], vcc, s[6:7]
	s_waitcnt vmcnt(0) lgkmcnt(0)
	v_fmac_f64_e32 v[94:95], v[100:101], v[102:103]
	s_andn2_b64 exec, exec, s[6:7]
	s_cbranch_execnz .LBB108_475
; %bb.476:
	s_or_b64 exec, exec, s[6:7]
.LBB108_477:
	s_or_b64 exec, exec, s[4:5]
	v_mov_b32_e32 v96, 0
	ds_read_b64 v[96:97], v96 offset:40
	s_waitcnt lgkmcnt(0)
	v_mul_f64 v[94:95], v[94:95], v[96:97]
	scratch_store_dwordx2 off, v[94:95], off offset:40
.LBB108_478:
	;; [unrolled: 55-line block ×39, first 2 shown]
	s_or_b64 exec, exec, s[2:3]
	scratch_load_dwordx2 v[94:95], off, off offset:344
	v_cmp_gt_u32_e64 s[2:3], 43, v0
	s_waitcnt vmcnt(0)
	ds_write_b64 v1, v[94:95]
	s_waitcnt lgkmcnt(0)
	; wave barrier
	s_and_saveexec_b64 s[4:5], s[2:3]
	s_cbranch_execz .LBB108_858
; %bb.849:
	s_and_b64 vcc, exec, s[0:1]
	s_cbranch_vccnz .LBB108_851
; %bb.850:
	scratch_load_dwordx2 v[94:95], v19, off
	ds_read_b64 v[96:97], v1
	s_waitcnt vmcnt(0) lgkmcnt(0)
	v_mul_f64 v[94:95], v[94:95], v[96:97]
	s_cbranch_execz .LBB108_852
	s_branch .LBB108_853
.LBB108_851:
                                        ; implicit-def: $vgpr94_vgpr95
.LBB108_852:
	ds_read_b64 v[94:95], v1
.LBB108_853:
	v_cmp_ne_u32_e32 vcc, 42, v0
	s_and_saveexec_b64 s[6:7], vcc
	s_cbranch_execz .LBB108_857
; %bb.854:
	s_mov_b32 s8, 0
	v_add_u32_e32 v96, 0x178, v18
	v_add3_u32 v97, v18, s8, 8
	s_mov_b64 s[8:9], 0
	v_mov_b32_e32 v98, v0
.LBB108_855:                            ; =>This Inner Loop Header: Depth=1
	scratch_load_dwordx2 v[100:101], v97, off
	ds_read_b64 v[102:103], v96
	v_add_u32_e32 v98, 1, v98
	v_cmp_lt_u32_e32 vcc, 41, v98
	v_add_u32_e32 v96, 8, v96
	v_add_u32_e32 v97, 8, v97
	s_or_b64 s[8:9], vcc, s[8:9]
	s_waitcnt vmcnt(0) lgkmcnt(0)
	v_fmac_f64_e32 v[94:95], v[100:101], v[102:103]
	s_andn2_b64 exec, exec, s[8:9]
	s_cbranch_execnz .LBB108_855
; %bb.856:
	s_or_b64 exec, exec, s[8:9]
.LBB108_857:
	s_or_b64 exec, exec, s[6:7]
	v_mov_b32_e32 v96, 0
	ds_read_b64 v[96:97], v96 offset:344
	s_waitcnt lgkmcnt(0)
	v_mul_f64 v[94:95], v[94:95], v[96:97]
	scratch_store_dwordx2 off, v[94:95], off offset:344
.LBB108_858:
	s_or_b64 exec, exec, s[4:5]
	scratch_load_dwordx2 v[94:95], off, off offset:352
	v_cmp_ne_u32_e32 vcc, 44, v0
	s_waitcnt vmcnt(0)
	ds_write_b64 v1, v[94:95]
	s_waitcnt lgkmcnt(0)
	; wave barrier
	s_and_saveexec_b64 s[4:5], vcc
	s_cbranch_execz .LBB108_868
; %bb.859:
	s_and_b64 vcc, exec, s[0:1]
	s_cbranch_vccnz .LBB108_861
; %bb.860:
	scratch_load_dwordx2 v[94:95], v19, off
	ds_read_b64 v[96:97], v1
	s_waitcnt vmcnt(0) lgkmcnt(0)
	v_mul_f64 v[94:95], v[94:95], v[96:97]
	s_cbranch_execz .LBB108_862
	s_branch .LBB108_863
.LBB108_861:
                                        ; implicit-def: $vgpr94_vgpr95
.LBB108_862:
	ds_read_b64 v[94:95], v1
.LBB108_863:
	s_and_saveexec_b64 s[0:1], s[2:3]
	s_cbranch_execz .LBB108_867
; %bb.864:
	s_mov_b32 s2, 0
	v_add_u32_e32 v1, 0x178, v18
	v_add3_u32 v18, v18, s2, 8
	s_mov_b64 s[2:3], 0
.LBB108_865:                            ; =>This Inner Loop Header: Depth=1
	scratch_load_dwordx2 v[96:97], v18, off
	ds_read_b64 v[98:99], v1
	v_add_u32_e32 v0, 1, v0
	v_cmp_lt_u32_e32 vcc, 42, v0
	v_add_u32_e32 v1, 8, v1
	v_add_u32_e32 v18, 8, v18
	s_or_b64 s[2:3], vcc, s[2:3]
	s_waitcnt vmcnt(0) lgkmcnt(0)
	v_fmac_f64_e32 v[94:95], v[96:97], v[98:99]
	s_andn2_b64 exec, exec, s[2:3]
	s_cbranch_execnz .LBB108_865
; %bb.866:
	s_or_b64 exec, exec, s[2:3]
.LBB108_867:
	s_or_b64 exec, exec, s[0:1]
	v_mov_b32_e32 v0, 0
	ds_read_b64 v[0:1], v0 offset:352
	s_waitcnt lgkmcnt(0)
	v_mul_f64 v[0:1], v[94:95], v[0:1]
	scratch_store_dwordx2 off, v[0:1], off offset:352
.LBB108_868:
	s_or_b64 exec, exec, s[4:5]
.LBB108_869:
	scratch_load_dwordx2 v[0:1], off, off
	s_waitcnt vmcnt(0)
	flat_store_dwordx2 v[2:3], v[0:1]
	scratch_load_dwordx2 v[0:1], off, off offset:8
	s_waitcnt vmcnt(0)
	flat_store_dwordx2 v[4:5], v[0:1]
	scratch_load_dwordx2 v[0:1], off, off offset:16
	;; [unrolled: 3-line block ×44, first 2 shown]
	s_waitcnt vmcnt(0)
	flat_store_dwordx2 v[92:93], v[0:1]
.LBB108_870:
	s_endpgm
	.section	.rodata,"a",@progbits
	.p2align	6, 0x0
	.amdhsa_kernel _ZN9rocsolver6v33100L18trti2_kernel_smallILi45EdPKPdEEv13rocblas_fill_17rocblas_diagonal_T1_iil
		.amdhsa_group_segment_fixed_size 728
		.amdhsa_private_segment_fixed_size 368
		.amdhsa_kernarg_size 32
		.amdhsa_user_sgpr_count 2
		.amdhsa_user_sgpr_dispatch_ptr 0
		.amdhsa_user_sgpr_queue_ptr 0
		.amdhsa_user_sgpr_kernarg_segment_ptr 1
		.amdhsa_user_sgpr_dispatch_id 0
		.amdhsa_user_sgpr_kernarg_preload_length 0
		.amdhsa_user_sgpr_kernarg_preload_offset 0
		.amdhsa_user_sgpr_private_segment_size 0
		.amdhsa_uses_dynamic_stack 0
		.amdhsa_enable_private_segment 1
		.amdhsa_system_sgpr_workgroup_id_x 1
		.amdhsa_system_sgpr_workgroup_id_y 0
		.amdhsa_system_sgpr_workgroup_id_z 0
		.amdhsa_system_sgpr_workgroup_info 0
		.amdhsa_system_vgpr_workitem_id 0
		.amdhsa_next_free_vgpr 104
		.amdhsa_next_free_sgpr 54
		.amdhsa_accum_offset 104
		.amdhsa_reserve_vcc 1
		.amdhsa_float_round_mode_32 0
		.amdhsa_float_round_mode_16_64 0
		.amdhsa_float_denorm_mode_32 3
		.amdhsa_float_denorm_mode_16_64 3
		.amdhsa_dx10_clamp 1
		.amdhsa_ieee_mode 1
		.amdhsa_fp16_overflow 0
		.amdhsa_tg_split 0
		.amdhsa_exception_fp_ieee_invalid_op 0
		.amdhsa_exception_fp_denorm_src 0
		.amdhsa_exception_fp_ieee_div_zero 0
		.amdhsa_exception_fp_ieee_overflow 0
		.amdhsa_exception_fp_ieee_underflow 0
		.amdhsa_exception_fp_ieee_inexact 0
		.amdhsa_exception_int_div_zero 0
	.end_amdhsa_kernel
	.section	.text._ZN9rocsolver6v33100L18trti2_kernel_smallILi45EdPKPdEEv13rocblas_fill_17rocblas_diagonal_T1_iil,"axG",@progbits,_ZN9rocsolver6v33100L18trti2_kernel_smallILi45EdPKPdEEv13rocblas_fill_17rocblas_diagonal_T1_iil,comdat
.Lfunc_end108:
	.size	_ZN9rocsolver6v33100L18trti2_kernel_smallILi45EdPKPdEEv13rocblas_fill_17rocblas_diagonal_T1_iil, .Lfunc_end108-_ZN9rocsolver6v33100L18trti2_kernel_smallILi45EdPKPdEEv13rocblas_fill_17rocblas_diagonal_T1_iil
                                        ; -- End function
	.set _ZN9rocsolver6v33100L18trti2_kernel_smallILi45EdPKPdEEv13rocblas_fill_17rocblas_diagonal_T1_iil.num_vgpr, 104
	.set _ZN9rocsolver6v33100L18trti2_kernel_smallILi45EdPKPdEEv13rocblas_fill_17rocblas_diagonal_T1_iil.num_agpr, 0
	.set _ZN9rocsolver6v33100L18trti2_kernel_smallILi45EdPKPdEEv13rocblas_fill_17rocblas_diagonal_T1_iil.numbered_sgpr, 54
	.set _ZN9rocsolver6v33100L18trti2_kernel_smallILi45EdPKPdEEv13rocblas_fill_17rocblas_diagonal_T1_iil.num_named_barrier, 0
	.set _ZN9rocsolver6v33100L18trti2_kernel_smallILi45EdPKPdEEv13rocblas_fill_17rocblas_diagonal_T1_iil.private_seg_size, 368
	.set _ZN9rocsolver6v33100L18trti2_kernel_smallILi45EdPKPdEEv13rocblas_fill_17rocblas_diagonal_T1_iil.uses_vcc, 1
	.set _ZN9rocsolver6v33100L18trti2_kernel_smallILi45EdPKPdEEv13rocblas_fill_17rocblas_diagonal_T1_iil.uses_flat_scratch, 0
	.set _ZN9rocsolver6v33100L18trti2_kernel_smallILi45EdPKPdEEv13rocblas_fill_17rocblas_diagonal_T1_iil.has_dyn_sized_stack, 0
	.set _ZN9rocsolver6v33100L18trti2_kernel_smallILi45EdPKPdEEv13rocblas_fill_17rocblas_diagonal_T1_iil.has_recursion, 0
	.set _ZN9rocsolver6v33100L18trti2_kernel_smallILi45EdPKPdEEv13rocblas_fill_17rocblas_diagonal_T1_iil.has_indirect_call, 0
	.section	.AMDGPU.csdata,"",@progbits
; Kernel info:
; codeLenInByte = 21832
; TotalNumSgprs: 60
; NumVgprs: 104
; NumAgprs: 0
; TotalNumVgprs: 104
; ScratchSize: 368
; MemoryBound: 0
; FloatMode: 240
; IeeeMode: 1
; LDSByteSize: 728 bytes/workgroup (compile time only)
; SGPRBlocks: 7
; VGPRBlocks: 12
; NumSGPRsForWavesPerEU: 60
; NumVGPRsForWavesPerEU: 104
; AccumOffset: 104
; Occupancy: 4
; WaveLimiterHint : 1
; COMPUTE_PGM_RSRC2:SCRATCH_EN: 1
; COMPUTE_PGM_RSRC2:USER_SGPR: 2
; COMPUTE_PGM_RSRC2:TRAP_HANDLER: 0
; COMPUTE_PGM_RSRC2:TGID_X_EN: 1
; COMPUTE_PGM_RSRC2:TGID_Y_EN: 0
; COMPUTE_PGM_RSRC2:TGID_Z_EN: 0
; COMPUTE_PGM_RSRC2:TIDIG_COMP_CNT: 0
; COMPUTE_PGM_RSRC3_GFX90A:ACCUM_OFFSET: 25
; COMPUTE_PGM_RSRC3_GFX90A:TG_SPLIT: 0
	.section	.text._ZN9rocsolver6v33100L18trti2_kernel_smallILi46EdPKPdEEv13rocblas_fill_17rocblas_diagonal_T1_iil,"axG",@progbits,_ZN9rocsolver6v33100L18trti2_kernel_smallILi46EdPKPdEEv13rocblas_fill_17rocblas_diagonal_T1_iil,comdat
	.globl	_ZN9rocsolver6v33100L18trti2_kernel_smallILi46EdPKPdEEv13rocblas_fill_17rocblas_diagonal_T1_iil ; -- Begin function _ZN9rocsolver6v33100L18trti2_kernel_smallILi46EdPKPdEEv13rocblas_fill_17rocblas_diagonal_T1_iil
	.p2align	8
	.type	_ZN9rocsolver6v33100L18trti2_kernel_smallILi46EdPKPdEEv13rocblas_fill_17rocblas_diagonal_T1_iil,@function
_ZN9rocsolver6v33100L18trti2_kernel_smallILi46EdPKPdEEv13rocblas_fill_17rocblas_diagonal_T1_iil: ; @_ZN9rocsolver6v33100L18trti2_kernel_smallILi46EdPKPdEEv13rocblas_fill_17rocblas_diagonal_T1_iil
; %bb.0:
	v_cmp_gt_u32_e32 vcc, 46, v0
	s_and_saveexec_b64 s[4:5], vcc
	s_cbranch_execz .LBB109_890
; %bb.1:
	s_load_dwordx2 s[8:9], s[0:1], 0x10
	s_load_dwordx4 s[4:7], s[0:1], 0x0
	s_ashr_i32 s3, s2, 31
	s_lshl_b64 s[0:1], s[2:3], 3
	v_lshlrev_b32_e32 v18, 3, v0
	s_waitcnt lgkmcnt(0)
	s_ashr_i32 s3, s8, 31
	s_add_u32 s0, s6, s0
	s_addc_u32 s1, s7, s1
	s_load_dwordx2 s[0:1], s[0:1], 0x0
	s_mov_b32 s2, s8
	s_lshl_b64 s[2:3], s[2:3], 3
	v_mov_b32_e32 v19, 0
	s_waitcnt lgkmcnt(0)
	s_add_u32 s0, s0, s2
	s_addc_u32 s1, s1, s3
	v_lshl_add_u64 v[2:3], s[0:1], 0, v[18:19]
	flat_load_dwordx2 v[6:7], v[2:3]
	s_mov_b32 s2, s9
	s_ashr_i32 s3, s9, 31
	v_lshl_add_u64 v[4:5], s[2:3], 3, v[2:3]
	s_add_i32 s2, s9, s9
	v_add_u32_e32 v10, s2, v0
	v_ashrrev_i32_e32 v11, 31, v10
	s_cmpk_lg_i32 s5, 0x84
	s_cselect_b64 s[6:7], -1, 0
	s_cmpk_eq_i32 s5, 0x84
	s_waitcnt vmcnt(0) lgkmcnt(0)
	scratch_store_dwordx2 off, v[6:7], off
	flat_load_dwordx2 v[8:9], v[4:5]
	v_lshl_add_u64 v[6:7], v[10:11], 3, s[0:1]
	v_add_u32_e32 v10, s9, v10
	v_ashrrev_i32_e32 v11, 31, v10
	v_add_u32_e32 v14, s9, v10
	v_ashrrev_i32_e32 v15, 31, v14
	s_waitcnt vmcnt(0) lgkmcnt(0)
	scratch_store_dwordx2 off, v[8:9], off offset:8
	flat_load_dwordx2 v[12:13], v[6:7]
	v_lshl_add_u64 v[8:9], v[10:11], 3, s[0:1]
	v_lshl_add_u64 v[10:11], v[14:15], 3, s[0:1]
	v_add_u32_e32 v14, s9, v14
	v_ashrrev_i32_e32 v15, 31, v14
	v_add_u32_e32 v20, s9, v14
	v_ashrrev_i32_e32 v21, 31, v20
	s_waitcnt vmcnt(0) lgkmcnt(0)
	scratch_store_dwordx2 off, v[12:13], off offset:16
	flat_load_dwordx2 v[12:13], v[8:9]
	s_waitcnt vmcnt(0) lgkmcnt(0)
	scratch_store_dwordx2 off, v[12:13], off offset:24
	flat_load_dwordx2 v[16:17], v[10:11]
	v_lshl_add_u64 v[12:13], v[14:15], 3, s[0:1]
	v_lshl_add_u64 v[14:15], v[20:21], 3, s[0:1]
	v_add_u32_e32 v20, s9, v20
	v_ashrrev_i32_e32 v21, 31, v20
	v_add_u32_e32 v24, s9, v20
	v_ashrrev_i32_e32 v25, 31, v24
	s_waitcnt vmcnt(0) lgkmcnt(0)
	scratch_store_dwordx2 off, v[16:17], off offset:32
	flat_load_dwordx2 v[16:17], v[12:13]
	;; [unrolled: 12-line block ×20, first 2 shown]
	s_waitcnt vmcnt(0) lgkmcnt(0)
	scratch_store_dwordx2 off, v[90:91], off offset:328
	flat_load_dwordx2 v[94:95], v[88:89]
	v_lshl_add_u64 v[90:91], v[92:93], 3, s[0:1]
	v_lshl_add_u64 v[92:93], v[96:97], 3, s[0:1]
	s_waitcnt vmcnt(0) lgkmcnt(0)
	scratch_store_dwordx2 off, v[94:95], off offset:336
	flat_load_dwordx2 v[94:95], v[90:91]
	s_waitcnt vmcnt(0) lgkmcnt(0)
	scratch_store_dwordx2 off, v[94:95], off offset:344
	flat_load_dwordx2 v[98:99], v[92:93]
	v_add_u32_e32 v94, s9, v96
	v_ashrrev_i32_e32 v95, 31, v94
	v_lshl_add_u64 v[94:95], v[94:95], 3, s[0:1]
	s_waitcnt vmcnt(0) lgkmcnt(0)
	scratch_store_dwordx2 off, v[98:99], off offset:352
	flat_load_dwordx2 v[96:97], v[94:95]
	s_waitcnt vmcnt(0) lgkmcnt(0)
	scratch_store_dwordx2 off, v[96:97], off offset:360
	v_mov_b64_e32 v[96:97], -1.0
	s_cbranch_scc1 .LBB109_3
; %bb.2:
	scratch_load_dwordx2 v[96:97], v18, off
	s_waitcnt vmcnt(0)
	v_div_scale_f64 v[98:99], s[0:1], v[96:97], v[96:97], 1.0
	v_rcp_f64_e32 v[100:101], v[98:99]
	v_div_scale_f64 v[102:103], vcc, 1.0, v[96:97], 1.0
	v_fma_f64 v[104:105], -v[98:99], v[100:101], 1.0
	v_fmac_f64_e32 v[100:101], v[100:101], v[104:105]
	v_fma_f64 v[104:105], -v[98:99], v[100:101], 1.0
	v_fmac_f64_e32 v[100:101], v[100:101], v[104:105]
	v_mul_f64 v[104:105], v[102:103], v[100:101]
	v_fma_f64 v[98:99], -v[98:99], v[104:105], v[102:103]
	v_div_fmas_f64 v[98:99], v[98:99], v[100:101], v[104:105]
	v_div_fixup_f64 v[96:97], v[98:99], v[96:97], 1.0
	scratch_store_dwordx2 v18, v[96:97], off
	v_xor_b32_e32 v97, 0x80000000, v97
.LBB109_3:
	s_cmpk_eq_i32 s4, 0x79
	v_add_u32_e32 v1, 0x170, v18
	v_mov_b32_e32 v19, v18
	s_mov_b64 s[0:1], -1
	ds_write_b64 v18, v[96:97]
	s_cbranch_scc1 .LBB109_447
; %bb.4:
	scratch_load_dwordx2 v[96:97], off, off offset:352
	s_movk_i32 s8, 0x48
	s_movk_i32 s9, 0x50
	;; [unrolled: 1-line block ×35, first 2 shown]
	v_cmp_eq_u32_e64 s[0:1], 45, v0
	s_waitcnt vmcnt(0)
	ds_write_b64 v1, v[96:97]
	s_waitcnt lgkmcnt(0)
	; wave barrier
	s_and_saveexec_b64 s[2:3], s[0:1]
	s_cbranch_execz .LBB109_10
; %bb.5:
	s_and_b64 vcc, exec, s[6:7]
	s_cbranch_vccz .LBB109_7
; %bb.6:
	scratch_load_dwordx2 v[96:97], v19, off
	ds_read_b64 v[98:99], v1
	s_waitcnt vmcnt(0) lgkmcnt(0)
	v_mul_f64 v[96:97], v[96:97], v[98:99]
	s_cbranch_execz .LBB109_8
	s_branch .LBB109_9
.LBB109_7:
                                        ; implicit-def: $vgpr96_vgpr97
.LBB109_8:
	ds_read_b64 v[96:97], v1
.LBB109_9:
	v_mov_b32_e32 v98, 0
	ds_read_b64 v[98:99], v98 offset:352
	s_waitcnt lgkmcnt(0)
	v_mul_f64 v[96:97], v[96:97], v[98:99]
	scratch_store_dwordx2 off, v[96:97], off offset:352
.LBB109_10:
	s_or_b64 exec, exec, s[2:3]
	scratch_load_dwordx2 v[96:97], off, off offset:344
	s_or_b32 s10, 0, 8
	s_mov_b32 s11, 16
	s_mov_b32 s12, 24
	;; [unrolled: 1-line block ×9, first 2 shown]
	v_cmp_lt_u32_e64 s[2:3], 43, v0
	s_waitcnt vmcnt(0)
	ds_write_b64 v1, v[96:97]
	s_waitcnt lgkmcnt(0)
	; wave barrier
	s_and_saveexec_b64 s[4:5], s[2:3]
	s_cbranch_execz .LBB109_16
; %bb.11:
	s_andn2_b64 vcc, exec, s[6:7]
	s_cbranch_vccnz .LBB109_13
; %bb.12:
	scratch_load_dwordx2 v[96:97], v19, off
	ds_read_b64 v[98:99], v1
	s_waitcnt vmcnt(0) lgkmcnt(0)
	v_mul_f64 v[96:97], v[96:97], v[98:99]
	s_cbranch_execz .LBB109_14
	s_branch .LBB109_15
.LBB109_13:
                                        ; implicit-def: $vgpr96_vgpr97
.LBB109_14:
	ds_read_b64 v[96:97], v1
.LBB109_15:
	scratch_load_dwordx2 v[102:103], off, off offset:352
	v_mov_b32_e32 v98, 0
	ds_read2_b64 v[98:101], v98 offset0:43 offset1:90
	s_waitcnt vmcnt(0) lgkmcnt(0)
	v_fma_f64 v[100:101], v[102:103], v[100:101], v[96:97]
	v_cndmask_b32_e64 v97, v97, v101, s[0:1]
	v_cndmask_b32_e64 v96, v96, v100, s[0:1]
	v_mul_f64 v[96:97], v[96:97], v[98:99]
	scratch_store_dwordx2 off, v[96:97], off offset:344
.LBB109_16:
	s_or_b64 exec, exec, s[4:5]
	scratch_load_dwordx2 v[96:97], off, off offset:336
	v_cmp_lt_u32_e64 s[0:1], 42, v0
	s_waitcnt vmcnt(0)
	ds_write_b64 v1, v[96:97]
	s_waitcnt lgkmcnt(0)
	; wave barrier
	s_and_saveexec_b64 s[4:5], s[0:1]
	s_cbranch_execz .LBB109_26
; %bb.17:
	s_andn2_b64 vcc, exec, s[6:7]
	s_cbranch_vccnz .LBB109_19
; %bb.18:
	scratch_load_dwordx2 v[96:97], v19, off
	ds_read_b64 v[98:99], v1
	s_waitcnt vmcnt(0) lgkmcnt(0)
	v_mul_f64 v[96:97], v[96:97], v[98:99]
	s_cbranch_execz .LBB109_20
	s_branch .LBB109_21
.LBB109_19:
                                        ; implicit-def: $vgpr96_vgpr97
.LBB109_20:
	ds_read_b64 v[96:97], v1
.LBB109_21:
	s_and_saveexec_b64 s[8:9], s[2:3]
	s_cbranch_execz .LBB109_25
; %bb.22:
	v_subrev_u32_e32 v98, 43, v0
	s_movk_i32 s54, 0x2c8
	s_mov_b64 s[2:3], 0
.LBB109_23:                             ; =>This Inner Loop Header: Depth=1
	scratch_load_dwordx2 v[100:101], off, s53
	v_mov_b32_e32 v99, s54
	ds_read_b64 v[102:103], v99
	v_add_u32_e32 v98, -1, v98
	s_add_i32 s54, s54, 8
	s_add_i32 s53, s53, 8
	v_cmp_eq_u32_e32 vcc, 0, v98
	s_or_b64 s[2:3], vcc, s[2:3]
	s_waitcnt vmcnt(0) lgkmcnt(0)
	v_fmac_f64_e32 v[96:97], v[100:101], v[102:103]
	s_andn2_b64 exec, exec, s[2:3]
	s_cbranch_execnz .LBB109_23
; %bb.24:
	s_or_b64 exec, exec, s[2:3]
.LBB109_25:
	s_or_b64 exec, exec, s[8:9]
	v_mov_b32_e32 v98, 0
	ds_read_b64 v[98:99], v98 offset:336
	s_waitcnt lgkmcnt(0)
	v_mul_f64 v[96:97], v[96:97], v[98:99]
	scratch_store_dwordx2 off, v[96:97], off offset:336
.LBB109_26:
	s_or_b64 exec, exec, s[4:5]
	scratch_load_dwordx2 v[96:97], off, off offset:328
	v_cmp_lt_u32_e64 s[2:3], 41, v0
	s_waitcnt vmcnt(0)
	ds_write_b64 v1, v[96:97]
	s_waitcnt lgkmcnt(0)
	; wave barrier
	s_and_saveexec_b64 s[4:5], s[2:3]
	s_cbranch_execz .LBB109_36
; %bb.27:
	s_andn2_b64 vcc, exec, s[6:7]
	s_cbranch_vccnz .LBB109_29
; %bb.28:
	scratch_load_dwordx2 v[96:97], v19, off
	ds_read_b64 v[98:99], v1
	s_waitcnt vmcnt(0) lgkmcnt(0)
	v_mul_f64 v[96:97], v[96:97], v[98:99]
	s_cbranch_execz .LBB109_30
	s_branch .LBB109_31
.LBB109_29:
                                        ; implicit-def: $vgpr96_vgpr97
.LBB109_30:
	ds_read_b64 v[96:97], v1
.LBB109_31:
	s_and_saveexec_b64 s[8:9], s[0:1]
	s_cbranch_execz .LBB109_35
; %bb.32:
	v_subrev_u32_e32 v98, 42, v0
	s_movk_i32 s53, 0x2c0
	s_mov_b64 s[0:1], 0
.LBB109_33:                             ; =>This Inner Loop Header: Depth=1
	scratch_load_dwordx2 v[100:101], off, s52
	v_mov_b32_e32 v99, s53
	ds_read_b64 v[102:103], v99
	v_add_u32_e32 v98, -1, v98
	s_add_i32 s53, s53, 8
	s_add_i32 s52, s52, 8
	v_cmp_eq_u32_e32 vcc, 0, v98
	s_or_b64 s[0:1], vcc, s[0:1]
	s_waitcnt vmcnt(0) lgkmcnt(0)
	v_fmac_f64_e32 v[96:97], v[100:101], v[102:103]
	s_andn2_b64 exec, exec, s[0:1]
	s_cbranch_execnz .LBB109_33
; %bb.34:
	s_or_b64 exec, exec, s[0:1]
.LBB109_35:
	s_or_b64 exec, exec, s[8:9]
	v_mov_b32_e32 v98, 0
	ds_read_b64 v[98:99], v98 offset:328
	s_waitcnt lgkmcnt(0)
	v_mul_f64 v[96:97], v[96:97], v[98:99]
	scratch_store_dwordx2 off, v[96:97], off offset:328
.LBB109_36:
	;; [unrolled: 53-line block ×8, first 2 shown]
	s_or_b64 exec, exec, s[4:5]
	scratch_load_dwordx2 v[96:97], off, off offset:272
	v_cmp_lt_u32_e64 s[0:1], 34, v0
	s_waitcnt vmcnt(0)
	ds_write_b64 v1, v[96:97]
	s_waitcnt lgkmcnt(0)
	; wave barrier
	s_and_saveexec_b64 s[4:5], s[0:1]
	s_cbranch_execz .LBB109_106
; %bb.97:
	s_andn2_b64 vcc, exec, s[6:7]
	s_cbranch_vccnz .LBB109_99
; %bb.98:
	scratch_load_dwordx2 v[96:97], v19, off
	ds_read_b64 v[98:99], v1
	s_waitcnt vmcnt(0) lgkmcnt(0)
	v_mul_f64 v[96:97], v[96:97], v[98:99]
	s_cbranch_execz .LBB109_100
	s_branch .LBB109_101
.LBB109_99:
                                        ; implicit-def: $vgpr96_vgpr97
.LBB109_100:
	ds_read_b64 v[96:97], v1
.LBB109_101:
	s_and_saveexec_b64 s[8:9], s[2:3]
	s_cbranch_execz .LBB109_105
; %bb.102:
	v_subrev_u32_e32 v98, 35, v0
	s_movk_i32 s46, 0x288
	s_mov_b64 s[2:3], 0
.LBB109_103:                            ; =>This Inner Loop Header: Depth=1
	scratch_load_dwordx2 v[100:101], off, s45
	v_mov_b32_e32 v99, s46
	ds_read_b64 v[102:103], v99
	v_add_u32_e32 v98, -1, v98
	s_add_i32 s46, s46, 8
	s_add_i32 s45, s45, 8
	v_cmp_eq_u32_e32 vcc, 0, v98
	s_or_b64 s[2:3], vcc, s[2:3]
	s_waitcnt vmcnt(0) lgkmcnt(0)
	v_fmac_f64_e32 v[96:97], v[100:101], v[102:103]
	s_andn2_b64 exec, exec, s[2:3]
	s_cbranch_execnz .LBB109_103
; %bb.104:
	s_or_b64 exec, exec, s[2:3]
.LBB109_105:
	s_or_b64 exec, exec, s[8:9]
	v_mov_b32_e32 v98, 0
	ds_read_b64 v[98:99], v98 offset:272
	s_waitcnt lgkmcnt(0)
	v_mul_f64 v[96:97], v[96:97], v[98:99]
	scratch_store_dwordx2 off, v[96:97], off offset:272
.LBB109_106:
	s_or_b64 exec, exec, s[4:5]
	scratch_load_dwordx2 v[96:97], off, off offset:264
	v_cmp_lt_u32_e64 s[2:3], 33, v0
	s_waitcnt vmcnt(0)
	ds_write_b64 v1, v[96:97]
	s_waitcnt lgkmcnt(0)
	; wave barrier
	s_and_saveexec_b64 s[4:5], s[2:3]
	s_cbranch_execz .LBB109_116
; %bb.107:
	s_andn2_b64 vcc, exec, s[6:7]
	s_cbranch_vccnz .LBB109_109
; %bb.108:
	scratch_load_dwordx2 v[96:97], v19, off
	ds_read_b64 v[98:99], v1
	s_waitcnt vmcnt(0) lgkmcnt(0)
	v_mul_f64 v[96:97], v[96:97], v[98:99]
	s_cbranch_execz .LBB109_110
	s_branch .LBB109_111
.LBB109_109:
                                        ; implicit-def: $vgpr96_vgpr97
.LBB109_110:
	ds_read_b64 v[96:97], v1
.LBB109_111:
	s_and_saveexec_b64 s[8:9], s[0:1]
	s_cbranch_execz .LBB109_115
; %bb.112:
	v_subrev_u32_e32 v98, 34, v0
	s_movk_i32 s45, 0x280
	s_mov_b64 s[0:1], 0
.LBB109_113:                            ; =>This Inner Loop Header: Depth=1
	scratch_load_dwordx2 v[100:101], off, s44
	v_mov_b32_e32 v99, s45
	ds_read_b64 v[102:103], v99
	v_add_u32_e32 v98, -1, v98
	s_add_i32 s45, s45, 8
	s_add_i32 s44, s44, 8
	v_cmp_eq_u32_e32 vcc, 0, v98
	s_or_b64 s[0:1], vcc, s[0:1]
	s_waitcnt vmcnt(0) lgkmcnt(0)
	v_fmac_f64_e32 v[96:97], v[100:101], v[102:103]
	s_andn2_b64 exec, exec, s[0:1]
	s_cbranch_execnz .LBB109_113
; %bb.114:
	s_or_b64 exec, exec, s[0:1]
.LBB109_115:
	s_or_b64 exec, exec, s[8:9]
	v_mov_b32_e32 v98, 0
	ds_read_b64 v[98:99], v98 offset:264
	s_waitcnt lgkmcnt(0)
	v_mul_f64 v[96:97], v[96:97], v[98:99]
	scratch_store_dwordx2 off, v[96:97], off offset:264
.LBB109_116:
	;; [unrolled: 53-line block ×19, first 2 shown]
	s_or_b64 exec, exec, s[4:5]
	scratch_load_dwordx2 v[96:97], off, off offset:120
	v_cmp_lt_u32_e64 s[2:3], 15, v0
	s_waitcnt vmcnt(0)
	ds_write_b64 v1, v[96:97]
	s_waitcnt lgkmcnt(0)
	; wave barrier
	s_and_saveexec_b64 s[4:5], s[2:3]
	s_cbranch_execz .LBB109_296
; %bb.287:
	s_andn2_b64 vcc, exec, s[6:7]
	s_cbranch_vccnz .LBB109_289
; %bb.288:
	scratch_load_dwordx2 v[96:97], v19, off
	ds_read_b64 v[98:99], v1
	s_waitcnt vmcnt(0) lgkmcnt(0)
	v_mul_f64 v[96:97], v[96:97], v[98:99]
	s_cbranch_execz .LBB109_290
	s_branch .LBB109_291
.LBB109_289:
                                        ; implicit-def: $vgpr96_vgpr97
.LBB109_290:
	ds_read_b64 v[96:97], v1
.LBB109_291:
	s_and_saveexec_b64 s[8:9], s[0:1]
	s_cbranch_execz .LBB109_295
; %bb.292:
	v_add_u32_e32 v98, -16, v0
	s_movk_i32 s26, 0x1f0
	s_mov_b64 s[0:1], 0
.LBB109_293:                            ; =>This Inner Loop Header: Depth=1
	scratch_load_dwordx2 v[100:101], off, s25
	v_mov_b32_e32 v99, s26
	ds_read_b64 v[102:103], v99
	v_add_u32_e32 v98, -1, v98
	s_add_i32 s26, s26, 8
	s_add_i32 s25, s25, 8
	v_cmp_eq_u32_e32 vcc, 0, v98
	s_or_b64 s[0:1], vcc, s[0:1]
	s_waitcnt vmcnt(0) lgkmcnt(0)
	v_fmac_f64_e32 v[96:97], v[100:101], v[102:103]
	s_andn2_b64 exec, exec, s[0:1]
	s_cbranch_execnz .LBB109_293
; %bb.294:
	s_or_b64 exec, exec, s[0:1]
.LBB109_295:
	s_or_b64 exec, exec, s[8:9]
	v_mov_b32_e32 v98, 0
	ds_read_b64 v[98:99], v98 offset:120
	s_waitcnt lgkmcnt(0)
	v_mul_f64 v[96:97], v[96:97], v[98:99]
	scratch_store_dwordx2 off, v[96:97], off offset:120
.LBB109_296:
	s_or_b64 exec, exec, s[4:5]
	scratch_load_dwordx2 v[96:97], off, off offset:112
	v_cmp_lt_u32_e64 s[0:1], 14, v0
	s_waitcnt vmcnt(0)
	ds_write_b64 v1, v[96:97]
	s_waitcnt lgkmcnt(0)
	; wave barrier
	s_and_saveexec_b64 s[4:5], s[0:1]
	s_cbranch_execz .LBB109_306
; %bb.297:
	s_andn2_b64 vcc, exec, s[6:7]
	s_cbranch_vccnz .LBB109_299
; %bb.298:
	scratch_load_dwordx2 v[96:97], v19, off
	ds_read_b64 v[98:99], v1
	s_waitcnt vmcnt(0) lgkmcnt(0)
	v_mul_f64 v[96:97], v[96:97], v[98:99]
	s_cbranch_execz .LBB109_300
	s_branch .LBB109_301
.LBB109_299:
                                        ; implicit-def: $vgpr96_vgpr97
.LBB109_300:
	ds_read_b64 v[96:97], v1
.LBB109_301:
	s_and_saveexec_b64 s[8:9], s[2:3]
	s_cbranch_execz .LBB109_305
; %bb.302:
	v_add_u32_e32 v98, -15, v0
	s_movk_i32 s25, 0x1e8
	s_mov_b64 s[2:3], 0
.LBB109_303:                            ; =>This Inner Loop Header: Depth=1
	scratch_load_dwordx2 v[100:101], off, s24
	v_mov_b32_e32 v99, s25
	ds_read_b64 v[102:103], v99
	v_add_u32_e32 v98, -1, v98
	s_add_i32 s25, s25, 8
	s_add_i32 s24, s24, 8
	v_cmp_eq_u32_e32 vcc, 0, v98
	s_or_b64 s[2:3], vcc, s[2:3]
	s_waitcnt vmcnt(0) lgkmcnt(0)
	v_fmac_f64_e32 v[96:97], v[100:101], v[102:103]
	s_andn2_b64 exec, exec, s[2:3]
	s_cbranch_execnz .LBB109_303
; %bb.304:
	s_or_b64 exec, exec, s[2:3]
.LBB109_305:
	s_or_b64 exec, exec, s[8:9]
	v_mov_b32_e32 v98, 0
	ds_read_b64 v[98:99], v98 offset:112
	s_waitcnt lgkmcnt(0)
	v_mul_f64 v[96:97], v[96:97], v[98:99]
	scratch_store_dwordx2 off, v[96:97], off offset:112
.LBB109_306:
	;; [unrolled: 53-line block ×15, first 2 shown]
	s_or_b64 exec, exec, s[4:5]
	scratch_load_dwordx2 v[96:97], off, off
	v_cmp_ne_u32_e32 vcc, 0, v0
	s_waitcnt vmcnt(0)
	ds_write_b64 v1, v[96:97]
	s_waitcnt lgkmcnt(0)
	; wave barrier
	s_and_saveexec_b64 s[0:1], vcc
	s_cbranch_execz .LBB109_446
; %bb.437:
	s_andn2_b64 vcc, exec, s[6:7]
	s_cbranch_vccnz .LBB109_439
; %bb.438:
	scratch_load_dwordx2 v[96:97], v19, off
	ds_read_b64 v[98:99], v1
	s_waitcnt vmcnt(0) lgkmcnt(0)
	v_mul_f64 v[96:97], v[96:97], v[98:99]
	s_cbranch_execz .LBB109_440
	s_branch .LBB109_441
.LBB109_439:
                                        ; implicit-def: $vgpr96_vgpr97
.LBB109_440:
	ds_read_b64 v[96:97], v1
.LBB109_441:
	s_and_saveexec_b64 s[4:5], s[2:3]
	s_cbranch_execz .LBB109_445
; %bb.442:
	v_add_u32_e32 v98, -1, v0
	s_movk_i32 s8, 0x178
	s_mov_b64 s[2:3], 0
.LBB109_443:                            ; =>This Inner Loop Header: Depth=1
	scratch_load_dwordx2 v[100:101], off, s10
	v_mov_b32_e32 v99, s8
	ds_read_b64 v[102:103], v99
	v_add_u32_e32 v98, -1, v98
	s_add_i32 s8, s8, 8
	s_add_i32 s10, s10, 8
	v_cmp_eq_u32_e32 vcc, 0, v98
	s_or_b64 s[2:3], vcc, s[2:3]
	s_waitcnt vmcnt(0) lgkmcnt(0)
	v_fmac_f64_e32 v[96:97], v[100:101], v[102:103]
	s_andn2_b64 exec, exec, s[2:3]
	s_cbranch_execnz .LBB109_443
; %bb.444:
	s_or_b64 exec, exec, s[2:3]
.LBB109_445:
	s_or_b64 exec, exec, s[4:5]
	v_mov_b32_e32 v98, 0
	ds_read_b64 v[98:99], v98
	s_waitcnt lgkmcnt(0)
	v_mul_f64 v[96:97], v[96:97], v[98:99]
	scratch_store_dwordx2 off, v[96:97], off
.LBB109_446:
	s_or_b64 exec, exec, s[0:1]
	s_mov_b64 s[0:1], 0
.LBB109_447:
	s_and_b64 vcc, exec, s[0:1]
	s_cbranch_vccz .LBB109_889
; %bb.448:
	scratch_load_dwordx2 v[96:97], off, off offset:8
	v_cmp_eq_u32_e64 s[2:3], 0, v0
	s_waitcnt vmcnt(0)
	ds_write_b64 v1, v[96:97]
	s_waitcnt lgkmcnt(0)
	; wave barrier
	s_and_saveexec_b64 s[0:1], s[2:3]
	s_cbranch_execz .LBB109_454
; %bb.449:
	s_and_b64 vcc, exec, s[6:7]
	s_cbranch_vccz .LBB109_451
; %bb.450:
	scratch_load_dwordx2 v[96:97], v19, off
	ds_read_b64 v[98:99], v1
	s_waitcnt vmcnt(0) lgkmcnt(0)
	v_mul_f64 v[96:97], v[96:97], v[98:99]
	s_cbranch_execz .LBB109_452
	s_branch .LBB109_453
.LBB109_451:
                                        ; implicit-def: $vgpr96_vgpr97
.LBB109_452:
	ds_read_b64 v[96:97], v1
.LBB109_453:
	v_mov_b32_e32 v98, 0
	ds_read_b64 v[98:99], v98 offset:8
	s_waitcnt lgkmcnt(0)
	v_mul_f64 v[96:97], v[96:97], v[98:99]
	scratch_store_dwordx2 off, v[96:97], off offset:8
.LBB109_454:
	s_or_b64 exec, exec, s[0:1]
	scratch_load_dwordx2 v[96:97], off, off offset:16
	v_cndmask_b32_e64 v98, 0, 1, s[6:7]
	v_cmp_gt_u32_e32 vcc, 2, v0
	v_cmp_ne_u32_e64 s[0:1], 1, v98
	s_waitcnt vmcnt(0)
	ds_write_b64 v1, v[96:97]
	s_waitcnt lgkmcnt(0)
	; wave barrier
	s_and_saveexec_b64 s[4:5], vcc
	s_cbranch_execz .LBB109_460
; %bb.455:
	s_and_b64 vcc, exec, s[0:1]
	s_cbranch_vccnz .LBB109_457
; %bb.456:
	scratch_load_dwordx2 v[96:97], v19, off
	ds_read_b64 v[98:99], v1
	s_waitcnt vmcnt(0) lgkmcnt(0)
	v_mul_f64 v[96:97], v[96:97], v[98:99]
	s_cbranch_execz .LBB109_458
	s_branch .LBB109_459
.LBB109_457:
                                        ; implicit-def: $vgpr96_vgpr97
.LBB109_458:
	ds_read_b64 v[96:97], v1
.LBB109_459:
	scratch_load_dwordx2 v[102:103], off, off offset:8
	v_mov_b32_e32 v98, 0
	ds_read2_b64 v[98:101], v98 offset0:2 offset1:47
	s_waitcnt vmcnt(0) lgkmcnt(0)
	v_fma_f64 v[100:101], v[102:103], v[100:101], v[96:97]
	v_cndmask_b32_e64 v97, v97, v101, s[2:3]
	v_cndmask_b32_e64 v96, v96, v100, s[2:3]
	v_mul_f64 v[96:97], v[96:97], v[98:99]
	scratch_store_dwordx2 off, v[96:97], off offset:16
.LBB109_460:
	s_or_b64 exec, exec, s[4:5]
	scratch_load_dwordx2 v[96:97], off, off offset:24
	v_cmp_gt_u32_e32 vcc, 3, v0
	s_waitcnt vmcnt(0)
	ds_write_b64 v1, v[96:97]
	s_waitcnt lgkmcnt(0)
	; wave barrier
	s_and_saveexec_b64 s[4:5], vcc
	s_cbranch_execz .LBB109_468
; %bb.461:
	s_and_b64 vcc, exec, s[0:1]
	s_cbranch_vccnz .LBB109_463
; %bb.462:
	scratch_load_dwordx2 v[96:97], v19, off
	ds_read_b64 v[98:99], v1
	s_waitcnt vmcnt(0) lgkmcnt(0)
	v_mul_f64 v[96:97], v[96:97], v[98:99]
	s_cbranch_execz .LBB109_464
	s_branch .LBB109_465
.LBB109_463:
                                        ; implicit-def: $vgpr96_vgpr97
.LBB109_464:
	ds_read_b64 v[96:97], v1
.LBB109_465:
	v_cmp_ne_u32_e32 vcc, 2, v0
	s_and_saveexec_b64 s[6:7], vcc
	s_cbranch_execz .LBB109_467
; %bb.466:
	scratch_load_dwordx2 v[98:99], v19, off offset:8
	scratch_load_dwordx2 v[100:101], off, off offset:16
	ds_read_b64 v[102:103], v1 offset:8
	v_mov_b32_e32 v104, 0
	ds_read_b64 v[104:105], v104 offset:384
	s_waitcnt vmcnt(1) lgkmcnt(1)
	v_fmac_f64_e32 v[96:97], v[98:99], v[102:103]
	s_waitcnt vmcnt(0) lgkmcnt(0)
	v_fma_f64 v[98:99], v[100:101], v[104:105], v[96:97]
	v_cndmask_b32_e64 v97, v97, v99, s[2:3]
	v_cndmask_b32_e64 v96, v96, v98, s[2:3]
.LBB109_467:
	s_or_b64 exec, exec, s[6:7]
	v_mov_b32_e32 v98, 0
	ds_read_b64 v[98:99], v98 offset:24
	s_waitcnt lgkmcnt(0)
	v_mul_f64 v[96:97], v[96:97], v[98:99]
	scratch_store_dwordx2 off, v[96:97], off offset:24
.LBB109_468:
	s_or_b64 exec, exec, s[4:5]
	scratch_load_dwordx2 v[96:97], off, off offset:32
	v_cmp_gt_u32_e32 vcc, 4, v0
	s_waitcnt vmcnt(0)
	ds_write_b64 v1, v[96:97]
	s_waitcnt lgkmcnt(0)
	; wave barrier
	s_and_saveexec_b64 s[2:3], vcc
	s_cbranch_execz .LBB109_478
; %bb.469:
	s_and_b64 vcc, exec, s[0:1]
	s_cbranch_vccnz .LBB109_471
; %bb.470:
	scratch_load_dwordx2 v[96:97], v19, off
	ds_read_b64 v[98:99], v1
	s_waitcnt vmcnt(0) lgkmcnt(0)
	v_mul_f64 v[96:97], v[96:97], v[98:99]
	s_cbranch_execz .LBB109_472
	s_branch .LBB109_473
.LBB109_471:
                                        ; implicit-def: $vgpr96_vgpr97
.LBB109_472:
	ds_read_b64 v[96:97], v1
.LBB109_473:
	v_cmp_ne_u32_e32 vcc, 3, v0
	s_and_saveexec_b64 s[4:5], vcc
	s_cbranch_execz .LBB109_477
; %bb.474:
	s_mov_b32 s6, 0
	v_add_u32_e32 v98, 0x178, v18
	v_add3_u32 v99, v18, s6, 8
	s_mov_b64 s[6:7], 0
	v_mov_b32_e32 v100, v0
.LBB109_475:                            ; =>This Inner Loop Header: Depth=1
	scratch_load_dwordx2 v[102:103], v99, off
	ds_read_b64 v[104:105], v98
	v_add_u32_e32 v100, 1, v100
	v_cmp_lt_u32_e32 vcc, 2, v100
	v_add_u32_e32 v98, 8, v98
	v_add_u32_e32 v99, 8, v99
	s_or_b64 s[6:7], vcc, s[6:7]
	s_waitcnt vmcnt(0) lgkmcnt(0)
	v_fmac_f64_e32 v[96:97], v[102:103], v[104:105]
	s_andn2_b64 exec, exec, s[6:7]
	s_cbranch_execnz .LBB109_475
; %bb.476:
	s_or_b64 exec, exec, s[6:7]
.LBB109_477:
	s_or_b64 exec, exec, s[4:5]
	v_mov_b32_e32 v98, 0
	ds_read_b64 v[98:99], v98 offset:32
	s_waitcnt lgkmcnt(0)
	v_mul_f64 v[96:97], v[96:97], v[98:99]
	scratch_store_dwordx2 off, v[96:97], off offset:32
.LBB109_478:
	s_or_b64 exec, exec, s[2:3]
	scratch_load_dwordx2 v[96:97], off, off offset:40
	v_cmp_gt_u32_e32 vcc, 5, v0
	s_waitcnt vmcnt(0)
	ds_write_b64 v1, v[96:97]
	s_waitcnt lgkmcnt(0)
	; wave barrier
	s_and_saveexec_b64 s[2:3], vcc
	s_cbranch_execz .LBB109_488
; %bb.479:
	s_and_b64 vcc, exec, s[0:1]
	s_cbranch_vccnz .LBB109_481
; %bb.480:
	scratch_load_dwordx2 v[96:97], v19, off
	ds_read_b64 v[98:99], v1
	s_waitcnt vmcnt(0) lgkmcnt(0)
	v_mul_f64 v[96:97], v[96:97], v[98:99]
	s_cbranch_execz .LBB109_482
	s_branch .LBB109_483
.LBB109_481:
                                        ; implicit-def: $vgpr96_vgpr97
.LBB109_482:
	ds_read_b64 v[96:97], v1
.LBB109_483:
	v_cmp_ne_u32_e32 vcc, 4, v0
	s_and_saveexec_b64 s[4:5], vcc
	s_cbranch_execz .LBB109_487
; %bb.484:
	s_mov_b32 s6, 0
	v_add_u32_e32 v98, 0x178, v18
	v_add3_u32 v99, v18, s6, 8
	s_mov_b64 s[6:7], 0
	v_mov_b32_e32 v100, v0
.LBB109_485:                            ; =>This Inner Loop Header: Depth=1
	scratch_load_dwordx2 v[102:103], v99, off
	ds_read_b64 v[104:105], v98
	v_add_u32_e32 v100, 1, v100
	v_cmp_lt_u32_e32 vcc, 3, v100
	v_add_u32_e32 v98, 8, v98
	v_add_u32_e32 v99, 8, v99
	s_or_b64 s[6:7], vcc, s[6:7]
	s_waitcnt vmcnt(0) lgkmcnt(0)
	v_fmac_f64_e32 v[96:97], v[102:103], v[104:105]
	s_andn2_b64 exec, exec, s[6:7]
	s_cbranch_execnz .LBB109_485
; %bb.486:
	s_or_b64 exec, exec, s[6:7]
.LBB109_487:
	s_or_b64 exec, exec, s[4:5]
	v_mov_b32_e32 v98, 0
	ds_read_b64 v[98:99], v98 offset:40
	s_waitcnt lgkmcnt(0)
	v_mul_f64 v[96:97], v[96:97], v[98:99]
	scratch_store_dwordx2 off, v[96:97], off offset:40
.LBB109_488:
	;; [unrolled: 55-line block ×40, first 2 shown]
	s_or_b64 exec, exec, s[2:3]
	scratch_load_dwordx2 v[96:97], off, off offset:352
	v_cmp_gt_u32_e64 s[2:3], 44, v0
	s_waitcnt vmcnt(0)
	ds_write_b64 v1, v[96:97]
	s_waitcnt lgkmcnt(0)
	; wave barrier
	s_and_saveexec_b64 s[4:5], s[2:3]
	s_cbranch_execz .LBB109_878
; %bb.869:
	s_and_b64 vcc, exec, s[0:1]
	s_cbranch_vccnz .LBB109_871
; %bb.870:
	scratch_load_dwordx2 v[96:97], v19, off
	ds_read_b64 v[98:99], v1
	s_waitcnt vmcnt(0) lgkmcnt(0)
	v_mul_f64 v[96:97], v[96:97], v[98:99]
	s_cbranch_execz .LBB109_872
	s_branch .LBB109_873
.LBB109_871:
                                        ; implicit-def: $vgpr96_vgpr97
.LBB109_872:
	ds_read_b64 v[96:97], v1
.LBB109_873:
	v_cmp_ne_u32_e32 vcc, 43, v0
	s_and_saveexec_b64 s[6:7], vcc
	s_cbranch_execz .LBB109_877
; %bb.874:
	s_mov_b32 s8, 0
	v_add_u32_e32 v98, 0x178, v18
	v_add3_u32 v99, v18, s8, 8
	s_mov_b64 s[8:9], 0
	v_mov_b32_e32 v100, v0
.LBB109_875:                            ; =>This Inner Loop Header: Depth=1
	scratch_load_dwordx2 v[102:103], v99, off
	ds_read_b64 v[104:105], v98
	v_add_u32_e32 v100, 1, v100
	v_cmp_lt_u32_e32 vcc, 42, v100
	v_add_u32_e32 v98, 8, v98
	v_add_u32_e32 v99, 8, v99
	s_or_b64 s[8:9], vcc, s[8:9]
	s_waitcnt vmcnt(0) lgkmcnt(0)
	v_fmac_f64_e32 v[96:97], v[102:103], v[104:105]
	s_andn2_b64 exec, exec, s[8:9]
	s_cbranch_execnz .LBB109_875
; %bb.876:
	s_or_b64 exec, exec, s[8:9]
.LBB109_877:
	s_or_b64 exec, exec, s[6:7]
	v_mov_b32_e32 v98, 0
	ds_read_b64 v[98:99], v98 offset:352
	s_waitcnt lgkmcnt(0)
	v_mul_f64 v[96:97], v[96:97], v[98:99]
	scratch_store_dwordx2 off, v[96:97], off offset:352
.LBB109_878:
	s_or_b64 exec, exec, s[4:5]
	scratch_load_dwordx2 v[96:97], off, off offset:360
	v_cmp_ne_u32_e32 vcc, 45, v0
	s_waitcnt vmcnt(0)
	ds_write_b64 v1, v[96:97]
	s_waitcnt lgkmcnt(0)
	; wave barrier
	s_and_saveexec_b64 s[4:5], vcc
	s_cbranch_execz .LBB109_888
; %bb.879:
	s_and_b64 vcc, exec, s[0:1]
	s_cbranch_vccnz .LBB109_881
; %bb.880:
	scratch_load_dwordx2 v[96:97], v19, off
	ds_read_b64 v[98:99], v1
	s_waitcnt vmcnt(0) lgkmcnt(0)
	v_mul_f64 v[96:97], v[96:97], v[98:99]
	s_cbranch_execz .LBB109_882
	s_branch .LBB109_883
.LBB109_881:
                                        ; implicit-def: $vgpr96_vgpr97
.LBB109_882:
	ds_read_b64 v[96:97], v1
.LBB109_883:
	s_and_saveexec_b64 s[0:1], s[2:3]
	s_cbranch_execz .LBB109_887
; %bb.884:
	s_mov_b32 s2, 0
	v_add_u32_e32 v1, 0x178, v18
	v_add3_u32 v18, v18, s2, 8
	s_mov_b64 s[2:3], 0
.LBB109_885:                            ; =>This Inner Loop Header: Depth=1
	scratch_load_dwordx2 v[98:99], v18, off
	ds_read_b64 v[100:101], v1
	v_add_u32_e32 v0, 1, v0
	v_cmp_lt_u32_e32 vcc, 43, v0
	v_add_u32_e32 v1, 8, v1
	v_add_u32_e32 v18, 8, v18
	s_or_b64 s[2:3], vcc, s[2:3]
	s_waitcnt vmcnt(0) lgkmcnt(0)
	v_fmac_f64_e32 v[96:97], v[98:99], v[100:101]
	s_andn2_b64 exec, exec, s[2:3]
	s_cbranch_execnz .LBB109_885
; %bb.886:
	s_or_b64 exec, exec, s[2:3]
.LBB109_887:
	s_or_b64 exec, exec, s[0:1]
	v_mov_b32_e32 v0, 0
	ds_read_b64 v[0:1], v0 offset:360
	s_waitcnt lgkmcnt(0)
	v_mul_f64 v[0:1], v[96:97], v[0:1]
	scratch_store_dwordx2 off, v[0:1], off offset:360
.LBB109_888:
	s_or_b64 exec, exec, s[4:5]
.LBB109_889:
	scratch_load_dwordx2 v[0:1], off, off
	s_waitcnt vmcnt(0)
	flat_store_dwordx2 v[2:3], v[0:1]
	scratch_load_dwordx2 v[0:1], off, off offset:8
	s_waitcnt vmcnt(0)
	flat_store_dwordx2 v[4:5], v[0:1]
	scratch_load_dwordx2 v[0:1], off, off offset:16
	s_waitcnt vmcnt(0)
	flat_store_dwordx2 v[6:7], v[0:1]
	scratch_load_dwordx2 v[0:1], off, off offset:24
	s_waitcnt vmcnt(0)
	flat_store_dwordx2 v[8:9], v[0:1]
	scratch_load_dwordx2 v[0:1], off, off offset:32
	s_waitcnt vmcnt(0)
	flat_store_dwordx2 v[10:11], v[0:1]
	scratch_load_dwordx2 v[0:1], off, off offset:40
	s_waitcnt vmcnt(0)
	flat_store_dwordx2 v[12:13], v[0:1]
	scratch_load_dwordx2 v[0:1], off, off offset:48
	s_waitcnt vmcnt(0)
	flat_store_dwordx2 v[14:15], v[0:1]
	scratch_load_dwordx2 v[0:1], off, off offset:56
	s_waitcnt vmcnt(0)
	flat_store_dwordx2 v[16:17], v[0:1]
	scratch_load_dwordx2 v[0:1], off, off offset:64
	s_waitcnt vmcnt(0)
	flat_store_dwordx2 v[20:21], v[0:1]
	scratch_load_dwordx2 v[0:1], off, off offset:72
	s_waitcnt vmcnt(0)
	flat_store_dwordx2 v[22:23], v[0:1]
	scratch_load_dwordx2 v[0:1], off, off offset:80
	s_waitcnt vmcnt(0)
	flat_store_dwordx2 v[24:25], v[0:1]
	scratch_load_dwordx2 v[0:1], off, off offset:88
	s_waitcnt vmcnt(0)
	flat_store_dwordx2 v[26:27], v[0:1]
	scratch_load_dwordx2 v[0:1], off, off offset:96
	s_waitcnt vmcnt(0)
	flat_store_dwordx2 v[28:29], v[0:1]
	scratch_load_dwordx2 v[0:1], off, off offset:104
	s_waitcnt vmcnt(0)
	flat_store_dwordx2 v[30:31], v[0:1]
	scratch_load_dwordx2 v[0:1], off, off offset:112
	s_waitcnt vmcnt(0)
	flat_store_dwordx2 v[32:33], v[0:1]
	scratch_load_dwordx2 v[0:1], off, off offset:120
	s_waitcnt vmcnt(0)
	flat_store_dwordx2 v[34:35], v[0:1]
	scratch_load_dwordx2 v[0:1], off, off offset:128
	s_waitcnt vmcnt(0)
	flat_store_dwordx2 v[36:37], v[0:1]
	scratch_load_dwordx2 v[0:1], off, off offset:136
	s_waitcnt vmcnt(0)
	flat_store_dwordx2 v[38:39], v[0:1]
	scratch_load_dwordx2 v[0:1], off, off offset:144
	s_waitcnt vmcnt(0)
	flat_store_dwordx2 v[40:41], v[0:1]
	scratch_load_dwordx2 v[0:1], off, off offset:152
	s_waitcnt vmcnt(0)
	flat_store_dwordx2 v[42:43], v[0:1]
	scratch_load_dwordx2 v[0:1], off, off offset:160
	s_waitcnt vmcnt(0)
	flat_store_dwordx2 v[44:45], v[0:1]
	scratch_load_dwordx2 v[0:1], off, off offset:168
	s_waitcnt vmcnt(0)
	flat_store_dwordx2 v[46:47], v[0:1]
	scratch_load_dwordx2 v[0:1], off, off offset:176
	s_waitcnt vmcnt(0)
	flat_store_dwordx2 v[48:49], v[0:1]
	scratch_load_dwordx2 v[0:1], off, off offset:184
	s_waitcnt vmcnt(0)
	flat_store_dwordx2 v[50:51], v[0:1]
	scratch_load_dwordx2 v[0:1], off, off offset:192
	s_waitcnt vmcnt(0)
	flat_store_dwordx2 v[52:53], v[0:1]
	scratch_load_dwordx2 v[0:1], off, off offset:200
	s_waitcnt vmcnt(0)
	flat_store_dwordx2 v[54:55], v[0:1]
	scratch_load_dwordx2 v[0:1], off, off offset:208
	s_waitcnt vmcnt(0)
	flat_store_dwordx2 v[56:57], v[0:1]
	scratch_load_dwordx2 v[0:1], off, off offset:216
	s_waitcnt vmcnt(0)
	flat_store_dwordx2 v[58:59], v[0:1]
	scratch_load_dwordx2 v[0:1], off, off offset:224
	s_waitcnt vmcnt(0)
	flat_store_dwordx2 v[60:61], v[0:1]
	scratch_load_dwordx2 v[0:1], off, off offset:232
	s_waitcnt vmcnt(0)
	flat_store_dwordx2 v[62:63], v[0:1]
	scratch_load_dwordx2 v[0:1], off, off offset:240
	s_waitcnt vmcnt(0)
	flat_store_dwordx2 v[64:65], v[0:1]
	scratch_load_dwordx2 v[0:1], off, off offset:248
	s_waitcnt vmcnt(0)
	flat_store_dwordx2 v[66:67], v[0:1]
	scratch_load_dwordx2 v[0:1], off, off offset:256
	s_waitcnt vmcnt(0)
	flat_store_dwordx2 v[68:69], v[0:1]
	scratch_load_dwordx2 v[0:1], off, off offset:264
	s_waitcnt vmcnt(0)
	flat_store_dwordx2 v[70:71], v[0:1]
	scratch_load_dwordx2 v[0:1], off, off offset:272
	s_waitcnt vmcnt(0)
	flat_store_dwordx2 v[72:73], v[0:1]
	scratch_load_dwordx2 v[0:1], off, off offset:280
	s_waitcnt vmcnt(0)
	flat_store_dwordx2 v[74:75], v[0:1]
	scratch_load_dwordx2 v[0:1], off, off offset:288
	s_waitcnt vmcnt(0)
	flat_store_dwordx2 v[76:77], v[0:1]
	scratch_load_dwordx2 v[0:1], off, off offset:296
	s_waitcnt vmcnt(0)
	flat_store_dwordx2 v[78:79], v[0:1]
	scratch_load_dwordx2 v[0:1], off, off offset:304
	s_waitcnt vmcnt(0)
	flat_store_dwordx2 v[80:81], v[0:1]
	scratch_load_dwordx2 v[0:1], off, off offset:312
	s_waitcnt vmcnt(0)
	flat_store_dwordx2 v[82:83], v[0:1]
	scratch_load_dwordx2 v[0:1], off, off offset:320
	s_waitcnt vmcnt(0)
	flat_store_dwordx2 v[84:85], v[0:1]
	scratch_load_dwordx2 v[0:1], off, off offset:328
	s_waitcnt vmcnt(0)
	flat_store_dwordx2 v[86:87], v[0:1]
	scratch_load_dwordx2 v[0:1], off, off offset:336
	s_waitcnt vmcnt(0)
	flat_store_dwordx2 v[88:89], v[0:1]
	scratch_load_dwordx2 v[0:1], off, off offset:344
	s_waitcnt vmcnt(0)
	flat_store_dwordx2 v[90:91], v[0:1]
	scratch_load_dwordx2 v[0:1], off, off offset:352
	s_waitcnt vmcnt(0)
	flat_store_dwordx2 v[92:93], v[0:1]
	scratch_load_dwordx2 v[0:1], off, off offset:360
	s_waitcnt vmcnt(0)
	flat_store_dwordx2 v[94:95], v[0:1]
.LBB109_890:
	s_endpgm
	.section	.rodata,"a",@progbits
	.p2align	6, 0x0
	.amdhsa_kernel _ZN9rocsolver6v33100L18trti2_kernel_smallILi46EdPKPdEEv13rocblas_fill_17rocblas_diagonal_T1_iil
		.amdhsa_group_segment_fixed_size 736
		.amdhsa_private_segment_fixed_size 384
		.amdhsa_kernarg_size 32
		.amdhsa_user_sgpr_count 2
		.amdhsa_user_sgpr_dispatch_ptr 0
		.amdhsa_user_sgpr_queue_ptr 0
		.amdhsa_user_sgpr_kernarg_segment_ptr 1
		.amdhsa_user_sgpr_dispatch_id 0
		.amdhsa_user_sgpr_kernarg_preload_length 0
		.amdhsa_user_sgpr_kernarg_preload_offset 0
		.amdhsa_user_sgpr_private_segment_size 0
		.amdhsa_uses_dynamic_stack 0
		.amdhsa_enable_private_segment 1
		.amdhsa_system_sgpr_workgroup_id_x 1
		.amdhsa_system_sgpr_workgroup_id_y 0
		.amdhsa_system_sgpr_workgroup_id_z 0
		.amdhsa_system_sgpr_workgroup_info 0
		.amdhsa_system_vgpr_workitem_id 0
		.amdhsa_next_free_vgpr 106
		.amdhsa_next_free_sgpr 55
		.amdhsa_accum_offset 108
		.amdhsa_reserve_vcc 1
		.amdhsa_float_round_mode_32 0
		.amdhsa_float_round_mode_16_64 0
		.amdhsa_float_denorm_mode_32 3
		.amdhsa_float_denorm_mode_16_64 3
		.amdhsa_dx10_clamp 1
		.amdhsa_ieee_mode 1
		.amdhsa_fp16_overflow 0
		.amdhsa_tg_split 0
		.amdhsa_exception_fp_ieee_invalid_op 0
		.amdhsa_exception_fp_denorm_src 0
		.amdhsa_exception_fp_ieee_div_zero 0
		.amdhsa_exception_fp_ieee_overflow 0
		.amdhsa_exception_fp_ieee_underflow 0
		.amdhsa_exception_fp_ieee_inexact 0
		.amdhsa_exception_int_div_zero 0
	.end_amdhsa_kernel
	.section	.text._ZN9rocsolver6v33100L18trti2_kernel_smallILi46EdPKPdEEv13rocblas_fill_17rocblas_diagonal_T1_iil,"axG",@progbits,_ZN9rocsolver6v33100L18trti2_kernel_smallILi46EdPKPdEEv13rocblas_fill_17rocblas_diagonal_T1_iil,comdat
.Lfunc_end109:
	.size	_ZN9rocsolver6v33100L18trti2_kernel_smallILi46EdPKPdEEv13rocblas_fill_17rocblas_diagonal_T1_iil, .Lfunc_end109-_ZN9rocsolver6v33100L18trti2_kernel_smallILi46EdPKPdEEv13rocblas_fill_17rocblas_diagonal_T1_iil
                                        ; -- End function
	.set _ZN9rocsolver6v33100L18trti2_kernel_smallILi46EdPKPdEEv13rocblas_fill_17rocblas_diagonal_T1_iil.num_vgpr, 106
	.set _ZN9rocsolver6v33100L18trti2_kernel_smallILi46EdPKPdEEv13rocblas_fill_17rocblas_diagonal_T1_iil.num_agpr, 0
	.set _ZN9rocsolver6v33100L18trti2_kernel_smallILi46EdPKPdEEv13rocblas_fill_17rocblas_diagonal_T1_iil.numbered_sgpr, 55
	.set _ZN9rocsolver6v33100L18trti2_kernel_smallILi46EdPKPdEEv13rocblas_fill_17rocblas_diagonal_T1_iil.num_named_barrier, 0
	.set _ZN9rocsolver6v33100L18trti2_kernel_smallILi46EdPKPdEEv13rocblas_fill_17rocblas_diagonal_T1_iil.private_seg_size, 384
	.set _ZN9rocsolver6v33100L18trti2_kernel_smallILi46EdPKPdEEv13rocblas_fill_17rocblas_diagonal_T1_iil.uses_vcc, 1
	.set _ZN9rocsolver6v33100L18trti2_kernel_smallILi46EdPKPdEEv13rocblas_fill_17rocblas_diagonal_T1_iil.uses_flat_scratch, 0
	.set _ZN9rocsolver6v33100L18trti2_kernel_smallILi46EdPKPdEEv13rocblas_fill_17rocblas_diagonal_T1_iil.has_dyn_sized_stack, 0
	.set _ZN9rocsolver6v33100L18trti2_kernel_smallILi46EdPKPdEEv13rocblas_fill_17rocblas_diagonal_T1_iil.has_recursion, 0
	.set _ZN9rocsolver6v33100L18trti2_kernel_smallILi46EdPKPdEEv13rocblas_fill_17rocblas_diagonal_T1_iil.has_indirect_call, 0
	.section	.AMDGPU.csdata,"",@progbits
; Kernel info:
; codeLenInByte = 22328
; TotalNumSgprs: 61
; NumVgprs: 106
; NumAgprs: 0
; TotalNumVgprs: 106
; ScratchSize: 384
; MemoryBound: 0
; FloatMode: 240
; IeeeMode: 1
; LDSByteSize: 736 bytes/workgroup (compile time only)
; SGPRBlocks: 7
; VGPRBlocks: 13
; NumSGPRsForWavesPerEU: 61
; NumVGPRsForWavesPerEU: 106
; AccumOffset: 108
; Occupancy: 4
; WaveLimiterHint : 1
; COMPUTE_PGM_RSRC2:SCRATCH_EN: 1
; COMPUTE_PGM_RSRC2:USER_SGPR: 2
; COMPUTE_PGM_RSRC2:TRAP_HANDLER: 0
; COMPUTE_PGM_RSRC2:TGID_X_EN: 1
; COMPUTE_PGM_RSRC2:TGID_Y_EN: 0
; COMPUTE_PGM_RSRC2:TGID_Z_EN: 0
; COMPUTE_PGM_RSRC2:TIDIG_COMP_CNT: 0
; COMPUTE_PGM_RSRC3_GFX90A:ACCUM_OFFSET: 26
; COMPUTE_PGM_RSRC3_GFX90A:TG_SPLIT: 0
	.section	.text._ZN9rocsolver6v33100L18trti2_kernel_smallILi47EdPKPdEEv13rocblas_fill_17rocblas_diagonal_T1_iil,"axG",@progbits,_ZN9rocsolver6v33100L18trti2_kernel_smallILi47EdPKPdEEv13rocblas_fill_17rocblas_diagonal_T1_iil,comdat
	.globl	_ZN9rocsolver6v33100L18trti2_kernel_smallILi47EdPKPdEEv13rocblas_fill_17rocblas_diagonal_T1_iil ; -- Begin function _ZN9rocsolver6v33100L18trti2_kernel_smallILi47EdPKPdEEv13rocblas_fill_17rocblas_diagonal_T1_iil
	.p2align	8
	.type	_ZN9rocsolver6v33100L18trti2_kernel_smallILi47EdPKPdEEv13rocblas_fill_17rocblas_diagonal_T1_iil,@function
_ZN9rocsolver6v33100L18trti2_kernel_smallILi47EdPKPdEEv13rocblas_fill_17rocblas_diagonal_T1_iil: ; @_ZN9rocsolver6v33100L18trti2_kernel_smallILi47EdPKPdEEv13rocblas_fill_17rocblas_diagonal_T1_iil
; %bb.0:
	v_cmp_gt_u32_e32 vcc, 47, v0
	s_and_saveexec_b64 s[4:5], vcc
	s_cbranch_execz .LBB110_910
; %bb.1:
	s_load_dwordx2 s[8:9], s[0:1], 0x10
	s_load_dwordx4 s[4:7], s[0:1], 0x0
	s_ashr_i32 s3, s2, 31
	s_lshl_b64 s[0:1], s[2:3], 3
	v_lshlrev_b32_e32 v18, 3, v0
	s_waitcnt lgkmcnt(0)
	s_ashr_i32 s3, s8, 31
	s_add_u32 s0, s6, s0
	s_addc_u32 s1, s7, s1
	s_load_dwordx2 s[0:1], s[0:1], 0x0
	s_mov_b32 s2, s8
	s_lshl_b64 s[2:3], s[2:3], 3
	v_mov_b32_e32 v19, 0
	s_waitcnt lgkmcnt(0)
	s_add_u32 s0, s0, s2
	s_addc_u32 s1, s1, s3
	v_lshl_add_u64 v[2:3], s[0:1], 0, v[18:19]
	flat_load_dwordx2 v[6:7], v[2:3]
	s_mov_b32 s2, s9
	s_ashr_i32 s3, s9, 31
	v_lshl_add_u64 v[4:5], s[2:3], 3, v[2:3]
	s_add_i32 s2, s9, s9
	v_add_u32_e32 v10, s2, v0
	v_ashrrev_i32_e32 v11, 31, v10
	s_cmpk_lg_i32 s5, 0x84
	s_cselect_b64 s[6:7], -1, 0
	s_cmpk_eq_i32 s5, 0x84
	s_waitcnt vmcnt(0) lgkmcnt(0)
	scratch_store_dwordx2 off, v[6:7], off
	flat_load_dwordx2 v[8:9], v[4:5]
	v_lshl_add_u64 v[6:7], v[10:11], 3, s[0:1]
	v_add_u32_e32 v10, s9, v10
	v_ashrrev_i32_e32 v11, 31, v10
	v_add_u32_e32 v14, s9, v10
	v_ashrrev_i32_e32 v15, 31, v14
	s_waitcnt vmcnt(0) lgkmcnt(0)
	scratch_store_dwordx2 off, v[8:9], off offset:8
	flat_load_dwordx2 v[12:13], v[6:7]
	v_lshl_add_u64 v[8:9], v[10:11], 3, s[0:1]
	v_lshl_add_u64 v[10:11], v[14:15], 3, s[0:1]
	v_add_u32_e32 v14, s9, v14
	v_ashrrev_i32_e32 v15, 31, v14
	v_add_u32_e32 v20, s9, v14
	v_ashrrev_i32_e32 v21, 31, v20
	s_waitcnt vmcnt(0) lgkmcnt(0)
	scratch_store_dwordx2 off, v[12:13], off offset:16
	flat_load_dwordx2 v[12:13], v[8:9]
	s_waitcnt vmcnt(0) lgkmcnt(0)
	scratch_store_dwordx2 off, v[12:13], off offset:24
	flat_load_dwordx2 v[16:17], v[10:11]
	v_lshl_add_u64 v[12:13], v[14:15], 3, s[0:1]
	v_lshl_add_u64 v[14:15], v[20:21], 3, s[0:1]
	v_add_u32_e32 v20, s9, v20
	v_ashrrev_i32_e32 v21, 31, v20
	v_add_u32_e32 v24, s9, v20
	v_ashrrev_i32_e32 v25, 31, v24
	s_waitcnt vmcnt(0) lgkmcnt(0)
	scratch_store_dwordx2 off, v[16:17], off offset:32
	flat_load_dwordx2 v[16:17], v[12:13]
	s_waitcnt vmcnt(0) lgkmcnt(0)
	scratch_store_dwordx2 off, v[16:17], off offset:40
	flat_load_dwordx2 v[22:23], v[14:15]
	v_lshl_add_u64 v[16:17], v[20:21], 3, s[0:1]
	v_lshl_add_u64 v[20:21], v[24:25], 3, s[0:1]
	v_add_u32_e32 v24, s9, v24
	v_ashrrev_i32_e32 v25, 31, v24
	v_add_u32_e32 v28, s9, v24
	v_ashrrev_i32_e32 v29, 31, v28
	s_waitcnt vmcnt(0) lgkmcnt(0)
	scratch_store_dwordx2 off, v[22:23], off offset:48
	flat_load_dwordx2 v[22:23], v[16:17]
	s_waitcnt vmcnt(0) lgkmcnt(0)
	scratch_store_dwordx2 off, v[22:23], off offset:56
	flat_load_dwordx2 v[26:27], v[20:21]
	v_lshl_add_u64 v[22:23], v[24:25], 3, s[0:1]
	v_lshl_add_u64 v[24:25], v[28:29], 3, s[0:1]
	v_add_u32_e32 v28, s9, v28
	v_ashrrev_i32_e32 v29, 31, v28
	v_add_u32_e32 v32, s9, v28
	v_ashrrev_i32_e32 v33, 31, v32
	s_waitcnt vmcnt(0) lgkmcnt(0)
	scratch_store_dwordx2 off, v[26:27], off offset:64
	flat_load_dwordx2 v[26:27], v[22:23]
	s_waitcnt vmcnt(0) lgkmcnt(0)
	scratch_store_dwordx2 off, v[26:27], off offset:72
	flat_load_dwordx2 v[30:31], v[24:25]
	v_lshl_add_u64 v[26:27], v[28:29], 3, s[0:1]
	v_lshl_add_u64 v[28:29], v[32:33], 3, s[0:1]
	v_add_u32_e32 v32, s9, v32
	v_ashrrev_i32_e32 v33, 31, v32
	v_add_u32_e32 v36, s9, v32
	v_ashrrev_i32_e32 v37, 31, v36
	s_waitcnt vmcnt(0) lgkmcnt(0)
	scratch_store_dwordx2 off, v[30:31], off offset:80
	flat_load_dwordx2 v[30:31], v[26:27]
	s_waitcnt vmcnt(0) lgkmcnt(0)
	scratch_store_dwordx2 off, v[30:31], off offset:88
	flat_load_dwordx2 v[34:35], v[28:29]
	v_lshl_add_u64 v[30:31], v[32:33], 3, s[0:1]
	v_lshl_add_u64 v[32:33], v[36:37], 3, s[0:1]
	v_add_u32_e32 v36, s9, v36
	v_ashrrev_i32_e32 v37, 31, v36
	v_add_u32_e32 v40, s9, v36
	v_ashrrev_i32_e32 v41, 31, v40
	s_waitcnt vmcnt(0) lgkmcnt(0)
	scratch_store_dwordx2 off, v[34:35], off offset:96
	flat_load_dwordx2 v[34:35], v[30:31]
	s_waitcnt vmcnt(0) lgkmcnt(0)
	scratch_store_dwordx2 off, v[34:35], off offset:104
	flat_load_dwordx2 v[38:39], v[32:33]
	v_lshl_add_u64 v[34:35], v[36:37], 3, s[0:1]
	v_lshl_add_u64 v[36:37], v[40:41], 3, s[0:1]
	v_add_u32_e32 v40, s9, v40
	v_ashrrev_i32_e32 v41, 31, v40
	v_add_u32_e32 v44, s9, v40
	v_ashrrev_i32_e32 v45, 31, v44
	s_waitcnt vmcnt(0) lgkmcnt(0)
	scratch_store_dwordx2 off, v[38:39], off offset:112
	flat_load_dwordx2 v[38:39], v[34:35]
	s_waitcnt vmcnt(0) lgkmcnt(0)
	scratch_store_dwordx2 off, v[38:39], off offset:120
	flat_load_dwordx2 v[42:43], v[36:37]
	v_lshl_add_u64 v[38:39], v[40:41], 3, s[0:1]
	v_lshl_add_u64 v[40:41], v[44:45], 3, s[0:1]
	v_add_u32_e32 v44, s9, v44
	v_ashrrev_i32_e32 v45, 31, v44
	v_add_u32_e32 v48, s9, v44
	v_ashrrev_i32_e32 v49, 31, v48
	s_waitcnt vmcnt(0) lgkmcnt(0)
	scratch_store_dwordx2 off, v[42:43], off offset:128
	flat_load_dwordx2 v[42:43], v[38:39]
	s_waitcnt vmcnt(0) lgkmcnt(0)
	scratch_store_dwordx2 off, v[42:43], off offset:136
	flat_load_dwordx2 v[46:47], v[40:41]
	v_lshl_add_u64 v[42:43], v[44:45], 3, s[0:1]
	v_lshl_add_u64 v[44:45], v[48:49], 3, s[0:1]
	v_add_u32_e32 v48, s9, v48
	v_ashrrev_i32_e32 v49, 31, v48
	v_add_u32_e32 v52, s9, v48
	v_ashrrev_i32_e32 v53, 31, v52
	s_waitcnt vmcnt(0) lgkmcnt(0)
	scratch_store_dwordx2 off, v[46:47], off offset:144
	flat_load_dwordx2 v[46:47], v[42:43]
	s_waitcnt vmcnt(0) lgkmcnt(0)
	scratch_store_dwordx2 off, v[46:47], off offset:152
	flat_load_dwordx2 v[50:51], v[44:45]
	v_lshl_add_u64 v[46:47], v[48:49], 3, s[0:1]
	v_lshl_add_u64 v[48:49], v[52:53], 3, s[0:1]
	v_add_u32_e32 v52, s9, v52
	v_ashrrev_i32_e32 v53, 31, v52
	v_add_u32_e32 v56, s9, v52
	v_ashrrev_i32_e32 v57, 31, v56
	s_waitcnt vmcnt(0) lgkmcnt(0)
	scratch_store_dwordx2 off, v[50:51], off offset:160
	flat_load_dwordx2 v[50:51], v[46:47]
	s_waitcnt vmcnt(0) lgkmcnt(0)
	scratch_store_dwordx2 off, v[50:51], off offset:168
	flat_load_dwordx2 v[54:55], v[48:49]
	v_lshl_add_u64 v[50:51], v[52:53], 3, s[0:1]
	v_lshl_add_u64 v[52:53], v[56:57], 3, s[0:1]
	v_add_u32_e32 v56, s9, v56
	v_ashrrev_i32_e32 v57, 31, v56
	v_add_u32_e32 v60, s9, v56
	v_ashrrev_i32_e32 v61, 31, v60
	s_waitcnt vmcnt(0) lgkmcnt(0)
	scratch_store_dwordx2 off, v[54:55], off offset:176
	flat_load_dwordx2 v[54:55], v[50:51]
	s_waitcnt vmcnt(0) lgkmcnt(0)
	scratch_store_dwordx2 off, v[54:55], off offset:184
	flat_load_dwordx2 v[58:59], v[52:53]
	v_lshl_add_u64 v[54:55], v[56:57], 3, s[0:1]
	v_lshl_add_u64 v[56:57], v[60:61], 3, s[0:1]
	v_add_u32_e32 v60, s9, v60
	v_ashrrev_i32_e32 v61, 31, v60
	v_add_u32_e32 v64, s9, v60
	v_ashrrev_i32_e32 v65, 31, v64
	s_waitcnt vmcnt(0) lgkmcnt(0)
	scratch_store_dwordx2 off, v[58:59], off offset:192
	flat_load_dwordx2 v[58:59], v[54:55]
	s_waitcnt vmcnt(0) lgkmcnt(0)
	scratch_store_dwordx2 off, v[58:59], off offset:200
	flat_load_dwordx2 v[62:63], v[56:57]
	v_lshl_add_u64 v[58:59], v[60:61], 3, s[0:1]
	v_lshl_add_u64 v[60:61], v[64:65], 3, s[0:1]
	v_add_u32_e32 v64, s9, v64
	v_ashrrev_i32_e32 v65, 31, v64
	v_add_u32_e32 v68, s9, v64
	v_ashrrev_i32_e32 v69, 31, v68
	s_waitcnt vmcnt(0) lgkmcnt(0)
	scratch_store_dwordx2 off, v[62:63], off offset:208
	flat_load_dwordx2 v[62:63], v[58:59]
	s_waitcnt vmcnt(0) lgkmcnt(0)
	scratch_store_dwordx2 off, v[62:63], off offset:216
	flat_load_dwordx2 v[66:67], v[60:61]
	v_lshl_add_u64 v[62:63], v[64:65], 3, s[0:1]
	v_lshl_add_u64 v[64:65], v[68:69], 3, s[0:1]
	v_add_u32_e32 v68, s9, v68
	v_ashrrev_i32_e32 v69, 31, v68
	v_add_u32_e32 v72, s9, v68
	v_ashrrev_i32_e32 v73, 31, v72
	s_waitcnt vmcnt(0) lgkmcnt(0)
	scratch_store_dwordx2 off, v[66:67], off offset:224
	flat_load_dwordx2 v[66:67], v[62:63]
	s_waitcnt vmcnt(0) lgkmcnt(0)
	scratch_store_dwordx2 off, v[66:67], off offset:232
	flat_load_dwordx2 v[70:71], v[64:65]
	v_lshl_add_u64 v[66:67], v[68:69], 3, s[0:1]
	v_lshl_add_u64 v[68:69], v[72:73], 3, s[0:1]
	v_add_u32_e32 v72, s9, v72
	v_ashrrev_i32_e32 v73, 31, v72
	v_add_u32_e32 v76, s9, v72
	v_ashrrev_i32_e32 v77, 31, v76
	s_waitcnt vmcnt(0) lgkmcnt(0)
	scratch_store_dwordx2 off, v[70:71], off offset:240
	flat_load_dwordx2 v[70:71], v[66:67]
	s_waitcnt vmcnt(0) lgkmcnt(0)
	scratch_store_dwordx2 off, v[70:71], off offset:248
	flat_load_dwordx2 v[74:75], v[68:69]
	v_lshl_add_u64 v[70:71], v[72:73], 3, s[0:1]
	v_lshl_add_u64 v[72:73], v[76:77], 3, s[0:1]
	v_add_u32_e32 v76, s9, v76
	v_ashrrev_i32_e32 v77, 31, v76
	v_add_u32_e32 v80, s9, v76
	v_ashrrev_i32_e32 v81, 31, v80
	s_waitcnt vmcnt(0) lgkmcnt(0)
	scratch_store_dwordx2 off, v[74:75], off offset:256
	flat_load_dwordx2 v[74:75], v[70:71]
	s_waitcnt vmcnt(0) lgkmcnt(0)
	scratch_store_dwordx2 off, v[74:75], off offset:264
	flat_load_dwordx2 v[78:79], v[72:73]
	v_lshl_add_u64 v[74:75], v[76:77], 3, s[0:1]
	v_lshl_add_u64 v[76:77], v[80:81], 3, s[0:1]
	v_add_u32_e32 v80, s9, v80
	v_ashrrev_i32_e32 v81, 31, v80
	v_add_u32_e32 v84, s9, v80
	v_ashrrev_i32_e32 v85, 31, v84
	s_waitcnt vmcnt(0) lgkmcnt(0)
	scratch_store_dwordx2 off, v[78:79], off offset:272
	flat_load_dwordx2 v[78:79], v[74:75]
	s_waitcnt vmcnt(0) lgkmcnt(0)
	scratch_store_dwordx2 off, v[78:79], off offset:280
	flat_load_dwordx2 v[82:83], v[76:77]
	v_lshl_add_u64 v[78:79], v[80:81], 3, s[0:1]
	v_lshl_add_u64 v[80:81], v[84:85], 3, s[0:1]
	v_add_u32_e32 v84, s9, v84
	v_ashrrev_i32_e32 v85, 31, v84
	v_add_u32_e32 v88, s9, v84
	v_ashrrev_i32_e32 v89, 31, v88
	s_waitcnt vmcnt(0) lgkmcnt(0)
	scratch_store_dwordx2 off, v[82:83], off offset:288
	flat_load_dwordx2 v[82:83], v[78:79]
	s_waitcnt vmcnt(0) lgkmcnt(0)
	scratch_store_dwordx2 off, v[82:83], off offset:296
	flat_load_dwordx2 v[86:87], v[80:81]
	v_lshl_add_u64 v[82:83], v[84:85], 3, s[0:1]
	v_lshl_add_u64 v[84:85], v[88:89], 3, s[0:1]
	v_add_u32_e32 v88, s9, v88
	v_ashrrev_i32_e32 v89, 31, v88
	v_add_u32_e32 v92, s9, v88
	v_ashrrev_i32_e32 v93, 31, v92
	s_waitcnt vmcnt(0) lgkmcnt(0)
	scratch_store_dwordx2 off, v[86:87], off offset:304
	flat_load_dwordx2 v[86:87], v[82:83]
	s_waitcnt vmcnt(0) lgkmcnt(0)
	scratch_store_dwordx2 off, v[86:87], off offset:312
	flat_load_dwordx2 v[90:91], v[84:85]
	v_lshl_add_u64 v[86:87], v[88:89], 3, s[0:1]
	v_lshl_add_u64 v[88:89], v[92:93], 3, s[0:1]
	v_add_u32_e32 v92, s9, v92
	v_ashrrev_i32_e32 v93, 31, v92
	v_add_u32_e32 v96, s9, v92
	v_ashrrev_i32_e32 v97, 31, v96
	s_waitcnt vmcnt(0) lgkmcnt(0)
	scratch_store_dwordx2 off, v[90:91], off offset:320
	flat_load_dwordx2 v[90:91], v[86:87]
	s_waitcnt vmcnt(0) lgkmcnt(0)
	scratch_store_dwordx2 off, v[90:91], off offset:328
	flat_load_dwordx2 v[94:95], v[88:89]
	v_lshl_add_u64 v[90:91], v[92:93], 3, s[0:1]
	v_lshl_add_u64 v[92:93], v[96:97], 3, s[0:1]
	v_add_u32_e32 v96, s9, v96
	v_ashrrev_i32_e32 v97, 31, v96
	s_waitcnt vmcnt(0) lgkmcnt(0)
	scratch_store_dwordx2 off, v[94:95], off offset:336
	flat_load_dwordx2 v[94:95], v[90:91]
	s_waitcnt vmcnt(0) lgkmcnt(0)
	scratch_store_dwordx2 off, v[94:95], off offset:344
	flat_load_dwordx2 v[98:99], v[92:93]
	v_lshl_add_u64 v[94:95], v[96:97], 3, s[0:1]
	v_add_u32_e32 v96, s9, v96
	v_ashrrev_i32_e32 v97, 31, v96
	v_lshl_add_u64 v[96:97], v[96:97], 3, s[0:1]
	s_waitcnt vmcnt(0) lgkmcnt(0)
	scratch_store_dwordx2 off, v[98:99], off offset:352
	flat_load_dwordx2 v[98:99], v[94:95]
	s_waitcnt vmcnt(0) lgkmcnt(0)
	scratch_store_dwordx2 off, v[98:99], off offset:360
	flat_load_dwordx2 v[98:99], v[96:97]
	s_waitcnt vmcnt(0) lgkmcnt(0)
	scratch_store_dwordx2 off, v[98:99], off offset:368
	v_mov_b64_e32 v[98:99], -1.0
	s_cbranch_scc1 .LBB110_3
; %bb.2:
	scratch_load_dwordx2 v[98:99], v18, off
	s_waitcnt vmcnt(0)
	v_div_scale_f64 v[100:101], s[0:1], v[98:99], v[98:99], 1.0
	v_rcp_f64_e32 v[102:103], v[100:101]
	v_div_scale_f64 v[104:105], vcc, 1.0, v[98:99], 1.0
	v_fma_f64 v[106:107], -v[100:101], v[102:103], 1.0
	v_fmac_f64_e32 v[102:103], v[102:103], v[106:107]
	v_fma_f64 v[106:107], -v[100:101], v[102:103], 1.0
	v_fmac_f64_e32 v[102:103], v[102:103], v[106:107]
	v_mul_f64 v[106:107], v[104:105], v[102:103]
	v_fma_f64 v[100:101], -v[100:101], v[106:107], v[104:105]
	v_div_fmas_f64 v[100:101], v[100:101], v[102:103], v[106:107]
	v_div_fixup_f64 v[98:99], v[100:101], v[98:99], 1.0
	scratch_store_dwordx2 v18, v[98:99], off
	v_xor_b32_e32 v99, 0x80000000, v99
.LBB110_3:
	s_cmpk_eq_i32 s4, 0x79
	v_add_u32_e32 v1, 0x180, v18
	v_mov_b32_e32 v19, v18
	s_mov_b64 s[0:1], -1
	ds_write_b64 v18, v[98:99]
	s_cbranch_scc1 .LBB110_457
; %bb.4:
	scratch_load_dwordx2 v[98:99], off, off offset:360
	s_movk_i32 s8, 0x48
	s_movk_i32 s9, 0x50
	;; [unrolled: 1-line block ×36, first 2 shown]
	v_cmp_eq_u32_e64 s[0:1], 46, v0
	s_waitcnt vmcnt(0)
	ds_write_b64 v1, v[98:99]
	s_waitcnt lgkmcnt(0)
	; wave barrier
	s_and_saveexec_b64 s[2:3], s[0:1]
	s_cbranch_execz .LBB110_10
; %bb.5:
	s_and_b64 vcc, exec, s[6:7]
	s_cbranch_vccz .LBB110_7
; %bb.6:
	scratch_load_dwordx2 v[98:99], v19, off
	ds_read_b64 v[100:101], v1
	s_waitcnt vmcnt(0) lgkmcnt(0)
	v_mul_f64 v[98:99], v[98:99], v[100:101]
	s_cbranch_execz .LBB110_8
	s_branch .LBB110_9
.LBB110_7:
                                        ; implicit-def: $vgpr98_vgpr99
.LBB110_8:
	ds_read_b64 v[98:99], v1
.LBB110_9:
	v_mov_b32_e32 v100, 0
	ds_read_b64 v[100:101], v100 offset:360
	s_waitcnt lgkmcnt(0)
	v_mul_f64 v[98:99], v[98:99], v[100:101]
	scratch_store_dwordx2 off, v[98:99], off offset:360
.LBB110_10:
	s_or_b64 exec, exec, s[2:3]
	scratch_load_dwordx2 v[98:99], off, off offset:352
	s_or_b32 s10, 0, 8
	s_mov_b32 s11, 16
	s_mov_b32 s12, 24
	;; [unrolled: 1-line block ×9, first 2 shown]
	v_cmp_lt_u32_e64 s[2:3], 44, v0
	s_waitcnt vmcnt(0)
	ds_write_b64 v1, v[98:99]
	s_waitcnt lgkmcnt(0)
	; wave barrier
	s_and_saveexec_b64 s[4:5], s[2:3]
	s_cbranch_execz .LBB110_16
; %bb.11:
	s_andn2_b64 vcc, exec, s[6:7]
	s_cbranch_vccnz .LBB110_13
; %bb.12:
	scratch_load_dwordx2 v[98:99], v19, off
	ds_read_b64 v[100:101], v1
	s_waitcnt vmcnt(0) lgkmcnt(0)
	v_mul_f64 v[98:99], v[98:99], v[100:101]
	s_cbranch_execz .LBB110_14
	s_branch .LBB110_15
.LBB110_13:
                                        ; implicit-def: $vgpr98_vgpr99
.LBB110_14:
	ds_read_b64 v[98:99], v1
.LBB110_15:
	scratch_load_dwordx2 v[104:105], off, off offset:360
	v_mov_b32_e32 v100, 0
	ds_read2_b64 v[100:103], v100 offset0:44 offset1:93
	s_waitcnt vmcnt(0) lgkmcnt(0)
	v_fma_f64 v[102:103], v[104:105], v[102:103], v[98:99]
	v_cndmask_b32_e64 v99, v99, v103, s[0:1]
	v_cndmask_b32_e64 v98, v98, v102, s[0:1]
	v_mul_f64 v[98:99], v[98:99], v[100:101]
	scratch_store_dwordx2 off, v[98:99], off offset:352
.LBB110_16:
	s_or_b64 exec, exec, s[4:5]
	scratch_load_dwordx2 v[98:99], off, off offset:344
	v_cmp_lt_u32_e64 s[0:1], 43, v0
	s_waitcnt vmcnt(0)
	ds_write_b64 v1, v[98:99]
	s_waitcnt lgkmcnt(0)
	; wave barrier
	s_and_saveexec_b64 s[4:5], s[0:1]
	s_cbranch_execz .LBB110_26
; %bb.17:
	s_andn2_b64 vcc, exec, s[6:7]
	s_cbranch_vccnz .LBB110_19
; %bb.18:
	scratch_load_dwordx2 v[98:99], v19, off
	ds_read_b64 v[100:101], v1
	s_waitcnt vmcnt(0) lgkmcnt(0)
	v_mul_f64 v[98:99], v[98:99], v[100:101]
	s_cbranch_execz .LBB110_20
	s_branch .LBB110_21
.LBB110_19:
                                        ; implicit-def: $vgpr98_vgpr99
.LBB110_20:
	ds_read_b64 v[98:99], v1
.LBB110_21:
	s_and_saveexec_b64 s[8:9], s[2:3]
	s_cbranch_execz .LBB110_25
; %bb.22:
	v_subrev_u32_e32 v100, 44, v0
	s_movk_i32 s55, 0x2e0
	s_mov_b64 s[2:3], 0
.LBB110_23:                             ; =>This Inner Loop Header: Depth=1
	scratch_load_dwordx2 v[102:103], off, s54
	v_mov_b32_e32 v101, s55
	ds_read_b64 v[104:105], v101
	v_add_u32_e32 v100, -1, v100
	s_add_i32 s55, s55, 8
	s_add_i32 s54, s54, 8
	v_cmp_eq_u32_e32 vcc, 0, v100
	s_or_b64 s[2:3], vcc, s[2:3]
	s_waitcnt vmcnt(0) lgkmcnt(0)
	v_fmac_f64_e32 v[98:99], v[102:103], v[104:105]
	s_andn2_b64 exec, exec, s[2:3]
	s_cbranch_execnz .LBB110_23
; %bb.24:
	s_or_b64 exec, exec, s[2:3]
.LBB110_25:
	s_or_b64 exec, exec, s[8:9]
	v_mov_b32_e32 v100, 0
	ds_read_b64 v[100:101], v100 offset:344
	s_waitcnt lgkmcnt(0)
	v_mul_f64 v[98:99], v[98:99], v[100:101]
	scratch_store_dwordx2 off, v[98:99], off offset:344
.LBB110_26:
	s_or_b64 exec, exec, s[4:5]
	scratch_load_dwordx2 v[98:99], off, off offset:336
	v_cmp_lt_u32_e64 s[2:3], 42, v0
	s_waitcnt vmcnt(0)
	ds_write_b64 v1, v[98:99]
	s_waitcnt lgkmcnt(0)
	; wave barrier
	s_and_saveexec_b64 s[4:5], s[2:3]
	s_cbranch_execz .LBB110_36
; %bb.27:
	s_andn2_b64 vcc, exec, s[6:7]
	s_cbranch_vccnz .LBB110_29
; %bb.28:
	scratch_load_dwordx2 v[98:99], v19, off
	ds_read_b64 v[100:101], v1
	s_waitcnt vmcnt(0) lgkmcnt(0)
	v_mul_f64 v[98:99], v[98:99], v[100:101]
	s_cbranch_execz .LBB110_30
	s_branch .LBB110_31
.LBB110_29:
                                        ; implicit-def: $vgpr98_vgpr99
.LBB110_30:
	ds_read_b64 v[98:99], v1
.LBB110_31:
	s_and_saveexec_b64 s[8:9], s[0:1]
	s_cbranch_execz .LBB110_35
; %bb.32:
	v_subrev_u32_e32 v100, 43, v0
	s_movk_i32 s54, 0x2d8
	s_mov_b64 s[0:1], 0
.LBB110_33:                             ; =>This Inner Loop Header: Depth=1
	scratch_load_dwordx2 v[102:103], off, s53
	v_mov_b32_e32 v101, s54
	ds_read_b64 v[104:105], v101
	v_add_u32_e32 v100, -1, v100
	s_add_i32 s54, s54, 8
	s_add_i32 s53, s53, 8
	v_cmp_eq_u32_e32 vcc, 0, v100
	s_or_b64 s[0:1], vcc, s[0:1]
	s_waitcnt vmcnt(0) lgkmcnt(0)
	v_fmac_f64_e32 v[98:99], v[102:103], v[104:105]
	s_andn2_b64 exec, exec, s[0:1]
	s_cbranch_execnz .LBB110_33
; %bb.34:
	s_or_b64 exec, exec, s[0:1]
.LBB110_35:
	s_or_b64 exec, exec, s[8:9]
	v_mov_b32_e32 v100, 0
	ds_read_b64 v[100:101], v100 offset:336
	s_waitcnt lgkmcnt(0)
	v_mul_f64 v[98:99], v[98:99], v[100:101]
	scratch_store_dwordx2 off, v[98:99], off offset:336
.LBB110_36:
	;; [unrolled: 53-line block ×8, first 2 shown]
	s_or_b64 exec, exec, s[4:5]
	scratch_load_dwordx2 v[98:99], off, off offset:280
	v_cmp_lt_u32_e64 s[0:1], 35, v0
	s_waitcnt vmcnt(0)
	ds_write_b64 v1, v[98:99]
	s_waitcnt lgkmcnt(0)
	; wave barrier
	s_and_saveexec_b64 s[4:5], s[0:1]
	s_cbranch_execz .LBB110_106
; %bb.97:
	s_andn2_b64 vcc, exec, s[6:7]
	s_cbranch_vccnz .LBB110_99
; %bb.98:
	scratch_load_dwordx2 v[98:99], v19, off
	ds_read_b64 v[100:101], v1
	s_waitcnt vmcnt(0) lgkmcnt(0)
	v_mul_f64 v[98:99], v[98:99], v[100:101]
	s_cbranch_execz .LBB110_100
	s_branch .LBB110_101
.LBB110_99:
                                        ; implicit-def: $vgpr98_vgpr99
.LBB110_100:
	ds_read_b64 v[98:99], v1
.LBB110_101:
	s_and_saveexec_b64 s[8:9], s[2:3]
	s_cbranch_execz .LBB110_105
; %bb.102:
	v_subrev_u32_e32 v100, 36, v0
	s_movk_i32 s47, 0x2a0
	s_mov_b64 s[2:3], 0
.LBB110_103:                            ; =>This Inner Loop Header: Depth=1
	scratch_load_dwordx2 v[102:103], off, s46
	v_mov_b32_e32 v101, s47
	ds_read_b64 v[104:105], v101
	v_add_u32_e32 v100, -1, v100
	s_add_i32 s47, s47, 8
	s_add_i32 s46, s46, 8
	v_cmp_eq_u32_e32 vcc, 0, v100
	s_or_b64 s[2:3], vcc, s[2:3]
	s_waitcnt vmcnt(0) lgkmcnt(0)
	v_fmac_f64_e32 v[98:99], v[102:103], v[104:105]
	s_andn2_b64 exec, exec, s[2:3]
	s_cbranch_execnz .LBB110_103
; %bb.104:
	s_or_b64 exec, exec, s[2:3]
.LBB110_105:
	s_or_b64 exec, exec, s[8:9]
	v_mov_b32_e32 v100, 0
	ds_read_b64 v[100:101], v100 offset:280
	s_waitcnt lgkmcnt(0)
	v_mul_f64 v[98:99], v[98:99], v[100:101]
	scratch_store_dwordx2 off, v[98:99], off offset:280
.LBB110_106:
	s_or_b64 exec, exec, s[4:5]
	scratch_load_dwordx2 v[98:99], off, off offset:272
	v_cmp_lt_u32_e64 s[2:3], 34, v0
	s_waitcnt vmcnt(0)
	ds_write_b64 v1, v[98:99]
	s_waitcnt lgkmcnt(0)
	; wave barrier
	s_and_saveexec_b64 s[4:5], s[2:3]
	s_cbranch_execz .LBB110_116
; %bb.107:
	s_andn2_b64 vcc, exec, s[6:7]
	s_cbranch_vccnz .LBB110_109
; %bb.108:
	scratch_load_dwordx2 v[98:99], v19, off
	ds_read_b64 v[100:101], v1
	s_waitcnt vmcnt(0) lgkmcnt(0)
	v_mul_f64 v[98:99], v[98:99], v[100:101]
	s_cbranch_execz .LBB110_110
	s_branch .LBB110_111
.LBB110_109:
                                        ; implicit-def: $vgpr98_vgpr99
.LBB110_110:
	ds_read_b64 v[98:99], v1
.LBB110_111:
	s_and_saveexec_b64 s[8:9], s[0:1]
	s_cbranch_execz .LBB110_115
; %bb.112:
	v_subrev_u32_e32 v100, 35, v0
	s_movk_i32 s46, 0x298
	s_mov_b64 s[0:1], 0
.LBB110_113:                            ; =>This Inner Loop Header: Depth=1
	scratch_load_dwordx2 v[102:103], off, s45
	v_mov_b32_e32 v101, s46
	ds_read_b64 v[104:105], v101
	v_add_u32_e32 v100, -1, v100
	s_add_i32 s46, s46, 8
	s_add_i32 s45, s45, 8
	v_cmp_eq_u32_e32 vcc, 0, v100
	s_or_b64 s[0:1], vcc, s[0:1]
	s_waitcnt vmcnt(0) lgkmcnt(0)
	v_fmac_f64_e32 v[98:99], v[102:103], v[104:105]
	s_andn2_b64 exec, exec, s[0:1]
	s_cbranch_execnz .LBB110_113
; %bb.114:
	s_or_b64 exec, exec, s[0:1]
.LBB110_115:
	s_or_b64 exec, exec, s[8:9]
	v_mov_b32_e32 v100, 0
	ds_read_b64 v[100:101], v100 offset:272
	s_waitcnt lgkmcnt(0)
	v_mul_f64 v[98:99], v[98:99], v[100:101]
	scratch_store_dwordx2 off, v[98:99], off offset:272
.LBB110_116:
	;; [unrolled: 53-line block ×20, first 2 shown]
	s_or_b64 exec, exec, s[4:5]
	scratch_load_dwordx2 v[98:99], off, off offset:120
	v_cmp_lt_u32_e64 s[0:1], 15, v0
	s_waitcnt vmcnt(0)
	ds_write_b64 v1, v[98:99]
	s_waitcnt lgkmcnt(0)
	; wave barrier
	s_and_saveexec_b64 s[4:5], s[0:1]
	s_cbranch_execz .LBB110_306
; %bb.297:
	s_andn2_b64 vcc, exec, s[6:7]
	s_cbranch_vccnz .LBB110_299
; %bb.298:
	scratch_load_dwordx2 v[98:99], v19, off
	ds_read_b64 v[100:101], v1
	s_waitcnt vmcnt(0) lgkmcnt(0)
	v_mul_f64 v[98:99], v[98:99], v[100:101]
	s_cbranch_execz .LBB110_300
	s_branch .LBB110_301
.LBB110_299:
                                        ; implicit-def: $vgpr98_vgpr99
.LBB110_300:
	ds_read_b64 v[98:99], v1
.LBB110_301:
	s_and_saveexec_b64 s[8:9], s[2:3]
	s_cbranch_execz .LBB110_305
; %bb.302:
	v_add_u32_e32 v100, -16, v0
	s_movk_i32 s26, 0x200
	s_mov_b64 s[2:3], 0
.LBB110_303:                            ; =>This Inner Loop Header: Depth=1
	scratch_load_dwordx2 v[102:103], off, s25
	v_mov_b32_e32 v101, s26
	ds_read_b64 v[104:105], v101
	v_add_u32_e32 v100, -1, v100
	s_add_i32 s26, s26, 8
	s_add_i32 s25, s25, 8
	v_cmp_eq_u32_e32 vcc, 0, v100
	s_or_b64 s[2:3], vcc, s[2:3]
	s_waitcnt vmcnt(0) lgkmcnt(0)
	v_fmac_f64_e32 v[98:99], v[102:103], v[104:105]
	s_andn2_b64 exec, exec, s[2:3]
	s_cbranch_execnz .LBB110_303
; %bb.304:
	s_or_b64 exec, exec, s[2:3]
.LBB110_305:
	s_or_b64 exec, exec, s[8:9]
	v_mov_b32_e32 v100, 0
	ds_read_b64 v[100:101], v100 offset:120
	s_waitcnt lgkmcnt(0)
	v_mul_f64 v[98:99], v[98:99], v[100:101]
	scratch_store_dwordx2 off, v[98:99], off offset:120
.LBB110_306:
	s_or_b64 exec, exec, s[4:5]
	scratch_load_dwordx2 v[98:99], off, off offset:112
	v_cmp_lt_u32_e64 s[2:3], 14, v0
	s_waitcnt vmcnt(0)
	ds_write_b64 v1, v[98:99]
	s_waitcnt lgkmcnt(0)
	; wave barrier
	s_and_saveexec_b64 s[4:5], s[2:3]
	s_cbranch_execz .LBB110_316
; %bb.307:
	s_andn2_b64 vcc, exec, s[6:7]
	s_cbranch_vccnz .LBB110_309
; %bb.308:
	scratch_load_dwordx2 v[98:99], v19, off
	ds_read_b64 v[100:101], v1
	s_waitcnt vmcnt(0) lgkmcnt(0)
	v_mul_f64 v[98:99], v[98:99], v[100:101]
	s_cbranch_execz .LBB110_310
	s_branch .LBB110_311
.LBB110_309:
                                        ; implicit-def: $vgpr98_vgpr99
.LBB110_310:
	ds_read_b64 v[98:99], v1
.LBB110_311:
	s_and_saveexec_b64 s[8:9], s[0:1]
	s_cbranch_execz .LBB110_315
; %bb.312:
	v_add_u32_e32 v100, -15, v0
	s_movk_i32 s25, 0x1f8
	s_mov_b64 s[0:1], 0
.LBB110_313:                            ; =>This Inner Loop Header: Depth=1
	scratch_load_dwordx2 v[102:103], off, s24
	v_mov_b32_e32 v101, s25
	ds_read_b64 v[104:105], v101
	v_add_u32_e32 v100, -1, v100
	s_add_i32 s25, s25, 8
	s_add_i32 s24, s24, 8
	v_cmp_eq_u32_e32 vcc, 0, v100
	s_or_b64 s[0:1], vcc, s[0:1]
	s_waitcnt vmcnt(0) lgkmcnt(0)
	v_fmac_f64_e32 v[98:99], v[102:103], v[104:105]
	s_andn2_b64 exec, exec, s[0:1]
	s_cbranch_execnz .LBB110_313
; %bb.314:
	s_or_b64 exec, exec, s[0:1]
.LBB110_315:
	s_or_b64 exec, exec, s[8:9]
	v_mov_b32_e32 v100, 0
	ds_read_b64 v[100:101], v100 offset:112
	s_waitcnt lgkmcnt(0)
	v_mul_f64 v[98:99], v[98:99], v[100:101]
	scratch_store_dwordx2 off, v[98:99], off offset:112
.LBB110_316:
	;; [unrolled: 53-line block ×15, first 2 shown]
	s_or_b64 exec, exec, s[4:5]
	scratch_load_dwordx2 v[98:99], off, off
	v_cmp_ne_u32_e32 vcc, 0, v0
	s_waitcnt vmcnt(0)
	ds_write_b64 v1, v[98:99]
	s_waitcnt lgkmcnt(0)
	; wave barrier
	s_and_saveexec_b64 s[2:3], vcc
	s_cbranch_execz .LBB110_456
; %bb.447:
	s_andn2_b64 vcc, exec, s[6:7]
	s_cbranch_vccnz .LBB110_449
; %bb.448:
	scratch_load_dwordx2 v[98:99], v19, off
	ds_read_b64 v[100:101], v1
	s_waitcnt vmcnt(0) lgkmcnt(0)
	v_mul_f64 v[98:99], v[98:99], v[100:101]
	s_cbranch_execz .LBB110_450
	s_branch .LBB110_451
.LBB110_449:
                                        ; implicit-def: $vgpr98_vgpr99
.LBB110_450:
	ds_read_b64 v[98:99], v1
.LBB110_451:
	s_and_saveexec_b64 s[4:5], s[0:1]
	s_cbranch_execz .LBB110_455
; %bb.452:
	v_add_u32_e32 v100, -1, v0
	s_movk_i32 s8, 0x188
	s_mov_b64 s[0:1], 0
.LBB110_453:                            ; =>This Inner Loop Header: Depth=1
	scratch_load_dwordx2 v[102:103], off, s10
	v_mov_b32_e32 v101, s8
	ds_read_b64 v[104:105], v101
	v_add_u32_e32 v100, -1, v100
	s_add_i32 s8, s8, 8
	s_add_i32 s10, s10, 8
	v_cmp_eq_u32_e32 vcc, 0, v100
	s_or_b64 s[0:1], vcc, s[0:1]
	s_waitcnt vmcnt(0) lgkmcnt(0)
	v_fmac_f64_e32 v[98:99], v[102:103], v[104:105]
	s_andn2_b64 exec, exec, s[0:1]
	s_cbranch_execnz .LBB110_453
; %bb.454:
	s_or_b64 exec, exec, s[0:1]
.LBB110_455:
	s_or_b64 exec, exec, s[4:5]
	v_mov_b32_e32 v100, 0
	ds_read_b64 v[100:101], v100
	s_waitcnt lgkmcnt(0)
	v_mul_f64 v[98:99], v[98:99], v[100:101]
	scratch_store_dwordx2 off, v[98:99], off
.LBB110_456:
	s_or_b64 exec, exec, s[2:3]
	s_mov_b64 s[0:1], 0
.LBB110_457:
	s_and_b64 vcc, exec, s[0:1]
	s_cbranch_vccz .LBB110_909
; %bb.458:
	scratch_load_dwordx2 v[98:99], off, off offset:8
	v_cmp_eq_u32_e64 s[2:3], 0, v0
	s_waitcnt vmcnt(0)
	ds_write_b64 v1, v[98:99]
	s_waitcnt lgkmcnt(0)
	; wave barrier
	s_and_saveexec_b64 s[0:1], s[2:3]
	s_cbranch_execz .LBB110_464
; %bb.459:
	s_and_b64 vcc, exec, s[6:7]
	s_cbranch_vccz .LBB110_461
; %bb.460:
	scratch_load_dwordx2 v[98:99], v19, off
	ds_read_b64 v[100:101], v1
	s_waitcnt vmcnt(0) lgkmcnt(0)
	v_mul_f64 v[98:99], v[98:99], v[100:101]
	s_cbranch_execz .LBB110_462
	s_branch .LBB110_463
.LBB110_461:
                                        ; implicit-def: $vgpr98_vgpr99
.LBB110_462:
	ds_read_b64 v[98:99], v1
.LBB110_463:
	v_mov_b32_e32 v100, 0
	ds_read_b64 v[100:101], v100 offset:8
	s_waitcnt lgkmcnt(0)
	v_mul_f64 v[98:99], v[98:99], v[100:101]
	scratch_store_dwordx2 off, v[98:99], off offset:8
.LBB110_464:
	s_or_b64 exec, exec, s[0:1]
	scratch_load_dwordx2 v[98:99], off, off offset:16
	v_cndmask_b32_e64 v100, 0, 1, s[6:7]
	v_cmp_gt_u32_e32 vcc, 2, v0
	v_cmp_ne_u32_e64 s[0:1], 1, v100
	s_waitcnt vmcnt(0)
	ds_write_b64 v1, v[98:99]
	s_waitcnt lgkmcnt(0)
	; wave barrier
	s_and_saveexec_b64 s[4:5], vcc
	s_cbranch_execz .LBB110_470
; %bb.465:
	s_and_b64 vcc, exec, s[0:1]
	s_cbranch_vccnz .LBB110_467
; %bb.466:
	scratch_load_dwordx2 v[98:99], v19, off
	ds_read_b64 v[100:101], v1
	s_waitcnt vmcnt(0) lgkmcnt(0)
	v_mul_f64 v[98:99], v[98:99], v[100:101]
	s_cbranch_execz .LBB110_468
	s_branch .LBB110_469
.LBB110_467:
                                        ; implicit-def: $vgpr98_vgpr99
.LBB110_468:
	ds_read_b64 v[98:99], v1
.LBB110_469:
	scratch_load_dwordx2 v[104:105], off, off offset:8
	v_mov_b32_e32 v100, 0
	ds_read2_b64 v[100:103], v100 offset0:2 offset1:49
	s_waitcnt vmcnt(0) lgkmcnt(0)
	v_fma_f64 v[102:103], v[104:105], v[102:103], v[98:99]
	v_cndmask_b32_e64 v99, v99, v103, s[2:3]
	v_cndmask_b32_e64 v98, v98, v102, s[2:3]
	v_mul_f64 v[98:99], v[98:99], v[100:101]
	scratch_store_dwordx2 off, v[98:99], off offset:16
.LBB110_470:
	s_or_b64 exec, exec, s[4:5]
	scratch_load_dwordx2 v[98:99], off, off offset:24
	v_cmp_gt_u32_e32 vcc, 3, v0
	s_waitcnt vmcnt(0)
	ds_write_b64 v1, v[98:99]
	s_waitcnt lgkmcnt(0)
	; wave barrier
	s_and_saveexec_b64 s[4:5], vcc
	s_cbranch_execz .LBB110_478
; %bb.471:
	s_and_b64 vcc, exec, s[0:1]
	s_cbranch_vccnz .LBB110_473
; %bb.472:
	scratch_load_dwordx2 v[98:99], v19, off
	ds_read_b64 v[100:101], v1
	s_waitcnt vmcnt(0) lgkmcnt(0)
	v_mul_f64 v[98:99], v[98:99], v[100:101]
	s_cbranch_execz .LBB110_474
	s_branch .LBB110_475
.LBB110_473:
                                        ; implicit-def: $vgpr98_vgpr99
.LBB110_474:
	ds_read_b64 v[98:99], v1
.LBB110_475:
	v_cmp_ne_u32_e32 vcc, 2, v0
	s_and_saveexec_b64 s[6:7], vcc
	s_cbranch_execz .LBB110_477
; %bb.476:
	scratch_load_dwordx2 v[100:101], v19, off offset:8
	scratch_load_dwordx2 v[102:103], off, off offset:16
	ds_read_b64 v[104:105], v1 offset:8
	v_mov_b32_e32 v106, 0
	ds_read_b64 v[106:107], v106 offset:400
	s_waitcnt vmcnt(1) lgkmcnt(1)
	v_fmac_f64_e32 v[98:99], v[100:101], v[104:105]
	s_waitcnt vmcnt(0) lgkmcnt(0)
	v_fma_f64 v[100:101], v[102:103], v[106:107], v[98:99]
	v_cndmask_b32_e64 v99, v99, v101, s[2:3]
	v_cndmask_b32_e64 v98, v98, v100, s[2:3]
.LBB110_477:
	s_or_b64 exec, exec, s[6:7]
	v_mov_b32_e32 v100, 0
	ds_read_b64 v[100:101], v100 offset:24
	s_waitcnt lgkmcnt(0)
	v_mul_f64 v[98:99], v[98:99], v[100:101]
	scratch_store_dwordx2 off, v[98:99], off offset:24
.LBB110_478:
	s_or_b64 exec, exec, s[4:5]
	scratch_load_dwordx2 v[98:99], off, off offset:32
	v_cmp_gt_u32_e32 vcc, 4, v0
	s_waitcnt vmcnt(0)
	ds_write_b64 v1, v[98:99]
	s_waitcnt lgkmcnt(0)
	; wave barrier
	s_and_saveexec_b64 s[2:3], vcc
	s_cbranch_execz .LBB110_488
; %bb.479:
	s_and_b64 vcc, exec, s[0:1]
	s_cbranch_vccnz .LBB110_481
; %bb.480:
	scratch_load_dwordx2 v[98:99], v19, off
	ds_read_b64 v[100:101], v1
	s_waitcnt vmcnt(0) lgkmcnt(0)
	v_mul_f64 v[98:99], v[98:99], v[100:101]
	s_cbranch_execz .LBB110_482
	s_branch .LBB110_483
.LBB110_481:
                                        ; implicit-def: $vgpr98_vgpr99
.LBB110_482:
	ds_read_b64 v[98:99], v1
.LBB110_483:
	v_cmp_ne_u32_e32 vcc, 3, v0
	s_and_saveexec_b64 s[4:5], vcc
	s_cbranch_execz .LBB110_487
; %bb.484:
	s_mov_b32 s6, 0
	v_add_u32_e32 v100, 0x188, v18
	v_add3_u32 v101, v18, s6, 8
	s_mov_b64 s[6:7], 0
	v_mov_b32_e32 v102, v0
.LBB110_485:                            ; =>This Inner Loop Header: Depth=1
	scratch_load_dwordx2 v[104:105], v101, off
	ds_read_b64 v[106:107], v100
	v_add_u32_e32 v102, 1, v102
	v_cmp_lt_u32_e32 vcc, 2, v102
	v_add_u32_e32 v100, 8, v100
	v_add_u32_e32 v101, 8, v101
	s_or_b64 s[6:7], vcc, s[6:7]
	s_waitcnt vmcnt(0) lgkmcnt(0)
	v_fmac_f64_e32 v[98:99], v[104:105], v[106:107]
	s_andn2_b64 exec, exec, s[6:7]
	s_cbranch_execnz .LBB110_485
; %bb.486:
	s_or_b64 exec, exec, s[6:7]
.LBB110_487:
	s_or_b64 exec, exec, s[4:5]
	v_mov_b32_e32 v100, 0
	ds_read_b64 v[100:101], v100 offset:32
	s_waitcnt lgkmcnt(0)
	v_mul_f64 v[98:99], v[98:99], v[100:101]
	scratch_store_dwordx2 off, v[98:99], off offset:32
.LBB110_488:
	s_or_b64 exec, exec, s[2:3]
	scratch_load_dwordx2 v[98:99], off, off offset:40
	v_cmp_gt_u32_e32 vcc, 5, v0
	s_waitcnt vmcnt(0)
	ds_write_b64 v1, v[98:99]
	s_waitcnt lgkmcnt(0)
	; wave barrier
	s_and_saveexec_b64 s[2:3], vcc
	s_cbranch_execz .LBB110_498
; %bb.489:
	s_and_b64 vcc, exec, s[0:1]
	s_cbranch_vccnz .LBB110_491
; %bb.490:
	scratch_load_dwordx2 v[98:99], v19, off
	ds_read_b64 v[100:101], v1
	s_waitcnt vmcnt(0) lgkmcnt(0)
	v_mul_f64 v[98:99], v[98:99], v[100:101]
	s_cbranch_execz .LBB110_492
	s_branch .LBB110_493
.LBB110_491:
                                        ; implicit-def: $vgpr98_vgpr99
.LBB110_492:
	ds_read_b64 v[98:99], v1
.LBB110_493:
	v_cmp_ne_u32_e32 vcc, 4, v0
	s_and_saveexec_b64 s[4:5], vcc
	s_cbranch_execz .LBB110_497
; %bb.494:
	s_mov_b32 s6, 0
	v_add_u32_e32 v100, 0x188, v18
	v_add3_u32 v101, v18, s6, 8
	s_mov_b64 s[6:7], 0
	v_mov_b32_e32 v102, v0
.LBB110_495:                            ; =>This Inner Loop Header: Depth=1
	scratch_load_dwordx2 v[104:105], v101, off
	ds_read_b64 v[106:107], v100
	v_add_u32_e32 v102, 1, v102
	v_cmp_lt_u32_e32 vcc, 3, v102
	v_add_u32_e32 v100, 8, v100
	v_add_u32_e32 v101, 8, v101
	s_or_b64 s[6:7], vcc, s[6:7]
	s_waitcnt vmcnt(0) lgkmcnt(0)
	v_fmac_f64_e32 v[98:99], v[104:105], v[106:107]
	s_andn2_b64 exec, exec, s[6:7]
	s_cbranch_execnz .LBB110_495
; %bb.496:
	s_or_b64 exec, exec, s[6:7]
.LBB110_497:
	s_or_b64 exec, exec, s[4:5]
	v_mov_b32_e32 v100, 0
	ds_read_b64 v[100:101], v100 offset:40
	s_waitcnt lgkmcnt(0)
	v_mul_f64 v[98:99], v[98:99], v[100:101]
	scratch_store_dwordx2 off, v[98:99], off offset:40
.LBB110_498:
	;; [unrolled: 55-line block ×41, first 2 shown]
	s_or_b64 exec, exec, s[2:3]
	scratch_load_dwordx2 v[98:99], off, off offset:360
	v_cmp_gt_u32_e64 s[2:3], 45, v0
	s_waitcnt vmcnt(0)
	ds_write_b64 v1, v[98:99]
	s_waitcnt lgkmcnt(0)
	; wave barrier
	s_and_saveexec_b64 s[4:5], s[2:3]
	s_cbranch_execz .LBB110_898
; %bb.889:
	s_and_b64 vcc, exec, s[0:1]
	s_cbranch_vccnz .LBB110_891
; %bb.890:
	scratch_load_dwordx2 v[98:99], v19, off
	ds_read_b64 v[100:101], v1
	s_waitcnt vmcnt(0) lgkmcnt(0)
	v_mul_f64 v[98:99], v[98:99], v[100:101]
	s_cbranch_execz .LBB110_892
	s_branch .LBB110_893
.LBB110_891:
                                        ; implicit-def: $vgpr98_vgpr99
.LBB110_892:
	ds_read_b64 v[98:99], v1
.LBB110_893:
	v_cmp_ne_u32_e32 vcc, 44, v0
	s_and_saveexec_b64 s[6:7], vcc
	s_cbranch_execz .LBB110_897
; %bb.894:
	s_mov_b32 s8, 0
	v_add_u32_e32 v100, 0x188, v18
	v_add3_u32 v101, v18, s8, 8
	s_mov_b64 s[8:9], 0
	v_mov_b32_e32 v102, v0
.LBB110_895:                            ; =>This Inner Loop Header: Depth=1
	scratch_load_dwordx2 v[104:105], v101, off
	ds_read_b64 v[106:107], v100
	v_add_u32_e32 v102, 1, v102
	v_cmp_lt_u32_e32 vcc, 43, v102
	v_add_u32_e32 v100, 8, v100
	v_add_u32_e32 v101, 8, v101
	s_or_b64 s[8:9], vcc, s[8:9]
	s_waitcnt vmcnt(0) lgkmcnt(0)
	v_fmac_f64_e32 v[98:99], v[104:105], v[106:107]
	s_andn2_b64 exec, exec, s[8:9]
	s_cbranch_execnz .LBB110_895
; %bb.896:
	s_or_b64 exec, exec, s[8:9]
.LBB110_897:
	s_or_b64 exec, exec, s[6:7]
	v_mov_b32_e32 v100, 0
	ds_read_b64 v[100:101], v100 offset:360
	s_waitcnt lgkmcnt(0)
	v_mul_f64 v[98:99], v[98:99], v[100:101]
	scratch_store_dwordx2 off, v[98:99], off offset:360
.LBB110_898:
	s_or_b64 exec, exec, s[4:5]
	scratch_load_dwordx2 v[98:99], off, off offset:368
	v_cmp_ne_u32_e32 vcc, 46, v0
	s_waitcnt vmcnt(0)
	ds_write_b64 v1, v[98:99]
	s_waitcnt lgkmcnt(0)
	; wave barrier
	s_and_saveexec_b64 s[4:5], vcc
	s_cbranch_execz .LBB110_908
; %bb.899:
	s_and_b64 vcc, exec, s[0:1]
	s_cbranch_vccnz .LBB110_901
; %bb.900:
	scratch_load_dwordx2 v[98:99], v19, off
	ds_read_b64 v[100:101], v1
	s_waitcnt vmcnt(0) lgkmcnt(0)
	v_mul_f64 v[98:99], v[98:99], v[100:101]
	s_cbranch_execz .LBB110_902
	s_branch .LBB110_903
.LBB110_901:
                                        ; implicit-def: $vgpr98_vgpr99
.LBB110_902:
	ds_read_b64 v[98:99], v1
.LBB110_903:
	s_and_saveexec_b64 s[0:1], s[2:3]
	s_cbranch_execz .LBB110_907
; %bb.904:
	s_mov_b32 s2, 0
	v_add_u32_e32 v1, 0x188, v18
	v_add3_u32 v18, v18, s2, 8
	s_mov_b64 s[2:3], 0
.LBB110_905:                            ; =>This Inner Loop Header: Depth=1
	scratch_load_dwordx2 v[100:101], v18, off
	ds_read_b64 v[102:103], v1
	v_add_u32_e32 v0, 1, v0
	v_cmp_lt_u32_e32 vcc, 44, v0
	v_add_u32_e32 v1, 8, v1
	v_add_u32_e32 v18, 8, v18
	s_or_b64 s[2:3], vcc, s[2:3]
	s_waitcnt vmcnt(0) lgkmcnt(0)
	v_fmac_f64_e32 v[98:99], v[100:101], v[102:103]
	s_andn2_b64 exec, exec, s[2:3]
	s_cbranch_execnz .LBB110_905
; %bb.906:
	s_or_b64 exec, exec, s[2:3]
.LBB110_907:
	s_or_b64 exec, exec, s[0:1]
	v_mov_b32_e32 v0, 0
	ds_read_b64 v[0:1], v0 offset:368
	s_waitcnt lgkmcnt(0)
	v_mul_f64 v[0:1], v[98:99], v[0:1]
	scratch_store_dwordx2 off, v[0:1], off offset:368
.LBB110_908:
	s_or_b64 exec, exec, s[4:5]
.LBB110_909:
	scratch_load_dwordx2 v[0:1], off, off
	s_waitcnt vmcnt(0)
	flat_store_dwordx2 v[2:3], v[0:1]
	scratch_load_dwordx2 v[0:1], off, off offset:8
	s_waitcnt vmcnt(0)
	flat_store_dwordx2 v[4:5], v[0:1]
	scratch_load_dwordx2 v[0:1], off, off offset:16
	s_waitcnt vmcnt(0)
	flat_store_dwordx2 v[6:7], v[0:1]
	scratch_load_dwordx2 v[0:1], off, off offset:24
	s_waitcnt vmcnt(0)
	flat_store_dwordx2 v[8:9], v[0:1]
	scratch_load_dwordx2 v[0:1], off, off offset:32
	s_waitcnt vmcnt(0)
	flat_store_dwordx2 v[10:11], v[0:1]
	scratch_load_dwordx2 v[0:1], off, off offset:40
	s_waitcnt vmcnt(0)
	flat_store_dwordx2 v[12:13], v[0:1]
	scratch_load_dwordx2 v[0:1], off, off offset:48
	s_waitcnt vmcnt(0)
	flat_store_dwordx2 v[14:15], v[0:1]
	scratch_load_dwordx2 v[0:1], off, off offset:56
	s_waitcnt vmcnt(0)
	flat_store_dwordx2 v[16:17], v[0:1]
	scratch_load_dwordx2 v[0:1], off, off offset:64
	s_waitcnt vmcnt(0)
	flat_store_dwordx2 v[20:21], v[0:1]
	scratch_load_dwordx2 v[0:1], off, off offset:72
	s_waitcnt vmcnt(0)
	flat_store_dwordx2 v[22:23], v[0:1]
	scratch_load_dwordx2 v[0:1], off, off offset:80
	s_waitcnt vmcnt(0)
	flat_store_dwordx2 v[24:25], v[0:1]
	scratch_load_dwordx2 v[0:1], off, off offset:88
	s_waitcnt vmcnt(0)
	flat_store_dwordx2 v[26:27], v[0:1]
	scratch_load_dwordx2 v[0:1], off, off offset:96
	s_waitcnt vmcnt(0)
	flat_store_dwordx2 v[28:29], v[0:1]
	scratch_load_dwordx2 v[0:1], off, off offset:104
	s_waitcnt vmcnt(0)
	flat_store_dwordx2 v[30:31], v[0:1]
	scratch_load_dwordx2 v[0:1], off, off offset:112
	s_waitcnt vmcnt(0)
	flat_store_dwordx2 v[32:33], v[0:1]
	scratch_load_dwordx2 v[0:1], off, off offset:120
	s_waitcnt vmcnt(0)
	flat_store_dwordx2 v[34:35], v[0:1]
	scratch_load_dwordx2 v[0:1], off, off offset:128
	s_waitcnt vmcnt(0)
	flat_store_dwordx2 v[36:37], v[0:1]
	scratch_load_dwordx2 v[0:1], off, off offset:136
	s_waitcnt vmcnt(0)
	flat_store_dwordx2 v[38:39], v[0:1]
	scratch_load_dwordx2 v[0:1], off, off offset:144
	s_waitcnt vmcnt(0)
	flat_store_dwordx2 v[40:41], v[0:1]
	scratch_load_dwordx2 v[0:1], off, off offset:152
	s_waitcnt vmcnt(0)
	flat_store_dwordx2 v[42:43], v[0:1]
	scratch_load_dwordx2 v[0:1], off, off offset:160
	s_waitcnt vmcnt(0)
	flat_store_dwordx2 v[44:45], v[0:1]
	scratch_load_dwordx2 v[0:1], off, off offset:168
	s_waitcnt vmcnt(0)
	flat_store_dwordx2 v[46:47], v[0:1]
	scratch_load_dwordx2 v[0:1], off, off offset:176
	s_waitcnt vmcnt(0)
	flat_store_dwordx2 v[48:49], v[0:1]
	scratch_load_dwordx2 v[0:1], off, off offset:184
	s_waitcnt vmcnt(0)
	flat_store_dwordx2 v[50:51], v[0:1]
	scratch_load_dwordx2 v[0:1], off, off offset:192
	s_waitcnt vmcnt(0)
	flat_store_dwordx2 v[52:53], v[0:1]
	scratch_load_dwordx2 v[0:1], off, off offset:200
	s_waitcnt vmcnt(0)
	flat_store_dwordx2 v[54:55], v[0:1]
	scratch_load_dwordx2 v[0:1], off, off offset:208
	s_waitcnt vmcnt(0)
	flat_store_dwordx2 v[56:57], v[0:1]
	scratch_load_dwordx2 v[0:1], off, off offset:216
	s_waitcnt vmcnt(0)
	flat_store_dwordx2 v[58:59], v[0:1]
	scratch_load_dwordx2 v[0:1], off, off offset:224
	s_waitcnt vmcnt(0)
	flat_store_dwordx2 v[60:61], v[0:1]
	scratch_load_dwordx2 v[0:1], off, off offset:232
	s_waitcnt vmcnt(0)
	flat_store_dwordx2 v[62:63], v[0:1]
	scratch_load_dwordx2 v[0:1], off, off offset:240
	s_waitcnt vmcnt(0)
	flat_store_dwordx2 v[64:65], v[0:1]
	scratch_load_dwordx2 v[0:1], off, off offset:248
	s_waitcnt vmcnt(0)
	flat_store_dwordx2 v[66:67], v[0:1]
	scratch_load_dwordx2 v[0:1], off, off offset:256
	s_waitcnt vmcnt(0)
	flat_store_dwordx2 v[68:69], v[0:1]
	scratch_load_dwordx2 v[0:1], off, off offset:264
	s_waitcnt vmcnt(0)
	flat_store_dwordx2 v[70:71], v[0:1]
	scratch_load_dwordx2 v[0:1], off, off offset:272
	s_waitcnt vmcnt(0)
	flat_store_dwordx2 v[72:73], v[0:1]
	scratch_load_dwordx2 v[0:1], off, off offset:280
	s_waitcnt vmcnt(0)
	flat_store_dwordx2 v[74:75], v[0:1]
	scratch_load_dwordx2 v[0:1], off, off offset:288
	s_waitcnt vmcnt(0)
	flat_store_dwordx2 v[76:77], v[0:1]
	scratch_load_dwordx2 v[0:1], off, off offset:296
	s_waitcnt vmcnt(0)
	flat_store_dwordx2 v[78:79], v[0:1]
	scratch_load_dwordx2 v[0:1], off, off offset:304
	s_waitcnt vmcnt(0)
	flat_store_dwordx2 v[80:81], v[0:1]
	scratch_load_dwordx2 v[0:1], off, off offset:312
	s_waitcnt vmcnt(0)
	flat_store_dwordx2 v[82:83], v[0:1]
	scratch_load_dwordx2 v[0:1], off, off offset:320
	s_waitcnt vmcnt(0)
	flat_store_dwordx2 v[84:85], v[0:1]
	scratch_load_dwordx2 v[0:1], off, off offset:328
	s_waitcnt vmcnt(0)
	flat_store_dwordx2 v[86:87], v[0:1]
	scratch_load_dwordx2 v[0:1], off, off offset:336
	s_waitcnt vmcnt(0)
	flat_store_dwordx2 v[88:89], v[0:1]
	scratch_load_dwordx2 v[0:1], off, off offset:344
	s_waitcnt vmcnt(0)
	flat_store_dwordx2 v[90:91], v[0:1]
	scratch_load_dwordx2 v[0:1], off, off offset:352
	s_waitcnt vmcnt(0)
	flat_store_dwordx2 v[92:93], v[0:1]
	scratch_load_dwordx2 v[0:1], off, off offset:360
	s_waitcnt vmcnt(0)
	flat_store_dwordx2 v[94:95], v[0:1]
	scratch_load_dwordx2 v[0:1], off, off offset:368
	s_waitcnt vmcnt(0)
	flat_store_dwordx2 v[96:97], v[0:1]
.LBB110_910:
	s_endpgm
	.section	.rodata,"a",@progbits
	.p2align	6, 0x0
	.amdhsa_kernel _ZN9rocsolver6v33100L18trti2_kernel_smallILi47EdPKPdEEv13rocblas_fill_17rocblas_diagonal_T1_iil
		.amdhsa_group_segment_fixed_size 760
		.amdhsa_private_segment_fixed_size 384
		.amdhsa_kernarg_size 32
		.amdhsa_user_sgpr_count 2
		.amdhsa_user_sgpr_dispatch_ptr 0
		.amdhsa_user_sgpr_queue_ptr 0
		.amdhsa_user_sgpr_kernarg_segment_ptr 1
		.amdhsa_user_sgpr_dispatch_id 0
		.amdhsa_user_sgpr_kernarg_preload_length 0
		.amdhsa_user_sgpr_kernarg_preload_offset 0
		.amdhsa_user_sgpr_private_segment_size 0
		.amdhsa_uses_dynamic_stack 0
		.amdhsa_enable_private_segment 1
		.amdhsa_system_sgpr_workgroup_id_x 1
		.amdhsa_system_sgpr_workgroup_id_y 0
		.amdhsa_system_sgpr_workgroup_id_z 0
		.amdhsa_system_sgpr_workgroup_info 0
		.amdhsa_system_vgpr_workitem_id 0
		.amdhsa_next_free_vgpr 108
		.amdhsa_next_free_sgpr 56
		.amdhsa_accum_offset 108
		.amdhsa_reserve_vcc 1
		.amdhsa_float_round_mode_32 0
		.amdhsa_float_round_mode_16_64 0
		.amdhsa_float_denorm_mode_32 3
		.amdhsa_float_denorm_mode_16_64 3
		.amdhsa_dx10_clamp 1
		.amdhsa_ieee_mode 1
		.amdhsa_fp16_overflow 0
		.amdhsa_tg_split 0
		.amdhsa_exception_fp_ieee_invalid_op 0
		.amdhsa_exception_fp_denorm_src 0
		.amdhsa_exception_fp_ieee_div_zero 0
		.amdhsa_exception_fp_ieee_overflow 0
		.amdhsa_exception_fp_ieee_underflow 0
		.amdhsa_exception_fp_ieee_inexact 0
		.amdhsa_exception_int_div_zero 0
	.end_amdhsa_kernel
	.section	.text._ZN9rocsolver6v33100L18trti2_kernel_smallILi47EdPKPdEEv13rocblas_fill_17rocblas_diagonal_T1_iil,"axG",@progbits,_ZN9rocsolver6v33100L18trti2_kernel_smallILi47EdPKPdEEv13rocblas_fill_17rocblas_diagonal_T1_iil,comdat
.Lfunc_end110:
	.size	_ZN9rocsolver6v33100L18trti2_kernel_smallILi47EdPKPdEEv13rocblas_fill_17rocblas_diagonal_T1_iil, .Lfunc_end110-_ZN9rocsolver6v33100L18trti2_kernel_smallILi47EdPKPdEEv13rocblas_fill_17rocblas_diagonal_T1_iil
                                        ; -- End function
	.set _ZN9rocsolver6v33100L18trti2_kernel_smallILi47EdPKPdEEv13rocblas_fill_17rocblas_diagonal_T1_iil.num_vgpr, 108
	.set _ZN9rocsolver6v33100L18trti2_kernel_smallILi47EdPKPdEEv13rocblas_fill_17rocblas_diagonal_T1_iil.num_agpr, 0
	.set _ZN9rocsolver6v33100L18trti2_kernel_smallILi47EdPKPdEEv13rocblas_fill_17rocblas_diagonal_T1_iil.numbered_sgpr, 56
	.set _ZN9rocsolver6v33100L18trti2_kernel_smallILi47EdPKPdEEv13rocblas_fill_17rocblas_diagonal_T1_iil.num_named_barrier, 0
	.set _ZN9rocsolver6v33100L18trti2_kernel_smallILi47EdPKPdEEv13rocblas_fill_17rocblas_diagonal_T1_iil.private_seg_size, 384
	.set _ZN9rocsolver6v33100L18trti2_kernel_smallILi47EdPKPdEEv13rocblas_fill_17rocblas_diagonal_T1_iil.uses_vcc, 1
	.set _ZN9rocsolver6v33100L18trti2_kernel_smallILi47EdPKPdEEv13rocblas_fill_17rocblas_diagonal_T1_iil.uses_flat_scratch, 0
	.set _ZN9rocsolver6v33100L18trti2_kernel_smallILi47EdPKPdEEv13rocblas_fill_17rocblas_diagonal_T1_iil.has_dyn_sized_stack, 0
	.set _ZN9rocsolver6v33100L18trti2_kernel_smallILi47EdPKPdEEv13rocblas_fill_17rocblas_diagonal_T1_iil.has_recursion, 0
	.set _ZN9rocsolver6v33100L18trti2_kernel_smallILi47EdPKPdEEv13rocblas_fill_17rocblas_diagonal_T1_iil.has_indirect_call, 0
	.section	.AMDGPU.csdata,"",@progbits
; Kernel info:
; codeLenInByte = 22824
; TotalNumSgprs: 62
; NumVgprs: 108
; NumAgprs: 0
; TotalNumVgprs: 108
; ScratchSize: 384
; MemoryBound: 0
; FloatMode: 240
; IeeeMode: 1
; LDSByteSize: 760 bytes/workgroup (compile time only)
; SGPRBlocks: 7
; VGPRBlocks: 13
; NumSGPRsForWavesPerEU: 62
; NumVGPRsForWavesPerEU: 108
; AccumOffset: 108
; Occupancy: 4
; WaveLimiterHint : 1
; COMPUTE_PGM_RSRC2:SCRATCH_EN: 1
; COMPUTE_PGM_RSRC2:USER_SGPR: 2
; COMPUTE_PGM_RSRC2:TRAP_HANDLER: 0
; COMPUTE_PGM_RSRC2:TGID_X_EN: 1
; COMPUTE_PGM_RSRC2:TGID_Y_EN: 0
; COMPUTE_PGM_RSRC2:TGID_Z_EN: 0
; COMPUTE_PGM_RSRC2:TIDIG_COMP_CNT: 0
; COMPUTE_PGM_RSRC3_GFX90A:ACCUM_OFFSET: 26
; COMPUTE_PGM_RSRC3_GFX90A:TG_SPLIT: 0
	.section	.text._ZN9rocsolver6v33100L18trti2_kernel_smallILi48EdPKPdEEv13rocblas_fill_17rocblas_diagonal_T1_iil,"axG",@progbits,_ZN9rocsolver6v33100L18trti2_kernel_smallILi48EdPKPdEEv13rocblas_fill_17rocblas_diagonal_T1_iil,comdat
	.globl	_ZN9rocsolver6v33100L18trti2_kernel_smallILi48EdPKPdEEv13rocblas_fill_17rocblas_diagonal_T1_iil ; -- Begin function _ZN9rocsolver6v33100L18trti2_kernel_smallILi48EdPKPdEEv13rocblas_fill_17rocblas_diagonal_T1_iil
	.p2align	8
	.type	_ZN9rocsolver6v33100L18trti2_kernel_smallILi48EdPKPdEEv13rocblas_fill_17rocblas_diagonal_T1_iil,@function
_ZN9rocsolver6v33100L18trti2_kernel_smallILi48EdPKPdEEv13rocblas_fill_17rocblas_diagonal_T1_iil: ; @_ZN9rocsolver6v33100L18trti2_kernel_smallILi48EdPKPdEEv13rocblas_fill_17rocblas_diagonal_T1_iil
; %bb.0:
	v_cmp_gt_u32_e32 vcc, 48, v0
	s_and_saveexec_b64 s[4:5], vcc
	s_cbranch_execz .LBB111_930
; %bb.1:
	s_load_dwordx2 s[8:9], s[0:1], 0x10
	s_load_dwordx4 s[4:7], s[0:1], 0x0
	s_ashr_i32 s3, s2, 31
	s_lshl_b64 s[0:1], s[2:3], 3
	v_lshlrev_b32_e32 v18, 3, v0
	s_waitcnt lgkmcnt(0)
	s_ashr_i32 s3, s8, 31
	s_add_u32 s0, s6, s0
	s_addc_u32 s1, s7, s1
	s_load_dwordx2 s[0:1], s[0:1], 0x0
	s_mov_b32 s2, s8
	s_lshl_b64 s[2:3], s[2:3], 3
	v_mov_b32_e32 v19, 0
	s_waitcnt lgkmcnt(0)
	s_add_u32 s0, s0, s2
	s_addc_u32 s1, s1, s3
	v_lshl_add_u64 v[2:3], s[0:1], 0, v[18:19]
	flat_load_dwordx2 v[6:7], v[2:3]
	s_mov_b32 s2, s9
	s_ashr_i32 s3, s9, 31
	v_lshl_add_u64 v[4:5], s[2:3], 3, v[2:3]
	s_add_i32 s2, s9, s9
	v_add_u32_e32 v10, s2, v0
	v_ashrrev_i32_e32 v11, 31, v10
	s_cmpk_lg_i32 s5, 0x84
	s_cselect_b64 s[6:7], -1, 0
	s_cmpk_eq_i32 s5, 0x84
	s_waitcnt vmcnt(0) lgkmcnt(0)
	scratch_store_dwordx2 off, v[6:7], off
	flat_load_dwordx2 v[8:9], v[4:5]
	v_lshl_add_u64 v[6:7], v[10:11], 3, s[0:1]
	v_add_u32_e32 v10, s9, v10
	v_ashrrev_i32_e32 v11, 31, v10
	v_add_u32_e32 v14, s9, v10
	v_ashrrev_i32_e32 v15, 31, v14
	s_waitcnt vmcnt(0) lgkmcnt(0)
	scratch_store_dwordx2 off, v[8:9], off offset:8
	flat_load_dwordx2 v[12:13], v[6:7]
	v_lshl_add_u64 v[8:9], v[10:11], 3, s[0:1]
	v_lshl_add_u64 v[10:11], v[14:15], 3, s[0:1]
	v_add_u32_e32 v14, s9, v14
	v_ashrrev_i32_e32 v15, 31, v14
	v_add_u32_e32 v20, s9, v14
	v_ashrrev_i32_e32 v21, 31, v20
	s_waitcnt vmcnt(0) lgkmcnt(0)
	scratch_store_dwordx2 off, v[12:13], off offset:16
	flat_load_dwordx2 v[12:13], v[8:9]
	s_waitcnt vmcnt(0) lgkmcnt(0)
	scratch_store_dwordx2 off, v[12:13], off offset:24
	flat_load_dwordx2 v[16:17], v[10:11]
	v_lshl_add_u64 v[12:13], v[14:15], 3, s[0:1]
	v_lshl_add_u64 v[14:15], v[20:21], 3, s[0:1]
	v_add_u32_e32 v20, s9, v20
	v_ashrrev_i32_e32 v21, 31, v20
	v_add_u32_e32 v24, s9, v20
	v_ashrrev_i32_e32 v25, 31, v24
	s_waitcnt vmcnt(0) lgkmcnt(0)
	scratch_store_dwordx2 off, v[16:17], off offset:32
	flat_load_dwordx2 v[16:17], v[12:13]
	;; [unrolled: 12-line block ×21, first 2 shown]
	s_waitcnt vmcnt(0) lgkmcnt(0)
	scratch_store_dwordx2 off, v[94:95], off offset:344
	flat_load_dwordx2 v[98:99], v[92:93]
	v_lshl_add_u64 v[94:95], v[96:97], 3, s[0:1]
	v_lshl_add_u64 v[96:97], v[100:101], 3, s[0:1]
	s_waitcnt vmcnt(0) lgkmcnt(0)
	scratch_store_dwordx2 off, v[98:99], off offset:352
	flat_load_dwordx2 v[98:99], v[94:95]
	s_waitcnt vmcnt(0) lgkmcnt(0)
	scratch_store_dwordx2 off, v[98:99], off offset:360
	flat_load_dwordx2 v[102:103], v[96:97]
	v_add_u32_e32 v98, s9, v100
	v_ashrrev_i32_e32 v99, 31, v98
	v_lshl_add_u64 v[98:99], v[98:99], 3, s[0:1]
	s_waitcnt vmcnt(0) lgkmcnt(0)
	scratch_store_dwordx2 off, v[102:103], off offset:368
	flat_load_dwordx2 v[100:101], v[98:99]
	s_waitcnt vmcnt(0) lgkmcnt(0)
	scratch_store_dwordx2 off, v[100:101], off offset:376
	v_mov_b64_e32 v[100:101], -1.0
	s_cbranch_scc1 .LBB111_3
; %bb.2:
	scratch_load_dwordx2 v[100:101], v18, off
	s_waitcnt vmcnt(0)
	v_div_scale_f64 v[102:103], s[0:1], v[100:101], v[100:101], 1.0
	v_rcp_f64_e32 v[104:105], v[102:103]
	v_div_scale_f64 v[106:107], vcc, 1.0, v[100:101], 1.0
	v_fma_f64 v[108:109], -v[102:103], v[104:105], 1.0
	v_fmac_f64_e32 v[104:105], v[104:105], v[108:109]
	v_fma_f64 v[108:109], -v[102:103], v[104:105], 1.0
	v_fmac_f64_e32 v[104:105], v[104:105], v[108:109]
	v_mul_f64 v[108:109], v[106:107], v[104:105]
	v_fma_f64 v[102:103], -v[102:103], v[108:109], v[106:107]
	v_div_fmas_f64 v[102:103], v[102:103], v[104:105], v[108:109]
	v_div_fixup_f64 v[100:101], v[102:103], v[100:101], 1.0
	scratch_store_dwordx2 v18, v[100:101], off
	v_xor_b32_e32 v101, 0x80000000, v101
.LBB111_3:
	s_cmpk_eq_i32 s4, 0x79
	v_add_u32_e32 v1, 0x180, v18
	v_mov_b32_e32 v19, v18
	s_mov_b64 s[0:1], -1
	ds_write_b64 v18, v[100:101]
	s_cbranch_scc1 .LBB111_467
; %bb.4:
	scratch_load_dwordx2 v[100:101], off, off offset:368
	s_movk_i32 s8, 0x48
	s_movk_i32 s9, 0x50
	;; [unrolled: 1-line block ×37, first 2 shown]
	v_cmp_eq_u32_e64 s[0:1], 47, v0
	s_waitcnt vmcnt(0)
	ds_write_b64 v1, v[100:101]
	s_waitcnt lgkmcnt(0)
	; wave barrier
	s_and_saveexec_b64 s[2:3], s[0:1]
	s_cbranch_execz .LBB111_10
; %bb.5:
	s_and_b64 vcc, exec, s[6:7]
	s_cbranch_vccz .LBB111_7
; %bb.6:
	scratch_load_dwordx2 v[100:101], v19, off
	ds_read_b64 v[102:103], v1
	s_waitcnt vmcnt(0) lgkmcnt(0)
	v_mul_f64 v[100:101], v[100:101], v[102:103]
	s_cbranch_execz .LBB111_8
	s_branch .LBB111_9
.LBB111_7:
                                        ; implicit-def: $vgpr100_vgpr101
.LBB111_8:
	ds_read_b64 v[100:101], v1
.LBB111_9:
	v_mov_b32_e32 v102, 0
	ds_read_b64 v[102:103], v102 offset:368
	s_waitcnt lgkmcnt(0)
	v_mul_f64 v[100:101], v[100:101], v[102:103]
	scratch_store_dwordx2 off, v[100:101], off offset:368
.LBB111_10:
	s_or_b64 exec, exec, s[2:3]
	scratch_load_dwordx2 v[100:101], off, off offset:360
	s_or_b32 s10, 0, 8
	s_mov_b32 s11, 16
	s_mov_b32 s12, 24
	;; [unrolled: 1-line block ×9, first 2 shown]
	v_cmp_lt_u32_e64 s[2:3], 45, v0
	s_waitcnt vmcnt(0)
	ds_write_b64 v1, v[100:101]
	s_waitcnt lgkmcnt(0)
	; wave barrier
	s_and_saveexec_b64 s[4:5], s[2:3]
	s_cbranch_execz .LBB111_16
; %bb.11:
	s_andn2_b64 vcc, exec, s[6:7]
	s_cbranch_vccnz .LBB111_13
; %bb.12:
	scratch_load_dwordx2 v[100:101], v19, off
	ds_read_b64 v[102:103], v1
	s_waitcnt vmcnt(0) lgkmcnt(0)
	v_mul_f64 v[100:101], v[100:101], v[102:103]
	s_cbranch_execz .LBB111_14
	s_branch .LBB111_15
.LBB111_13:
                                        ; implicit-def: $vgpr100_vgpr101
.LBB111_14:
	ds_read_b64 v[100:101], v1
.LBB111_15:
	scratch_load_dwordx2 v[106:107], off, off offset:368
	v_mov_b32_e32 v102, 0
	ds_read2_b64 v[102:105], v102 offset0:45 offset1:94
	s_waitcnt vmcnt(0) lgkmcnt(0)
	v_fma_f64 v[104:105], v[106:107], v[104:105], v[100:101]
	v_cndmask_b32_e64 v101, v101, v105, s[0:1]
	v_cndmask_b32_e64 v100, v100, v104, s[0:1]
	v_mul_f64 v[100:101], v[100:101], v[102:103]
	scratch_store_dwordx2 off, v[100:101], off offset:360
.LBB111_16:
	s_or_b64 exec, exec, s[4:5]
	scratch_load_dwordx2 v[100:101], off, off offset:352
	v_cmp_lt_u32_e64 s[0:1], 44, v0
	s_waitcnt vmcnt(0)
	ds_write_b64 v1, v[100:101]
	s_waitcnt lgkmcnt(0)
	; wave barrier
	s_and_saveexec_b64 s[4:5], s[0:1]
	s_cbranch_execz .LBB111_26
; %bb.17:
	s_andn2_b64 vcc, exec, s[6:7]
	s_cbranch_vccnz .LBB111_19
; %bb.18:
	scratch_load_dwordx2 v[100:101], v19, off
	ds_read_b64 v[102:103], v1
	s_waitcnt vmcnt(0) lgkmcnt(0)
	v_mul_f64 v[100:101], v[100:101], v[102:103]
	s_cbranch_execz .LBB111_20
	s_branch .LBB111_21
.LBB111_19:
                                        ; implicit-def: $vgpr100_vgpr101
.LBB111_20:
	ds_read_b64 v[100:101], v1
.LBB111_21:
	s_and_saveexec_b64 s[8:9], s[2:3]
	s_cbranch_execz .LBB111_25
; %bb.22:
	v_subrev_u32_e32 v102, 45, v0
	s_movk_i32 s56, 0x2e8
	s_mov_b64 s[2:3], 0
.LBB111_23:                             ; =>This Inner Loop Header: Depth=1
	scratch_load_dwordx2 v[104:105], off, s55
	v_mov_b32_e32 v103, s56
	ds_read_b64 v[106:107], v103
	v_add_u32_e32 v102, -1, v102
	s_add_i32 s56, s56, 8
	s_add_i32 s55, s55, 8
	v_cmp_eq_u32_e32 vcc, 0, v102
	s_or_b64 s[2:3], vcc, s[2:3]
	s_waitcnt vmcnt(0) lgkmcnt(0)
	v_fmac_f64_e32 v[100:101], v[104:105], v[106:107]
	s_andn2_b64 exec, exec, s[2:3]
	s_cbranch_execnz .LBB111_23
; %bb.24:
	s_or_b64 exec, exec, s[2:3]
.LBB111_25:
	s_or_b64 exec, exec, s[8:9]
	v_mov_b32_e32 v102, 0
	ds_read_b64 v[102:103], v102 offset:352
	s_waitcnt lgkmcnt(0)
	v_mul_f64 v[100:101], v[100:101], v[102:103]
	scratch_store_dwordx2 off, v[100:101], off offset:352
.LBB111_26:
	s_or_b64 exec, exec, s[4:5]
	scratch_load_dwordx2 v[100:101], off, off offset:344
	v_cmp_lt_u32_e64 s[2:3], 43, v0
	s_waitcnt vmcnt(0)
	ds_write_b64 v1, v[100:101]
	s_waitcnt lgkmcnt(0)
	; wave barrier
	s_and_saveexec_b64 s[4:5], s[2:3]
	s_cbranch_execz .LBB111_36
; %bb.27:
	s_andn2_b64 vcc, exec, s[6:7]
	s_cbranch_vccnz .LBB111_29
; %bb.28:
	scratch_load_dwordx2 v[100:101], v19, off
	ds_read_b64 v[102:103], v1
	s_waitcnt vmcnt(0) lgkmcnt(0)
	v_mul_f64 v[100:101], v[100:101], v[102:103]
	s_cbranch_execz .LBB111_30
	s_branch .LBB111_31
.LBB111_29:
                                        ; implicit-def: $vgpr100_vgpr101
.LBB111_30:
	ds_read_b64 v[100:101], v1
.LBB111_31:
	s_and_saveexec_b64 s[8:9], s[0:1]
	s_cbranch_execz .LBB111_35
; %bb.32:
	v_subrev_u32_e32 v102, 44, v0
	s_movk_i32 s55, 0x2e0
	s_mov_b64 s[0:1], 0
.LBB111_33:                             ; =>This Inner Loop Header: Depth=1
	scratch_load_dwordx2 v[104:105], off, s54
	v_mov_b32_e32 v103, s55
	ds_read_b64 v[106:107], v103
	v_add_u32_e32 v102, -1, v102
	s_add_i32 s55, s55, 8
	s_add_i32 s54, s54, 8
	v_cmp_eq_u32_e32 vcc, 0, v102
	s_or_b64 s[0:1], vcc, s[0:1]
	s_waitcnt vmcnt(0) lgkmcnt(0)
	v_fmac_f64_e32 v[100:101], v[104:105], v[106:107]
	s_andn2_b64 exec, exec, s[0:1]
	s_cbranch_execnz .LBB111_33
; %bb.34:
	s_or_b64 exec, exec, s[0:1]
.LBB111_35:
	s_or_b64 exec, exec, s[8:9]
	v_mov_b32_e32 v102, 0
	ds_read_b64 v[102:103], v102 offset:344
	s_waitcnt lgkmcnt(0)
	v_mul_f64 v[100:101], v[100:101], v[102:103]
	scratch_store_dwordx2 off, v[100:101], off offset:344
.LBB111_36:
	s_or_b64 exec, exec, s[4:5]
	scratch_load_dwordx2 v[100:101], off, off offset:336
	v_cmp_lt_u32_e64 s[0:1], 42, v0
	s_waitcnt vmcnt(0)
	ds_write_b64 v1, v[100:101]
	s_waitcnt lgkmcnt(0)
	; wave barrier
	s_and_saveexec_b64 s[4:5], s[0:1]
	s_cbranch_execz .LBB111_46
; %bb.37:
	s_andn2_b64 vcc, exec, s[6:7]
	s_cbranch_vccnz .LBB111_39
; %bb.38:
	scratch_load_dwordx2 v[100:101], v19, off
	ds_read_b64 v[102:103], v1
	s_waitcnt vmcnt(0) lgkmcnt(0)
	v_mul_f64 v[100:101], v[100:101], v[102:103]
	s_cbranch_execz .LBB111_40
	s_branch .LBB111_41
.LBB111_39:
                                        ; implicit-def: $vgpr100_vgpr101
.LBB111_40:
	ds_read_b64 v[100:101], v1
.LBB111_41:
	s_and_saveexec_b64 s[8:9], s[2:3]
	s_cbranch_execz .LBB111_45
; %bb.42:
	v_subrev_u32_e32 v102, 43, v0
	s_movk_i32 s54, 0x2d8
	s_mov_b64 s[2:3], 0
.LBB111_43:                             ; =>This Inner Loop Header: Depth=1
	scratch_load_dwordx2 v[104:105], off, s53
	v_mov_b32_e32 v103, s54
	ds_read_b64 v[106:107], v103
	v_add_u32_e32 v102, -1, v102
	s_add_i32 s54, s54, 8
	s_add_i32 s53, s53, 8
	v_cmp_eq_u32_e32 vcc, 0, v102
	s_or_b64 s[2:3], vcc, s[2:3]
	s_waitcnt vmcnt(0) lgkmcnt(0)
	v_fmac_f64_e32 v[100:101], v[104:105], v[106:107]
	s_andn2_b64 exec, exec, s[2:3]
	s_cbranch_execnz .LBB111_43
; %bb.44:
	s_or_b64 exec, exec, s[2:3]
.LBB111_45:
	s_or_b64 exec, exec, s[8:9]
	v_mov_b32_e32 v102, 0
	ds_read_b64 v[102:103], v102 offset:336
	s_waitcnt lgkmcnt(0)
	v_mul_f64 v[100:101], v[100:101], v[102:103]
	scratch_store_dwordx2 off, v[100:101], off offset:336
.LBB111_46:
	s_or_b64 exec, exec, s[4:5]
	scratch_load_dwordx2 v[100:101], off, off offset:328
	v_cmp_lt_u32_e64 s[2:3], 41, v0
	s_waitcnt vmcnt(0)
	ds_write_b64 v1, v[100:101]
	s_waitcnt lgkmcnt(0)
	; wave barrier
	s_and_saveexec_b64 s[4:5], s[2:3]
	s_cbranch_execz .LBB111_56
; %bb.47:
	s_andn2_b64 vcc, exec, s[6:7]
	s_cbranch_vccnz .LBB111_49
; %bb.48:
	scratch_load_dwordx2 v[100:101], v19, off
	ds_read_b64 v[102:103], v1
	s_waitcnt vmcnt(0) lgkmcnt(0)
	v_mul_f64 v[100:101], v[100:101], v[102:103]
	s_cbranch_execz .LBB111_50
	s_branch .LBB111_51
.LBB111_49:
                                        ; implicit-def: $vgpr100_vgpr101
.LBB111_50:
	ds_read_b64 v[100:101], v1
.LBB111_51:
	s_and_saveexec_b64 s[8:9], s[0:1]
	s_cbranch_execz .LBB111_55
; %bb.52:
	v_subrev_u32_e32 v102, 42, v0
	s_movk_i32 s53, 0x2d0
	s_mov_b64 s[0:1], 0
.LBB111_53:                             ; =>This Inner Loop Header: Depth=1
	scratch_load_dwordx2 v[104:105], off, s52
	v_mov_b32_e32 v103, s53
	ds_read_b64 v[106:107], v103
	v_add_u32_e32 v102, -1, v102
	s_add_i32 s53, s53, 8
	s_add_i32 s52, s52, 8
	v_cmp_eq_u32_e32 vcc, 0, v102
	s_or_b64 s[0:1], vcc, s[0:1]
	s_waitcnt vmcnt(0) lgkmcnt(0)
	v_fmac_f64_e32 v[100:101], v[104:105], v[106:107]
	s_andn2_b64 exec, exec, s[0:1]
	s_cbranch_execnz .LBB111_53
; %bb.54:
	s_or_b64 exec, exec, s[0:1]
.LBB111_55:
	s_or_b64 exec, exec, s[8:9]
	v_mov_b32_e32 v102, 0
	ds_read_b64 v[102:103], v102 offset:328
	s_waitcnt lgkmcnt(0)
	v_mul_f64 v[100:101], v[100:101], v[102:103]
	scratch_store_dwordx2 off, v[100:101], off offset:328
.LBB111_56:
	s_or_b64 exec, exec, s[4:5]
	scratch_load_dwordx2 v[100:101], off, off offset:320
	v_cmp_lt_u32_e64 s[0:1], 40, v0
	s_waitcnt vmcnt(0)
	ds_write_b64 v1, v[100:101]
	s_waitcnt lgkmcnt(0)
	; wave barrier
	s_and_saveexec_b64 s[4:5], s[0:1]
	s_cbranch_execz .LBB111_66
; %bb.57:
	s_andn2_b64 vcc, exec, s[6:7]
	s_cbranch_vccnz .LBB111_59
; %bb.58:
	scratch_load_dwordx2 v[100:101], v19, off
	ds_read_b64 v[102:103], v1
	s_waitcnt vmcnt(0) lgkmcnt(0)
	v_mul_f64 v[100:101], v[100:101], v[102:103]
	s_cbranch_execz .LBB111_60
	s_branch .LBB111_61
.LBB111_59:
                                        ; implicit-def: $vgpr100_vgpr101
.LBB111_60:
	ds_read_b64 v[100:101], v1
.LBB111_61:
	s_and_saveexec_b64 s[8:9], s[2:3]
	s_cbranch_execz .LBB111_65
; %bb.62:
	v_subrev_u32_e32 v102, 41, v0
	s_movk_i32 s52, 0x2c8
	s_mov_b64 s[2:3], 0
.LBB111_63:                             ; =>This Inner Loop Header: Depth=1
	scratch_load_dwordx2 v[104:105], off, s51
	v_mov_b32_e32 v103, s52
	ds_read_b64 v[106:107], v103
	v_add_u32_e32 v102, -1, v102
	s_add_i32 s52, s52, 8
	s_add_i32 s51, s51, 8
	v_cmp_eq_u32_e32 vcc, 0, v102
	s_or_b64 s[2:3], vcc, s[2:3]
	s_waitcnt vmcnt(0) lgkmcnt(0)
	v_fmac_f64_e32 v[100:101], v[104:105], v[106:107]
	s_andn2_b64 exec, exec, s[2:3]
	s_cbranch_execnz .LBB111_63
; %bb.64:
	s_or_b64 exec, exec, s[2:3]
.LBB111_65:
	s_or_b64 exec, exec, s[8:9]
	v_mov_b32_e32 v102, 0
	ds_read_b64 v[102:103], v102 offset:320
	s_waitcnt lgkmcnt(0)
	v_mul_f64 v[100:101], v[100:101], v[102:103]
	scratch_store_dwordx2 off, v[100:101], off offset:320
.LBB111_66:
	s_or_b64 exec, exec, s[4:5]
	scratch_load_dwordx2 v[100:101], off, off offset:312
	v_cmp_lt_u32_e64 s[2:3], 39, v0
	s_waitcnt vmcnt(0)
	ds_write_b64 v1, v[100:101]
	s_waitcnt lgkmcnt(0)
	; wave barrier
	s_and_saveexec_b64 s[4:5], s[2:3]
	s_cbranch_execz .LBB111_76
; %bb.67:
	s_andn2_b64 vcc, exec, s[6:7]
	s_cbranch_vccnz .LBB111_69
; %bb.68:
	scratch_load_dwordx2 v[100:101], v19, off
	ds_read_b64 v[102:103], v1
	s_waitcnt vmcnt(0) lgkmcnt(0)
	v_mul_f64 v[100:101], v[100:101], v[102:103]
	s_cbranch_execz .LBB111_70
	s_branch .LBB111_71
.LBB111_69:
                                        ; implicit-def: $vgpr100_vgpr101
.LBB111_70:
	ds_read_b64 v[100:101], v1
.LBB111_71:
	s_and_saveexec_b64 s[8:9], s[0:1]
	s_cbranch_execz .LBB111_75
; %bb.72:
	v_subrev_u32_e32 v102, 40, v0
	s_movk_i32 s51, 0x2c0
	s_mov_b64 s[0:1], 0
.LBB111_73:                             ; =>This Inner Loop Header: Depth=1
	scratch_load_dwordx2 v[104:105], off, s50
	v_mov_b32_e32 v103, s51
	ds_read_b64 v[106:107], v103
	v_add_u32_e32 v102, -1, v102
	s_add_i32 s51, s51, 8
	s_add_i32 s50, s50, 8
	v_cmp_eq_u32_e32 vcc, 0, v102
	s_or_b64 s[0:1], vcc, s[0:1]
	s_waitcnt vmcnt(0) lgkmcnt(0)
	v_fmac_f64_e32 v[100:101], v[104:105], v[106:107]
	s_andn2_b64 exec, exec, s[0:1]
	s_cbranch_execnz .LBB111_73
; %bb.74:
	s_or_b64 exec, exec, s[0:1]
.LBB111_75:
	s_or_b64 exec, exec, s[8:9]
	v_mov_b32_e32 v102, 0
	ds_read_b64 v[102:103], v102 offset:312
	s_waitcnt lgkmcnt(0)
	v_mul_f64 v[100:101], v[100:101], v[102:103]
	scratch_store_dwordx2 off, v[100:101], off offset:312
.LBB111_76:
	s_or_b64 exec, exec, s[4:5]
	scratch_load_dwordx2 v[100:101], off, off offset:304
	v_cmp_lt_u32_e64 s[0:1], 38, v0
	s_waitcnt vmcnt(0)
	ds_write_b64 v1, v[100:101]
	s_waitcnt lgkmcnt(0)
	; wave barrier
	s_and_saveexec_b64 s[4:5], s[0:1]
	s_cbranch_execz .LBB111_86
; %bb.77:
	s_andn2_b64 vcc, exec, s[6:7]
	s_cbranch_vccnz .LBB111_79
; %bb.78:
	scratch_load_dwordx2 v[100:101], v19, off
	ds_read_b64 v[102:103], v1
	s_waitcnt vmcnt(0) lgkmcnt(0)
	v_mul_f64 v[100:101], v[100:101], v[102:103]
	s_cbranch_execz .LBB111_80
	s_branch .LBB111_81
.LBB111_79:
                                        ; implicit-def: $vgpr100_vgpr101
.LBB111_80:
	ds_read_b64 v[100:101], v1
.LBB111_81:
	s_and_saveexec_b64 s[8:9], s[2:3]
	s_cbranch_execz .LBB111_85
; %bb.82:
	v_subrev_u32_e32 v102, 39, v0
	s_movk_i32 s50, 0x2b8
	s_mov_b64 s[2:3], 0
.LBB111_83:                             ; =>This Inner Loop Header: Depth=1
	scratch_load_dwordx2 v[104:105], off, s49
	v_mov_b32_e32 v103, s50
	ds_read_b64 v[106:107], v103
	v_add_u32_e32 v102, -1, v102
	s_add_i32 s50, s50, 8
	s_add_i32 s49, s49, 8
	v_cmp_eq_u32_e32 vcc, 0, v102
	s_or_b64 s[2:3], vcc, s[2:3]
	s_waitcnt vmcnt(0) lgkmcnt(0)
	v_fmac_f64_e32 v[100:101], v[104:105], v[106:107]
	s_andn2_b64 exec, exec, s[2:3]
	s_cbranch_execnz .LBB111_83
; %bb.84:
	s_or_b64 exec, exec, s[2:3]
.LBB111_85:
	s_or_b64 exec, exec, s[8:9]
	v_mov_b32_e32 v102, 0
	ds_read_b64 v[102:103], v102 offset:304
	s_waitcnt lgkmcnt(0)
	v_mul_f64 v[100:101], v[100:101], v[102:103]
	scratch_store_dwordx2 off, v[100:101], off offset:304
.LBB111_86:
	s_or_b64 exec, exec, s[4:5]
	scratch_load_dwordx2 v[100:101], off, off offset:296
	v_cmp_lt_u32_e64 s[2:3], 37, v0
	s_waitcnt vmcnt(0)
	ds_write_b64 v1, v[100:101]
	s_waitcnt lgkmcnt(0)
	; wave barrier
	s_and_saveexec_b64 s[4:5], s[2:3]
	s_cbranch_execz .LBB111_96
; %bb.87:
	s_andn2_b64 vcc, exec, s[6:7]
	s_cbranch_vccnz .LBB111_89
; %bb.88:
	scratch_load_dwordx2 v[100:101], v19, off
	ds_read_b64 v[102:103], v1
	s_waitcnt vmcnt(0) lgkmcnt(0)
	v_mul_f64 v[100:101], v[100:101], v[102:103]
	s_cbranch_execz .LBB111_90
	s_branch .LBB111_91
.LBB111_89:
                                        ; implicit-def: $vgpr100_vgpr101
.LBB111_90:
	ds_read_b64 v[100:101], v1
.LBB111_91:
	s_and_saveexec_b64 s[8:9], s[0:1]
	s_cbranch_execz .LBB111_95
; %bb.92:
	v_subrev_u32_e32 v102, 38, v0
	s_movk_i32 s49, 0x2b0
	s_mov_b64 s[0:1], 0
.LBB111_93:                             ; =>This Inner Loop Header: Depth=1
	scratch_load_dwordx2 v[104:105], off, s48
	v_mov_b32_e32 v103, s49
	ds_read_b64 v[106:107], v103
	v_add_u32_e32 v102, -1, v102
	s_add_i32 s49, s49, 8
	s_add_i32 s48, s48, 8
	v_cmp_eq_u32_e32 vcc, 0, v102
	s_or_b64 s[0:1], vcc, s[0:1]
	s_waitcnt vmcnt(0) lgkmcnt(0)
	v_fmac_f64_e32 v[100:101], v[104:105], v[106:107]
	s_andn2_b64 exec, exec, s[0:1]
	s_cbranch_execnz .LBB111_93
; %bb.94:
	s_or_b64 exec, exec, s[0:1]
.LBB111_95:
	s_or_b64 exec, exec, s[8:9]
	v_mov_b32_e32 v102, 0
	ds_read_b64 v[102:103], v102 offset:296
	s_waitcnt lgkmcnt(0)
	v_mul_f64 v[100:101], v[100:101], v[102:103]
	scratch_store_dwordx2 off, v[100:101], off offset:296
.LBB111_96:
	s_or_b64 exec, exec, s[4:5]
	scratch_load_dwordx2 v[100:101], off, off offset:288
	v_cmp_lt_u32_e64 s[0:1], 36, v0
	s_waitcnt vmcnt(0)
	ds_write_b64 v1, v[100:101]
	s_waitcnt lgkmcnt(0)
	; wave barrier
	s_and_saveexec_b64 s[4:5], s[0:1]
	s_cbranch_execz .LBB111_106
; %bb.97:
	s_andn2_b64 vcc, exec, s[6:7]
	s_cbranch_vccnz .LBB111_99
; %bb.98:
	scratch_load_dwordx2 v[100:101], v19, off
	ds_read_b64 v[102:103], v1
	s_waitcnt vmcnt(0) lgkmcnt(0)
	v_mul_f64 v[100:101], v[100:101], v[102:103]
	s_cbranch_execz .LBB111_100
	s_branch .LBB111_101
.LBB111_99:
                                        ; implicit-def: $vgpr100_vgpr101
.LBB111_100:
	ds_read_b64 v[100:101], v1
.LBB111_101:
	s_and_saveexec_b64 s[8:9], s[2:3]
	s_cbranch_execz .LBB111_105
; %bb.102:
	v_subrev_u32_e32 v102, 37, v0
	s_movk_i32 s48, 0x2a8
	s_mov_b64 s[2:3], 0
.LBB111_103:                            ; =>This Inner Loop Header: Depth=1
	scratch_load_dwordx2 v[104:105], off, s47
	v_mov_b32_e32 v103, s48
	ds_read_b64 v[106:107], v103
	v_add_u32_e32 v102, -1, v102
	s_add_i32 s48, s48, 8
	s_add_i32 s47, s47, 8
	v_cmp_eq_u32_e32 vcc, 0, v102
	s_or_b64 s[2:3], vcc, s[2:3]
	s_waitcnt vmcnt(0) lgkmcnt(0)
	v_fmac_f64_e32 v[100:101], v[104:105], v[106:107]
	s_andn2_b64 exec, exec, s[2:3]
	s_cbranch_execnz .LBB111_103
; %bb.104:
	s_or_b64 exec, exec, s[2:3]
.LBB111_105:
	s_or_b64 exec, exec, s[8:9]
	v_mov_b32_e32 v102, 0
	ds_read_b64 v[102:103], v102 offset:288
	s_waitcnt lgkmcnt(0)
	v_mul_f64 v[100:101], v[100:101], v[102:103]
	scratch_store_dwordx2 off, v[100:101], off offset:288
.LBB111_106:
	s_or_b64 exec, exec, s[4:5]
	scratch_load_dwordx2 v[100:101], off, off offset:280
	v_cmp_lt_u32_e64 s[2:3], 35, v0
	s_waitcnt vmcnt(0)
	ds_write_b64 v1, v[100:101]
	s_waitcnt lgkmcnt(0)
	; wave barrier
	s_and_saveexec_b64 s[4:5], s[2:3]
	s_cbranch_execz .LBB111_116
; %bb.107:
	s_andn2_b64 vcc, exec, s[6:7]
	s_cbranch_vccnz .LBB111_109
; %bb.108:
	scratch_load_dwordx2 v[100:101], v19, off
	ds_read_b64 v[102:103], v1
	s_waitcnt vmcnt(0) lgkmcnt(0)
	v_mul_f64 v[100:101], v[100:101], v[102:103]
	s_cbranch_execz .LBB111_110
	s_branch .LBB111_111
.LBB111_109:
                                        ; implicit-def: $vgpr100_vgpr101
.LBB111_110:
	ds_read_b64 v[100:101], v1
.LBB111_111:
	s_and_saveexec_b64 s[8:9], s[0:1]
	s_cbranch_execz .LBB111_115
; %bb.112:
	v_subrev_u32_e32 v102, 36, v0
	s_movk_i32 s47, 0x2a0
	s_mov_b64 s[0:1], 0
.LBB111_113:                            ; =>This Inner Loop Header: Depth=1
	scratch_load_dwordx2 v[104:105], off, s46
	v_mov_b32_e32 v103, s47
	ds_read_b64 v[106:107], v103
	v_add_u32_e32 v102, -1, v102
	s_add_i32 s47, s47, 8
	s_add_i32 s46, s46, 8
	v_cmp_eq_u32_e32 vcc, 0, v102
	s_or_b64 s[0:1], vcc, s[0:1]
	s_waitcnt vmcnt(0) lgkmcnt(0)
	v_fmac_f64_e32 v[100:101], v[104:105], v[106:107]
	s_andn2_b64 exec, exec, s[0:1]
	s_cbranch_execnz .LBB111_113
; %bb.114:
	s_or_b64 exec, exec, s[0:1]
.LBB111_115:
	s_or_b64 exec, exec, s[8:9]
	v_mov_b32_e32 v102, 0
	ds_read_b64 v[102:103], v102 offset:280
	s_waitcnt lgkmcnt(0)
	v_mul_f64 v[100:101], v[100:101], v[102:103]
	scratch_store_dwordx2 off, v[100:101], off offset:280
.LBB111_116:
	;; [unrolled: 53-line block ×21, first 2 shown]
	s_or_b64 exec, exec, s[4:5]
	scratch_load_dwordx2 v[100:101], off, off offset:120
	v_cmp_lt_u32_e64 s[2:3], 15, v0
	s_waitcnt vmcnt(0)
	ds_write_b64 v1, v[100:101]
	s_waitcnt lgkmcnt(0)
	; wave barrier
	s_and_saveexec_b64 s[4:5], s[2:3]
	s_cbranch_execz .LBB111_316
; %bb.307:
	s_andn2_b64 vcc, exec, s[6:7]
	s_cbranch_vccnz .LBB111_309
; %bb.308:
	scratch_load_dwordx2 v[100:101], v19, off
	ds_read_b64 v[102:103], v1
	s_waitcnt vmcnt(0) lgkmcnt(0)
	v_mul_f64 v[100:101], v[100:101], v[102:103]
	s_cbranch_execz .LBB111_310
	s_branch .LBB111_311
.LBB111_309:
                                        ; implicit-def: $vgpr100_vgpr101
.LBB111_310:
	ds_read_b64 v[100:101], v1
.LBB111_311:
	s_and_saveexec_b64 s[8:9], s[0:1]
	s_cbranch_execz .LBB111_315
; %bb.312:
	v_add_u32_e32 v102, -16, v0
	s_movk_i32 s26, 0x200
	s_mov_b64 s[0:1], 0
.LBB111_313:                            ; =>This Inner Loop Header: Depth=1
	scratch_load_dwordx2 v[104:105], off, s25
	v_mov_b32_e32 v103, s26
	ds_read_b64 v[106:107], v103
	v_add_u32_e32 v102, -1, v102
	s_add_i32 s26, s26, 8
	s_add_i32 s25, s25, 8
	v_cmp_eq_u32_e32 vcc, 0, v102
	s_or_b64 s[0:1], vcc, s[0:1]
	s_waitcnt vmcnt(0) lgkmcnt(0)
	v_fmac_f64_e32 v[100:101], v[104:105], v[106:107]
	s_andn2_b64 exec, exec, s[0:1]
	s_cbranch_execnz .LBB111_313
; %bb.314:
	s_or_b64 exec, exec, s[0:1]
.LBB111_315:
	s_or_b64 exec, exec, s[8:9]
	v_mov_b32_e32 v102, 0
	ds_read_b64 v[102:103], v102 offset:120
	s_waitcnt lgkmcnt(0)
	v_mul_f64 v[100:101], v[100:101], v[102:103]
	scratch_store_dwordx2 off, v[100:101], off offset:120
.LBB111_316:
	s_or_b64 exec, exec, s[4:5]
	scratch_load_dwordx2 v[100:101], off, off offset:112
	v_cmp_lt_u32_e64 s[0:1], 14, v0
	s_waitcnt vmcnt(0)
	ds_write_b64 v1, v[100:101]
	s_waitcnt lgkmcnt(0)
	; wave barrier
	s_and_saveexec_b64 s[4:5], s[0:1]
	s_cbranch_execz .LBB111_326
; %bb.317:
	s_andn2_b64 vcc, exec, s[6:7]
	s_cbranch_vccnz .LBB111_319
; %bb.318:
	scratch_load_dwordx2 v[100:101], v19, off
	ds_read_b64 v[102:103], v1
	s_waitcnt vmcnt(0) lgkmcnt(0)
	v_mul_f64 v[100:101], v[100:101], v[102:103]
	s_cbranch_execz .LBB111_320
	s_branch .LBB111_321
.LBB111_319:
                                        ; implicit-def: $vgpr100_vgpr101
.LBB111_320:
	ds_read_b64 v[100:101], v1
.LBB111_321:
	s_and_saveexec_b64 s[8:9], s[2:3]
	s_cbranch_execz .LBB111_325
; %bb.322:
	v_add_u32_e32 v102, -15, v0
	s_movk_i32 s25, 0x1f8
	s_mov_b64 s[2:3], 0
.LBB111_323:                            ; =>This Inner Loop Header: Depth=1
	scratch_load_dwordx2 v[104:105], off, s24
	v_mov_b32_e32 v103, s25
	ds_read_b64 v[106:107], v103
	v_add_u32_e32 v102, -1, v102
	s_add_i32 s25, s25, 8
	s_add_i32 s24, s24, 8
	v_cmp_eq_u32_e32 vcc, 0, v102
	s_or_b64 s[2:3], vcc, s[2:3]
	s_waitcnt vmcnt(0) lgkmcnt(0)
	v_fmac_f64_e32 v[100:101], v[104:105], v[106:107]
	s_andn2_b64 exec, exec, s[2:3]
	s_cbranch_execnz .LBB111_323
; %bb.324:
	s_or_b64 exec, exec, s[2:3]
.LBB111_325:
	s_or_b64 exec, exec, s[8:9]
	v_mov_b32_e32 v102, 0
	ds_read_b64 v[102:103], v102 offset:112
	s_waitcnt lgkmcnt(0)
	v_mul_f64 v[100:101], v[100:101], v[102:103]
	scratch_store_dwordx2 off, v[100:101], off offset:112
.LBB111_326:
	;; [unrolled: 53-line block ×15, first 2 shown]
	s_or_b64 exec, exec, s[4:5]
	scratch_load_dwordx2 v[100:101], off, off
	v_cmp_ne_u32_e32 vcc, 0, v0
	s_waitcnt vmcnt(0)
	ds_write_b64 v1, v[100:101]
	s_waitcnt lgkmcnt(0)
	; wave barrier
	s_and_saveexec_b64 s[0:1], vcc
	s_cbranch_execz .LBB111_466
; %bb.457:
	s_andn2_b64 vcc, exec, s[6:7]
	s_cbranch_vccnz .LBB111_459
; %bb.458:
	scratch_load_dwordx2 v[100:101], v19, off
	ds_read_b64 v[102:103], v1
	s_waitcnt vmcnt(0) lgkmcnt(0)
	v_mul_f64 v[100:101], v[100:101], v[102:103]
	s_cbranch_execz .LBB111_460
	s_branch .LBB111_461
.LBB111_459:
                                        ; implicit-def: $vgpr100_vgpr101
.LBB111_460:
	ds_read_b64 v[100:101], v1
.LBB111_461:
	s_and_saveexec_b64 s[4:5], s[2:3]
	s_cbranch_execz .LBB111_465
; %bb.462:
	v_add_u32_e32 v102, -1, v0
	s_movk_i32 s8, 0x188
	s_mov_b64 s[2:3], 0
.LBB111_463:                            ; =>This Inner Loop Header: Depth=1
	scratch_load_dwordx2 v[104:105], off, s10
	v_mov_b32_e32 v103, s8
	ds_read_b64 v[106:107], v103
	v_add_u32_e32 v102, -1, v102
	s_add_i32 s8, s8, 8
	s_add_i32 s10, s10, 8
	v_cmp_eq_u32_e32 vcc, 0, v102
	s_or_b64 s[2:3], vcc, s[2:3]
	s_waitcnt vmcnt(0) lgkmcnt(0)
	v_fmac_f64_e32 v[100:101], v[104:105], v[106:107]
	s_andn2_b64 exec, exec, s[2:3]
	s_cbranch_execnz .LBB111_463
; %bb.464:
	s_or_b64 exec, exec, s[2:3]
.LBB111_465:
	s_or_b64 exec, exec, s[4:5]
	v_mov_b32_e32 v102, 0
	ds_read_b64 v[102:103], v102
	s_waitcnt lgkmcnt(0)
	v_mul_f64 v[100:101], v[100:101], v[102:103]
	scratch_store_dwordx2 off, v[100:101], off
.LBB111_466:
	s_or_b64 exec, exec, s[0:1]
	s_mov_b64 s[0:1], 0
.LBB111_467:
	s_and_b64 vcc, exec, s[0:1]
	s_cbranch_vccz .LBB111_929
; %bb.468:
	scratch_load_dwordx2 v[100:101], off, off offset:8
	v_cmp_eq_u32_e64 s[2:3], 0, v0
	s_waitcnt vmcnt(0)
	ds_write_b64 v1, v[100:101]
	s_waitcnt lgkmcnt(0)
	; wave barrier
	s_and_saveexec_b64 s[0:1], s[2:3]
	s_cbranch_execz .LBB111_474
; %bb.469:
	s_and_b64 vcc, exec, s[6:7]
	s_cbranch_vccz .LBB111_471
; %bb.470:
	scratch_load_dwordx2 v[100:101], v19, off
	ds_read_b64 v[102:103], v1
	s_waitcnt vmcnt(0) lgkmcnt(0)
	v_mul_f64 v[100:101], v[100:101], v[102:103]
	s_cbranch_execz .LBB111_472
	s_branch .LBB111_473
.LBB111_471:
                                        ; implicit-def: $vgpr100_vgpr101
.LBB111_472:
	ds_read_b64 v[100:101], v1
.LBB111_473:
	v_mov_b32_e32 v102, 0
	ds_read_b64 v[102:103], v102 offset:8
	s_waitcnt lgkmcnt(0)
	v_mul_f64 v[100:101], v[100:101], v[102:103]
	scratch_store_dwordx2 off, v[100:101], off offset:8
.LBB111_474:
	s_or_b64 exec, exec, s[0:1]
	scratch_load_dwordx2 v[100:101], off, off offset:16
	v_cndmask_b32_e64 v102, 0, 1, s[6:7]
	v_cmp_gt_u32_e32 vcc, 2, v0
	v_cmp_ne_u32_e64 s[0:1], 1, v102
	s_waitcnt vmcnt(0)
	ds_write_b64 v1, v[100:101]
	s_waitcnt lgkmcnt(0)
	; wave barrier
	s_and_saveexec_b64 s[4:5], vcc
	s_cbranch_execz .LBB111_480
; %bb.475:
	s_and_b64 vcc, exec, s[0:1]
	s_cbranch_vccnz .LBB111_477
; %bb.476:
	scratch_load_dwordx2 v[100:101], v19, off
	ds_read_b64 v[102:103], v1
	s_waitcnt vmcnt(0) lgkmcnt(0)
	v_mul_f64 v[100:101], v[100:101], v[102:103]
	s_cbranch_execz .LBB111_478
	s_branch .LBB111_479
.LBB111_477:
                                        ; implicit-def: $vgpr100_vgpr101
.LBB111_478:
	ds_read_b64 v[100:101], v1
.LBB111_479:
	scratch_load_dwordx2 v[106:107], off, off offset:8
	v_mov_b32_e32 v102, 0
	ds_read2_b64 v[102:105], v102 offset0:2 offset1:49
	s_waitcnt vmcnt(0) lgkmcnt(0)
	v_fma_f64 v[104:105], v[106:107], v[104:105], v[100:101]
	v_cndmask_b32_e64 v101, v101, v105, s[2:3]
	v_cndmask_b32_e64 v100, v100, v104, s[2:3]
	v_mul_f64 v[100:101], v[100:101], v[102:103]
	scratch_store_dwordx2 off, v[100:101], off offset:16
.LBB111_480:
	s_or_b64 exec, exec, s[4:5]
	scratch_load_dwordx2 v[100:101], off, off offset:24
	v_cmp_gt_u32_e32 vcc, 3, v0
	s_waitcnt vmcnt(0)
	ds_write_b64 v1, v[100:101]
	s_waitcnt lgkmcnt(0)
	; wave barrier
	s_and_saveexec_b64 s[4:5], vcc
	s_cbranch_execz .LBB111_488
; %bb.481:
	s_and_b64 vcc, exec, s[0:1]
	s_cbranch_vccnz .LBB111_483
; %bb.482:
	scratch_load_dwordx2 v[100:101], v19, off
	ds_read_b64 v[102:103], v1
	s_waitcnt vmcnt(0) lgkmcnt(0)
	v_mul_f64 v[100:101], v[100:101], v[102:103]
	s_cbranch_execz .LBB111_484
	s_branch .LBB111_485
.LBB111_483:
                                        ; implicit-def: $vgpr100_vgpr101
.LBB111_484:
	ds_read_b64 v[100:101], v1
.LBB111_485:
	v_cmp_ne_u32_e32 vcc, 2, v0
	s_and_saveexec_b64 s[6:7], vcc
	s_cbranch_execz .LBB111_487
; %bb.486:
	scratch_load_dwordx2 v[102:103], v19, off offset:8
	scratch_load_dwordx2 v[104:105], off, off offset:16
	ds_read_b64 v[106:107], v1 offset:8
	v_mov_b32_e32 v108, 0
	ds_read_b64 v[108:109], v108 offset:400
	s_waitcnt vmcnt(1) lgkmcnt(1)
	v_fmac_f64_e32 v[100:101], v[102:103], v[106:107]
	s_waitcnt vmcnt(0) lgkmcnt(0)
	v_fma_f64 v[102:103], v[104:105], v[108:109], v[100:101]
	v_cndmask_b32_e64 v101, v101, v103, s[2:3]
	v_cndmask_b32_e64 v100, v100, v102, s[2:3]
.LBB111_487:
	s_or_b64 exec, exec, s[6:7]
	v_mov_b32_e32 v102, 0
	ds_read_b64 v[102:103], v102 offset:24
	s_waitcnt lgkmcnt(0)
	v_mul_f64 v[100:101], v[100:101], v[102:103]
	scratch_store_dwordx2 off, v[100:101], off offset:24
.LBB111_488:
	s_or_b64 exec, exec, s[4:5]
	scratch_load_dwordx2 v[100:101], off, off offset:32
	v_cmp_gt_u32_e32 vcc, 4, v0
	s_waitcnt vmcnt(0)
	ds_write_b64 v1, v[100:101]
	s_waitcnt lgkmcnt(0)
	; wave barrier
	s_and_saveexec_b64 s[2:3], vcc
	s_cbranch_execz .LBB111_498
; %bb.489:
	s_and_b64 vcc, exec, s[0:1]
	s_cbranch_vccnz .LBB111_491
; %bb.490:
	scratch_load_dwordx2 v[100:101], v19, off
	ds_read_b64 v[102:103], v1
	s_waitcnt vmcnt(0) lgkmcnt(0)
	v_mul_f64 v[100:101], v[100:101], v[102:103]
	s_cbranch_execz .LBB111_492
	s_branch .LBB111_493
.LBB111_491:
                                        ; implicit-def: $vgpr100_vgpr101
.LBB111_492:
	ds_read_b64 v[100:101], v1
.LBB111_493:
	v_cmp_ne_u32_e32 vcc, 3, v0
	s_and_saveexec_b64 s[4:5], vcc
	s_cbranch_execz .LBB111_497
; %bb.494:
	s_mov_b32 s6, 0
	v_add_u32_e32 v102, 0x188, v18
	v_add3_u32 v103, v18, s6, 8
	s_mov_b64 s[6:7], 0
	v_mov_b32_e32 v104, v0
.LBB111_495:                            ; =>This Inner Loop Header: Depth=1
	scratch_load_dwordx2 v[106:107], v103, off
	ds_read_b64 v[108:109], v102
	v_add_u32_e32 v104, 1, v104
	v_cmp_lt_u32_e32 vcc, 2, v104
	v_add_u32_e32 v102, 8, v102
	v_add_u32_e32 v103, 8, v103
	s_or_b64 s[6:7], vcc, s[6:7]
	s_waitcnt vmcnt(0) lgkmcnt(0)
	v_fmac_f64_e32 v[100:101], v[106:107], v[108:109]
	s_andn2_b64 exec, exec, s[6:7]
	s_cbranch_execnz .LBB111_495
; %bb.496:
	s_or_b64 exec, exec, s[6:7]
.LBB111_497:
	s_or_b64 exec, exec, s[4:5]
	v_mov_b32_e32 v102, 0
	ds_read_b64 v[102:103], v102 offset:32
	s_waitcnt lgkmcnt(0)
	v_mul_f64 v[100:101], v[100:101], v[102:103]
	scratch_store_dwordx2 off, v[100:101], off offset:32
.LBB111_498:
	s_or_b64 exec, exec, s[2:3]
	scratch_load_dwordx2 v[100:101], off, off offset:40
	v_cmp_gt_u32_e32 vcc, 5, v0
	s_waitcnt vmcnt(0)
	ds_write_b64 v1, v[100:101]
	s_waitcnt lgkmcnt(0)
	; wave barrier
	s_and_saveexec_b64 s[2:3], vcc
	s_cbranch_execz .LBB111_508
; %bb.499:
	s_and_b64 vcc, exec, s[0:1]
	s_cbranch_vccnz .LBB111_501
; %bb.500:
	scratch_load_dwordx2 v[100:101], v19, off
	ds_read_b64 v[102:103], v1
	s_waitcnt vmcnt(0) lgkmcnt(0)
	v_mul_f64 v[100:101], v[100:101], v[102:103]
	s_cbranch_execz .LBB111_502
	s_branch .LBB111_503
.LBB111_501:
                                        ; implicit-def: $vgpr100_vgpr101
.LBB111_502:
	ds_read_b64 v[100:101], v1
.LBB111_503:
	v_cmp_ne_u32_e32 vcc, 4, v0
	s_and_saveexec_b64 s[4:5], vcc
	s_cbranch_execz .LBB111_507
; %bb.504:
	s_mov_b32 s6, 0
	v_add_u32_e32 v102, 0x188, v18
	v_add3_u32 v103, v18, s6, 8
	s_mov_b64 s[6:7], 0
	v_mov_b32_e32 v104, v0
.LBB111_505:                            ; =>This Inner Loop Header: Depth=1
	scratch_load_dwordx2 v[106:107], v103, off
	ds_read_b64 v[108:109], v102
	v_add_u32_e32 v104, 1, v104
	v_cmp_lt_u32_e32 vcc, 3, v104
	v_add_u32_e32 v102, 8, v102
	v_add_u32_e32 v103, 8, v103
	s_or_b64 s[6:7], vcc, s[6:7]
	s_waitcnt vmcnt(0) lgkmcnt(0)
	v_fmac_f64_e32 v[100:101], v[106:107], v[108:109]
	s_andn2_b64 exec, exec, s[6:7]
	s_cbranch_execnz .LBB111_505
; %bb.506:
	s_or_b64 exec, exec, s[6:7]
.LBB111_507:
	s_or_b64 exec, exec, s[4:5]
	v_mov_b32_e32 v102, 0
	ds_read_b64 v[102:103], v102 offset:40
	s_waitcnt lgkmcnt(0)
	v_mul_f64 v[100:101], v[100:101], v[102:103]
	scratch_store_dwordx2 off, v[100:101], off offset:40
.LBB111_508:
	;; [unrolled: 55-line block ×42, first 2 shown]
	s_or_b64 exec, exec, s[2:3]
	scratch_load_dwordx2 v[100:101], off, off offset:368
	v_cmp_gt_u32_e64 s[2:3], 46, v0
	s_waitcnt vmcnt(0)
	ds_write_b64 v1, v[100:101]
	s_waitcnt lgkmcnt(0)
	; wave barrier
	s_and_saveexec_b64 s[4:5], s[2:3]
	s_cbranch_execz .LBB111_918
; %bb.909:
	s_and_b64 vcc, exec, s[0:1]
	s_cbranch_vccnz .LBB111_911
; %bb.910:
	scratch_load_dwordx2 v[100:101], v19, off
	ds_read_b64 v[102:103], v1
	s_waitcnt vmcnt(0) lgkmcnt(0)
	v_mul_f64 v[100:101], v[100:101], v[102:103]
	s_cbranch_execz .LBB111_912
	s_branch .LBB111_913
.LBB111_911:
                                        ; implicit-def: $vgpr100_vgpr101
.LBB111_912:
	ds_read_b64 v[100:101], v1
.LBB111_913:
	v_cmp_ne_u32_e32 vcc, 45, v0
	s_and_saveexec_b64 s[6:7], vcc
	s_cbranch_execz .LBB111_917
; %bb.914:
	s_mov_b32 s8, 0
	v_add_u32_e32 v102, 0x188, v18
	v_add3_u32 v103, v18, s8, 8
	s_mov_b64 s[8:9], 0
	v_mov_b32_e32 v104, v0
.LBB111_915:                            ; =>This Inner Loop Header: Depth=1
	scratch_load_dwordx2 v[106:107], v103, off
	ds_read_b64 v[108:109], v102
	v_add_u32_e32 v104, 1, v104
	v_cmp_lt_u32_e32 vcc, 44, v104
	v_add_u32_e32 v102, 8, v102
	v_add_u32_e32 v103, 8, v103
	s_or_b64 s[8:9], vcc, s[8:9]
	s_waitcnt vmcnt(0) lgkmcnt(0)
	v_fmac_f64_e32 v[100:101], v[106:107], v[108:109]
	s_andn2_b64 exec, exec, s[8:9]
	s_cbranch_execnz .LBB111_915
; %bb.916:
	s_or_b64 exec, exec, s[8:9]
.LBB111_917:
	s_or_b64 exec, exec, s[6:7]
	v_mov_b32_e32 v102, 0
	ds_read_b64 v[102:103], v102 offset:368
	s_waitcnt lgkmcnt(0)
	v_mul_f64 v[100:101], v[100:101], v[102:103]
	scratch_store_dwordx2 off, v[100:101], off offset:368
.LBB111_918:
	s_or_b64 exec, exec, s[4:5]
	scratch_load_dwordx2 v[100:101], off, off offset:376
	v_cmp_ne_u32_e32 vcc, 47, v0
	s_waitcnt vmcnt(0)
	ds_write_b64 v1, v[100:101]
	s_waitcnt lgkmcnt(0)
	; wave barrier
	s_and_saveexec_b64 s[4:5], vcc
	s_cbranch_execz .LBB111_928
; %bb.919:
	s_and_b64 vcc, exec, s[0:1]
	s_cbranch_vccnz .LBB111_921
; %bb.920:
	scratch_load_dwordx2 v[100:101], v19, off
	ds_read_b64 v[102:103], v1
	s_waitcnt vmcnt(0) lgkmcnt(0)
	v_mul_f64 v[100:101], v[100:101], v[102:103]
	s_cbranch_execz .LBB111_922
	s_branch .LBB111_923
.LBB111_921:
                                        ; implicit-def: $vgpr100_vgpr101
.LBB111_922:
	ds_read_b64 v[100:101], v1
.LBB111_923:
	s_and_saveexec_b64 s[0:1], s[2:3]
	s_cbranch_execz .LBB111_927
; %bb.924:
	s_mov_b32 s2, 0
	v_add_u32_e32 v1, 0x188, v18
	v_add3_u32 v18, v18, s2, 8
	s_mov_b64 s[2:3], 0
.LBB111_925:                            ; =>This Inner Loop Header: Depth=1
	scratch_load_dwordx2 v[102:103], v18, off
	ds_read_b64 v[104:105], v1
	v_add_u32_e32 v0, 1, v0
	v_cmp_lt_u32_e32 vcc, 45, v0
	v_add_u32_e32 v1, 8, v1
	v_add_u32_e32 v18, 8, v18
	s_or_b64 s[2:3], vcc, s[2:3]
	s_waitcnt vmcnt(0) lgkmcnt(0)
	v_fmac_f64_e32 v[100:101], v[102:103], v[104:105]
	s_andn2_b64 exec, exec, s[2:3]
	s_cbranch_execnz .LBB111_925
; %bb.926:
	s_or_b64 exec, exec, s[2:3]
.LBB111_927:
	s_or_b64 exec, exec, s[0:1]
	v_mov_b32_e32 v0, 0
	ds_read_b64 v[0:1], v0 offset:376
	s_waitcnt lgkmcnt(0)
	v_mul_f64 v[0:1], v[100:101], v[0:1]
	scratch_store_dwordx2 off, v[0:1], off offset:376
.LBB111_928:
	s_or_b64 exec, exec, s[4:5]
.LBB111_929:
	scratch_load_dwordx2 v[0:1], off, off
	s_waitcnt vmcnt(0)
	flat_store_dwordx2 v[2:3], v[0:1]
	scratch_load_dwordx2 v[0:1], off, off offset:8
	s_waitcnt vmcnt(0)
	flat_store_dwordx2 v[4:5], v[0:1]
	scratch_load_dwordx2 v[0:1], off, off offset:16
	;; [unrolled: 3-line block ×47, first 2 shown]
	s_waitcnt vmcnt(0)
	flat_store_dwordx2 v[98:99], v[0:1]
.LBB111_930:
	s_endpgm
	.section	.rodata,"a",@progbits
	.p2align	6, 0x0
	.amdhsa_kernel _ZN9rocsolver6v33100L18trti2_kernel_smallILi48EdPKPdEEv13rocblas_fill_17rocblas_diagonal_T1_iil
		.amdhsa_group_segment_fixed_size 768
		.amdhsa_private_segment_fixed_size 400
		.amdhsa_kernarg_size 32
		.amdhsa_user_sgpr_count 2
		.amdhsa_user_sgpr_dispatch_ptr 0
		.amdhsa_user_sgpr_queue_ptr 0
		.amdhsa_user_sgpr_kernarg_segment_ptr 1
		.amdhsa_user_sgpr_dispatch_id 0
		.amdhsa_user_sgpr_kernarg_preload_length 0
		.amdhsa_user_sgpr_kernarg_preload_offset 0
		.amdhsa_user_sgpr_private_segment_size 0
		.amdhsa_uses_dynamic_stack 0
		.amdhsa_enable_private_segment 1
		.amdhsa_system_sgpr_workgroup_id_x 1
		.amdhsa_system_sgpr_workgroup_id_y 0
		.amdhsa_system_sgpr_workgroup_id_z 0
		.amdhsa_system_sgpr_workgroup_info 0
		.amdhsa_system_vgpr_workitem_id 0
		.amdhsa_next_free_vgpr 110
		.amdhsa_next_free_sgpr 57
		.amdhsa_accum_offset 112
		.amdhsa_reserve_vcc 1
		.amdhsa_float_round_mode_32 0
		.amdhsa_float_round_mode_16_64 0
		.amdhsa_float_denorm_mode_32 3
		.amdhsa_float_denorm_mode_16_64 3
		.amdhsa_dx10_clamp 1
		.amdhsa_ieee_mode 1
		.amdhsa_fp16_overflow 0
		.amdhsa_tg_split 0
		.amdhsa_exception_fp_ieee_invalid_op 0
		.amdhsa_exception_fp_denorm_src 0
		.amdhsa_exception_fp_ieee_div_zero 0
		.amdhsa_exception_fp_ieee_overflow 0
		.amdhsa_exception_fp_ieee_underflow 0
		.amdhsa_exception_fp_ieee_inexact 0
		.amdhsa_exception_int_div_zero 0
	.end_amdhsa_kernel
	.section	.text._ZN9rocsolver6v33100L18trti2_kernel_smallILi48EdPKPdEEv13rocblas_fill_17rocblas_diagonal_T1_iil,"axG",@progbits,_ZN9rocsolver6v33100L18trti2_kernel_smallILi48EdPKPdEEv13rocblas_fill_17rocblas_diagonal_T1_iil,comdat
.Lfunc_end111:
	.size	_ZN9rocsolver6v33100L18trti2_kernel_smallILi48EdPKPdEEv13rocblas_fill_17rocblas_diagonal_T1_iil, .Lfunc_end111-_ZN9rocsolver6v33100L18trti2_kernel_smallILi48EdPKPdEEv13rocblas_fill_17rocblas_diagonal_T1_iil
                                        ; -- End function
	.set _ZN9rocsolver6v33100L18trti2_kernel_smallILi48EdPKPdEEv13rocblas_fill_17rocblas_diagonal_T1_iil.num_vgpr, 110
	.set _ZN9rocsolver6v33100L18trti2_kernel_smallILi48EdPKPdEEv13rocblas_fill_17rocblas_diagonal_T1_iil.num_agpr, 0
	.set _ZN9rocsolver6v33100L18trti2_kernel_smallILi48EdPKPdEEv13rocblas_fill_17rocblas_diagonal_T1_iil.numbered_sgpr, 57
	.set _ZN9rocsolver6v33100L18trti2_kernel_smallILi48EdPKPdEEv13rocblas_fill_17rocblas_diagonal_T1_iil.num_named_barrier, 0
	.set _ZN9rocsolver6v33100L18trti2_kernel_smallILi48EdPKPdEEv13rocblas_fill_17rocblas_diagonal_T1_iil.private_seg_size, 400
	.set _ZN9rocsolver6v33100L18trti2_kernel_smallILi48EdPKPdEEv13rocblas_fill_17rocblas_diagonal_T1_iil.uses_vcc, 1
	.set _ZN9rocsolver6v33100L18trti2_kernel_smallILi48EdPKPdEEv13rocblas_fill_17rocblas_diagonal_T1_iil.uses_flat_scratch, 0
	.set _ZN9rocsolver6v33100L18trti2_kernel_smallILi48EdPKPdEEv13rocblas_fill_17rocblas_diagonal_T1_iil.has_dyn_sized_stack, 0
	.set _ZN9rocsolver6v33100L18trti2_kernel_smallILi48EdPKPdEEv13rocblas_fill_17rocblas_diagonal_T1_iil.has_recursion, 0
	.set _ZN9rocsolver6v33100L18trti2_kernel_smallILi48EdPKPdEEv13rocblas_fill_17rocblas_diagonal_T1_iil.has_indirect_call, 0
	.section	.AMDGPU.csdata,"",@progbits
; Kernel info:
; codeLenInByte = 23320
; TotalNumSgprs: 63
; NumVgprs: 110
; NumAgprs: 0
; TotalNumVgprs: 110
; ScratchSize: 400
; MemoryBound: 0
; FloatMode: 240
; IeeeMode: 1
; LDSByteSize: 768 bytes/workgroup (compile time only)
; SGPRBlocks: 7
; VGPRBlocks: 13
; NumSGPRsForWavesPerEU: 63
; NumVGPRsForWavesPerEU: 110
; AccumOffset: 112
; Occupancy: 4
; WaveLimiterHint : 1
; COMPUTE_PGM_RSRC2:SCRATCH_EN: 1
; COMPUTE_PGM_RSRC2:USER_SGPR: 2
; COMPUTE_PGM_RSRC2:TRAP_HANDLER: 0
; COMPUTE_PGM_RSRC2:TGID_X_EN: 1
; COMPUTE_PGM_RSRC2:TGID_Y_EN: 0
; COMPUTE_PGM_RSRC2:TGID_Z_EN: 0
; COMPUTE_PGM_RSRC2:TIDIG_COMP_CNT: 0
; COMPUTE_PGM_RSRC3_GFX90A:ACCUM_OFFSET: 27
; COMPUTE_PGM_RSRC3_GFX90A:TG_SPLIT: 0
	.section	.text._ZN9rocsolver6v33100L18trti2_kernel_smallILi49EdPKPdEEv13rocblas_fill_17rocblas_diagonal_T1_iil,"axG",@progbits,_ZN9rocsolver6v33100L18trti2_kernel_smallILi49EdPKPdEEv13rocblas_fill_17rocblas_diagonal_T1_iil,comdat
	.globl	_ZN9rocsolver6v33100L18trti2_kernel_smallILi49EdPKPdEEv13rocblas_fill_17rocblas_diagonal_T1_iil ; -- Begin function _ZN9rocsolver6v33100L18trti2_kernel_smallILi49EdPKPdEEv13rocblas_fill_17rocblas_diagonal_T1_iil
	.p2align	8
	.type	_ZN9rocsolver6v33100L18trti2_kernel_smallILi49EdPKPdEEv13rocblas_fill_17rocblas_diagonal_T1_iil,@function
_ZN9rocsolver6v33100L18trti2_kernel_smallILi49EdPKPdEEv13rocblas_fill_17rocblas_diagonal_T1_iil: ; @_ZN9rocsolver6v33100L18trti2_kernel_smallILi49EdPKPdEEv13rocblas_fill_17rocblas_diagonal_T1_iil
; %bb.0:
	v_cmp_gt_u32_e32 vcc, 49, v0
	s_and_saveexec_b64 s[4:5], vcc
	s_cbranch_execz .LBB112_950
; %bb.1:
	s_load_dwordx2 s[8:9], s[0:1], 0x10
	s_load_dwordx4 s[4:7], s[0:1], 0x0
	s_ashr_i32 s3, s2, 31
	s_lshl_b64 s[0:1], s[2:3], 3
	v_lshlrev_b32_e32 v18, 3, v0
	s_waitcnt lgkmcnt(0)
	s_ashr_i32 s3, s8, 31
	s_add_u32 s0, s6, s0
	s_addc_u32 s1, s7, s1
	s_load_dwordx2 s[0:1], s[0:1], 0x0
	s_mov_b32 s2, s8
	s_lshl_b64 s[2:3], s[2:3], 3
	v_mov_b32_e32 v19, 0
	s_waitcnt lgkmcnt(0)
	s_add_u32 s0, s0, s2
	s_addc_u32 s1, s1, s3
	v_lshl_add_u64 v[2:3], s[0:1], 0, v[18:19]
	flat_load_dwordx2 v[6:7], v[2:3]
	s_mov_b32 s2, s9
	s_ashr_i32 s3, s9, 31
	v_lshl_add_u64 v[4:5], s[2:3], 3, v[2:3]
	s_add_i32 s2, s9, s9
	v_add_u32_e32 v10, s2, v0
	v_ashrrev_i32_e32 v11, 31, v10
	s_cmpk_lg_i32 s5, 0x84
	s_cselect_b64 s[6:7], -1, 0
	s_cmpk_eq_i32 s5, 0x84
	s_waitcnt vmcnt(0) lgkmcnt(0)
	scratch_store_dwordx2 off, v[6:7], off
	flat_load_dwordx2 v[8:9], v[4:5]
	v_lshl_add_u64 v[6:7], v[10:11], 3, s[0:1]
	v_add_u32_e32 v10, s9, v10
	v_ashrrev_i32_e32 v11, 31, v10
	v_add_u32_e32 v14, s9, v10
	v_ashrrev_i32_e32 v15, 31, v14
	s_waitcnt vmcnt(0) lgkmcnt(0)
	scratch_store_dwordx2 off, v[8:9], off offset:8
	flat_load_dwordx2 v[12:13], v[6:7]
	v_lshl_add_u64 v[8:9], v[10:11], 3, s[0:1]
	v_lshl_add_u64 v[10:11], v[14:15], 3, s[0:1]
	v_add_u32_e32 v14, s9, v14
	v_ashrrev_i32_e32 v15, 31, v14
	v_add_u32_e32 v20, s9, v14
	v_ashrrev_i32_e32 v21, 31, v20
	s_waitcnt vmcnt(0) lgkmcnt(0)
	scratch_store_dwordx2 off, v[12:13], off offset:16
	flat_load_dwordx2 v[12:13], v[8:9]
	s_waitcnt vmcnt(0) lgkmcnt(0)
	scratch_store_dwordx2 off, v[12:13], off offset:24
	flat_load_dwordx2 v[16:17], v[10:11]
	v_lshl_add_u64 v[12:13], v[14:15], 3, s[0:1]
	v_lshl_add_u64 v[14:15], v[20:21], 3, s[0:1]
	v_add_u32_e32 v20, s9, v20
	v_ashrrev_i32_e32 v21, 31, v20
	v_add_u32_e32 v24, s9, v20
	v_ashrrev_i32_e32 v25, 31, v24
	s_waitcnt vmcnt(0) lgkmcnt(0)
	scratch_store_dwordx2 off, v[16:17], off offset:32
	flat_load_dwordx2 v[16:17], v[12:13]
	;; [unrolled: 12-line block ×21, first 2 shown]
	s_waitcnt vmcnt(0) lgkmcnt(0)
	scratch_store_dwordx2 off, v[94:95], off offset:344
	flat_load_dwordx2 v[98:99], v[92:93]
	v_lshl_add_u64 v[94:95], v[96:97], 3, s[0:1]
	v_lshl_add_u64 v[96:97], v[100:101], 3, s[0:1]
	v_add_u32_e32 v100, s9, v100
	v_ashrrev_i32_e32 v101, 31, v100
	s_waitcnt vmcnt(0) lgkmcnt(0)
	scratch_store_dwordx2 off, v[98:99], off offset:352
	flat_load_dwordx2 v[98:99], v[94:95]
	s_waitcnt vmcnt(0) lgkmcnt(0)
	scratch_store_dwordx2 off, v[98:99], off offset:360
	flat_load_dwordx2 v[102:103], v[96:97]
	v_lshl_add_u64 v[98:99], v[100:101], 3, s[0:1]
	v_add_u32_e32 v100, s9, v100
	v_ashrrev_i32_e32 v101, 31, v100
	v_lshl_add_u64 v[100:101], v[100:101], 3, s[0:1]
	s_waitcnt vmcnt(0) lgkmcnt(0)
	scratch_store_dwordx2 off, v[102:103], off offset:368
	flat_load_dwordx2 v[102:103], v[98:99]
	s_waitcnt vmcnt(0) lgkmcnt(0)
	scratch_store_dwordx2 off, v[102:103], off offset:376
	flat_load_dwordx2 v[102:103], v[100:101]
	s_waitcnt vmcnt(0) lgkmcnt(0)
	scratch_store_dwordx2 off, v[102:103], off offset:384
	v_mov_b64_e32 v[102:103], -1.0
	s_cbranch_scc1 .LBB112_3
; %bb.2:
	scratch_load_dwordx2 v[102:103], v18, off
	s_waitcnt vmcnt(0)
	v_div_scale_f64 v[104:105], s[0:1], v[102:103], v[102:103], 1.0
	v_rcp_f64_e32 v[106:107], v[104:105]
	v_div_scale_f64 v[108:109], vcc, 1.0, v[102:103], 1.0
	v_fma_f64 v[110:111], -v[104:105], v[106:107], 1.0
	v_fmac_f64_e32 v[106:107], v[106:107], v[110:111]
	v_fma_f64 v[110:111], -v[104:105], v[106:107], 1.0
	v_fmac_f64_e32 v[106:107], v[106:107], v[110:111]
	v_mul_f64 v[110:111], v[108:109], v[106:107]
	v_fma_f64 v[104:105], -v[104:105], v[110:111], v[108:109]
	v_div_fmas_f64 v[104:105], v[104:105], v[106:107], v[110:111]
	v_div_fixup_f64 v[102:103], v[104:105], v[102:103], 1.0
	scratch_store_dwordx2 v18, v[102:103], off
	v_xor_b32_e32 v103, 0x80000000, v103
.LBB112_3:
	s_cmpk_eq_i32 s4, 0x79
	v_add_u32_e32 v1, 0x190, v18
	v_mov_b32_e32 v19, v18
	s_mov_b64 s[0:1], -1
	ds_write_b64 v18, v[102:103]
	s_cbranch_scc1 .LBB112_477
; %bb.4:
	scratch_load_dwordx2 v[102:103], off, off offset:376
	s_movk_i32 s8, 0x48
	s_movk_i32 s9, 0x50
	;; [unrolled: 1-line block ×38, first 2 shown]
	v_cmp_eq_u32_e64 s[0:1], 48, v0
	s_waitcnt vmcnt(0)
	ds_write_b64 v1, v[102:103]
	s_waitcnt lgkmcnt(0)
	; wave barrier
	s_and_saveexec_b64 s[2:3], s[0:1]
	s_cbranch_execz .LBB112_10
; %bb.5:
	s_and_b64 vcc, exec, s[6:7]
	s_cbranch_vccz .LBB112_7
; %bb.6:
	scratch_load_dwordx2 v[102:103], v19, off
	ds_read_b64 v[104:105], v1
	s_waitcnt vmcnt(0) lgkmcnt(0)
	v_mul_f64 v[102:103], v[102:103], v[104:105]
	s_cbranch_execz .LBB112_8
	s_branch .LBB112_9
.LBB112_7:
                                        ; implicit-def: $vgpr102_vgpr103
.LBB112_8:
	ds_read_b64 v[102:103], v1
.LBB112_9:
	v_mov_b32_e32 v104, 0
	ds_read_b64 v[104:105], v104 offset:376
	s_waitcnt lgkmcnt(0)
	v_mul_f64 v[102:103], v[102:103], v[104:105]
	scratch_store_dwordx2 off, v[102:103], off offset:376
.LBB112_10:
	s_or_b64 exec, exec, s[2:3]
	scratch_load_dwordx2 v[102:103], off, off offset:368
	s_or_b32 s10, 0, 8
	s_mov_b32 s11, 16
	s_mov_b32 s12, 24
	;; [unrolled: 1-line block ×9, first 2 shown]
	v_cmp_lt_u32_e64 s[2:3], 46, v0
	s_waitcnt vmcnt(0)
	ds_write_b64 v1, v[102:103]
	s_waitcnt lgkmcnt(0)
	; wave barrier
	s_and_saveexec_b64 s[4:5], s[2:3]
	s_cbranch_execz .LBB112_16
; %bb.11:
	s_andn2_b64 vcc, exec, s[6:7]
	s_cbranch_vccnz .LBB112_13
; %bb.12:
	scratch_load_dwordx2 v[102:103], v19, off
	ds_read_b64 v[104:105], v1
	s_waitcnt vmcnt(0) lgkmcnt(0)
	v_mul_f64 v[102:103], v[102:103], v[104:105]
	s_cbranch_execz .LBB112_14
	s_branch .LBB112_15
.LBB112_13:
                                        ; implicit-def: $vgpr102_vgpr103
.LBB112_14:
	ds_read_b64 v[102:103], v1
.LBB112_15:
	scratch_load_dwordx2 v[108:109], off, off offset:376
	v_mov_b32_e32 v104, 0
	ds_read2_b64 v[104:107], v104 offset0:46 offset1:97
	s_waitcnt vmcnt(0) lgkmcnt(0)
	v_fma_f64 v[106:107], v[108:109], v[106:107], v[102:103]
	v_cndmask_b32_e64 v103, v103, v107, s[0:1]
	v_cndmask_b32_e64 v102, v102, v106, s[0:1]
	v_mul_f64 v[102:103], v[102:103], v[104:105]
	scratch_store_dwordx2 off, v[102:103], off offset:368
.LBB112_16:
	s_or_b64 exec, exec, s[4:5]
	scratch_load_dwordx2 v[102:103], off, off offset:360
	v_cmp_lt_u32_e64 s[0:1], 45, v0
	s_waitcnt vmcnt(0)
	ds_write_b64 v1, v[102:103]
	s_waitcnt lgkmcnt(0)
	; wave barrier
	s_and_saveexec_b64 s[4:5], s[0:1]
	s_cbranch_execz .LBB112_26
; %bb.17:
	s_andn2_b64 vcc, exec, s[6:7]
	s_cbranch_vccnz .LBB112_19
; %bb.18:
	scratch_load_dwordx2 v[102:103], v19, off
	ds_read_b64 v[104:105], v1
	s_waitcnt vmcnt(0) lgkmcnt(0)
	v_mul_f64 v[102:103], v[102:103], v[104:105]
	s_cbranch_execz .LBB112_20
	s_branch .LBB112_21
.LBB112_19:
                                        ; implicit-def: $vgpr102_vgpr103
.LBB112_20:
	ds_read_b64 v[102:103], v1
.LBB112_21:
	s_and_saveexec_b64 s[8:9], s[2:3]
	s_cbranch_execz .LBB112_25
; %bb.22:
	v_subrev_u32_e32 v104, 46, v0
	s_movk_i32 s57, 0x300
	s_mov_b64 s[2:3], 0
.LBB112_23:                             ; =>This Inner Loop Header: Depth=1
	scratch_load_dwordx2 v[106:107], off, s56
	v_mov_b32_e32 v105, s57
	ds_read_b64 v[108:109], v105
	v_add_u32_e32 v104, -1, v104
	s_add_i32 s57, s57, 8
	s_add_i32 s56, s56, 8
	v_cmp_eq_u32_e32 vcc, 0, v104
	s_or_b64 s[2:3], vcc, s[2:3]
	s_waitcnt vmcnt(0) lgkmcnt(0)
	v_fmac_f64_e32 v[102:103], v[106:107], v[108:109]
	s_andn2_b64 exec, exec, s[2:3]
	s_cbranch_execnz .LBB112_23
; %bb.24:
	s_or_b64 exec, exec, s[2:3]
.LBB112_25:
	s_or_b64 exec, exec, s[8:9]
	v_mov_b32_e32 v104, 0
	ds_read_b64 v[104:105], v104 offset:360
	s_waitcnt lgkmcnt(0)
	v_mul_f64 v[102:103], v[102:103], v[104:105]
	scratch_store_dwordx2 off, v[102:103], off offset:360
.LBB112_26:
	s_or_b64 exec, exec, s[4:5]
	scratch_load_dwordx2 v[102:103], off, off offset:352
	v_cmp_lt_u32_e64 s[2:3], 44, v0
	s_waitcnt vmcnt(0)
	ds_write_b64 v1, v[102:103]
	s_waitcnt lgkmcnt(0)
	; wave barrier
	s_and_saveexec_b64 s[4:5], s[2:3]
	s_cbranch_execz .LBB112_36
; %bb.27:
	s_andn2_b64 vcc, exec, s[6:7]
	s_cbranch_vccnz .LBB112_29
; %bb.28:
	scratch_load_dwordx2 v[102:103], v19, off
	ds_read_b64 v[104:105], v1
	s_waitcnt vmcnt(0) lgkmcnt(0)
	v_mul_f64 v[102:103], v[102:103], v[104:105]
	s_cbranch_execz .LBB112_30
	s_branch .LBB112_31
.LBB112_29:
                                        ; implicit-def: $vgpr102_vgpr103
.LBB112_30:
	ds_read_b64 v[102:103], v1
.LBB112_31:
	s_and_saveexec_b64 s[8:9], s[0:1]
	s_cbranch_execz .LBB112_35
; %bb.32:
	v_subrev_u32_e32 v104, 45, v0
	s_movk_i32 s56, 0x2f8
	s_mov_b64 s[0:1], 0
.LBB112_33:                             ; =>This Inner Loop Header: Depth=1
	scratch_load_dwordx2 v[106:107], off, s55
	v_mov_b32_e32 v105, s56
	ds_read_b64 v[108:109], v105
	v_add_u32_e32 v104, -1, v104
	s_add_i32 s56, s56, 8
	s_add_i32 s55, s55, 8
	v_cmp_eq_u32_e32 vcc, 0, v104
	s_or_b64 s[0:1], vcc, s[0:1]
	s_waitcnt vmcnt(0) lgkmcnt(0)
	v_fmac_f64_e32 v[102:103], v[106:107], v[108:109]
	s_andn2_b64 exec, exec, s[0:1]
	s_cbranch_execnz .LBB112_33
; %bb.34:
	s_or_b64 exec, exec, s[0:1]
.LBB112_35:
	s_or_b64 exec, exec, s[8:9]
	v_mov_b32_e32 v104, 0
	ds_read_b64 v[104:105], v104 offset:352
	s_waitcnt lgkmcnt(0)
	v_mul_f64 v[102:103], v[102:103], v[104:105]
	scratch_store_dwordx2 off, v[102:103], off offset:352
.LBB112_36:
	;; [unrolled: 53-line block ×8, first 2 shown]
	s_or_b64 exec, exec, s[4:5]
	scratch_load_dwordx2 v[102:103], off, off offset:296
	v_cmp_lt_u32_e64 s[0:1], 37, v0
	s_waitcnt vmcnt(0)
	ds_write_b64 v1, v[102:103]
	s_waitcnt lgkmcnt(0)
	; wave barrier
	s_and_saveexec_b64 s[4:5], s[0:1]
	s_cbranch_execz .LBB112_106
; %bb.97:
	s_andn2_b64 vcc, exec, s[6:7]
	s_cbranch_vccnz .LBB112_99
; %bb.98:
	scratch_load_dwordx2 v[102:103], v19, off
	ds_read_b64 v[104:105], v1
	s_waitcnt vmcnt(0) lgkmcnt(0)
	v_mul_f64 v[102:103], v[102:103], v[104:105]
	s_cbranch_execz .LBB112_100
	s_branch .LBB112_101
.LBB112_99:
                                        ; implicit-def: $vgpr102_vgpr103
.LBB112_100:
	ds_read_b64 v[102:103], v1
.LBB112_101:
	s_and_saveexec_b64 s[8:9], s[2:3]
	s_cbranch_execz .LBB112_105
; %bb.102:
	v_subrev_u32_e32 v104, 38, v0
	s_movk_i32 s49, 0x2c0
	s_mov_b64 s[2:3], 0
.LBB112_103:                            ; =>This Inner Loop Header: Depth=1
	scratch_load_dwordx2 v[106:107], off, s48
	v_mov_b32_e32 v105, s49
	ds_read_b64 v[108:109], v105
	v_add_u32_e32 v104, -1, v104
	s_add_i32 s49, s49, 8
	s_add_i32 s48, s48, 8
	v_cmp_eq_u32_e32 vcc, 0, v104
	s_or_b64 s[2:3], vcc, s[2:3]
	s_waitcnt vmcnt(0) lgkmcnt(0)
	v_fmac_f64_e32 v[102:103], v[106:107], v[108:109]
	s_andn2_b64 exec, exec, s[2:3]
	s_cbranch_execnz .LBB112_103
; %bb.104:
	s_or_b64 exec, exec, s[2:3]
.LBB112_105:
	s_or_b64 exec, exec, s[8:9]
	v_mov_b32_e32 v104, 0
	ds_read_b64 v[104:105], v104 offset:296
	s_waitcnt lgkmcnt(0)
	v_mul_f64 v[102:103], v[102:103], v[104:105]
	scratch_store_dwordx2 off, v[102:103], off offset:296
.LBB112_106:
	s_or_b64 exec, exec, s[4:5]
	scratch_load_dwordx2 v[102:103], off, off offset:288
	v_cmp_lt_u32_e64 s[2:3], 36, v0
	s_waitcnt vmcnt(0)
	ds_write_b64 v1, v[102:103]
	s_waitcnt lgkmcnt(0)
	; wave barrier
	s_and_saveexec_b64 s[4:5], s[2:3]
	s_cbranch_execz .LBB112_116
; %bb.107:
	s_andn2_b64 vcc, exec, s[6:7]
	s_cbranch_vccnz .LBB112_109
; %bb.108:
	scratch_load_dwordx2 v[102:103], v19, off
	ds_read_b64 v[104:105], v1
	s_waitcnt vmcnt(0) lgkmcnt(0)
	v_mul_f64 v[102:103], v[102:103], v[104:105]
	s_cbranch_execz .LBB112_110
	s_branch .LBB112_111
.LBB112_109:
                                        ; implicit-def: $vgpr102_vgpr103
.LBB112_110:
	ds_read_b64 v[102:103], v1
.LBB112_111:
	s_and_saveexec_b64 s[8:9], s[0:1]
	s_cbranch_execz .LBB112_115
; %bb.112:
	v_subrev_u32_e32 v104, 37, v0
	s_movk_i32 s48, 0x2b8
	s_mov_b64 s[0:1], 0
.LBB112_113:                            ; =>This Inner Loop Header: Depth=1
	scratch_load_dwordx2 v[106:107], off, s47
	v_mov_b32_e32 v105, s48
	ds_read_b64 v[108:109], v105
	v_add_u32_e32 v104, -1, v104
	s_add_i32 s48, s48, 8
	s_add_i32 s47, s47, 8
	v_cmp_eq_u32_e32 vcc, 0, v104
	s_or_b64 s[0:1], vcc, s[0:1]
	s_waitcnt vmcnt(0) lgkmcnt(0)
	v_fmac_f64_e32 v[102:103], v[106:107], v[108:109]
	s_andn2_b64 exec, exec, s[0:1]
	s_cbranch_execnz .LBB112_113
; %bb.114:
	s_or_b64 exec, exec, s[0:1]
.LBB112_115:
	s_or_b64 exec, exec, s[8:9]
	v_mov_b32_e32 v104, 0
	ds_read_b64 v[104:105], v104 offset:288
	s_waitcnt lgkmcnt(0)
	v_mul_f64 v[102:103], v[102:103], v[104:105]
	scratch_store_dwordx2 off, v[102:103], off offset:288
.LBB112_116:
	;; [unrolled: 53-line block ×22, first 2 shown]
	s_or_b64 exec, exec, s[4:5]
	scratch_load_dwordx2 v[102:103], off, off offset:120
	v_cmp_lt_u32_e64 s[0:1], 15, v0
	s_waitcnt vmcnt(0)
	ds_write_b64 v1, v[102:103]
	s_waitcnt lgkmcnt(0)
	; wave barrier
	s_and_saveexec_b64 s[4:5], s[0:1]
	s_cbranch_execz .LBB112_326
; %bb.317:
	s_andn2_b64 vcc, exec, s[6:7]
	s_cbranch_vccnz .LBB112_319
; %bb.318:
	scratch_load_dwordx2 v[102:103], v19, off
	ds_read_b64 v[104:105], v1
	s_waitcnt vmcnt(0) lgkmcnt(0)
	v_mul_f64 v[102:103], v[102:103], v[104:105]
	s_cbranch_execz .LBB112_320
	s_branch .LBB112_321
.LBB112_319:
                                        ; implicit-def: $vgpr102_vgpr103
.LBB112_320:
	ds_read_b64 v[102:103], v1
.LBB112_321:
	s_and_saveexec_b64 s[8:9], s[2:3]
	s_cbranch_execz .LBB112_325
; %bb.322:
	v_add_u32_e32 v104, -16, v0
	s_movk_i32 s26, 0x210
	s_mov_b64 s[2:3], 0
.LBB112_323:                            ; =>This Inner Loop Header: Depth=1
	scratch_load_dwordx2 v[106:107], off, s25
	v_mov_b32_e32 v105, s26
	ds_read_b64 v[108:109], v105
	v_add_u32_e32 v104, -1, v104
	s_add_i32 s26, s26, 8
	s_add_i32 s25, s25, 8
	v_cmp_eq_u32_e32 vcc, 0, v104
	s_or_b64 s[2:3], vcc, s[2:3]
	s_waitcnt vmcnt(0) lgkmcnt(0)
	v_fmac_f64_e32 v[102:103], v[106:107], v[108:109]
	s_andn2_b64 exec, exec, s[2:3]
	s_cbranch_execnz .LBB112_323
; %bb.324:
	s_or_b64 exec, exec, s[2:3]
.LBB112_325:
	s_or_b64 exec, exec, s[8:9]
	v_mov_b32_e32 v104, 0
	ds_read_b64 v[104:105], v104 offset:120
	s_waitcnt lgkmcnt(0)
	v_mul_f64 v[102:103], v[102:103], v[104:105]
	scratch_store_dwordx2 off, v[102:103], off offset:120
.LBB112_326:
	s_or_b64 exec, exec, s[4:5]
	scratch_load_dwordx2 v[102:103], off, off offset:112
	v_cmp_lt_u32_e64 s[2:3], 14, v0
	s_waitcnt vmcnt(0)
	ds_write_b64 v1, v[102:103]
	s_waitcnt lgkmcnt(0)
	; wave barrier
	s_and_saveexec_b64 s[4:5], s[2:3]
	s_cbranch_execz .LBB112_336
; %bb.327:
	s_andn2_b64 vcc, exec, s[6:7]
	s_cbranch_vccnz .LBB112_329
; %bb.328:
	scratch_load_dwordx2 v[102:103], v19, off
	ds_read_b64 v[104:105], v1
	s_waitcnt vmcnt(0) lgkmcnt(0)
	v_mul_f64 v[102:103], v[102:103], v[104:105]
	s_cbranch_execz .LBB112_330
	s_branch .LBB112_331
.LBB112_329:
                                        ; implicit-def: $vgpr102_vgpr103
.LBB112_330:
	ds_read_b64 v[102:103], v1
.LBB112_331:
	s_and_saveexec_b64 s[8:9], s[0:1]
	s_cbranch_execz .LBB112_335
; %bb.332:
	v_add_u32_e32 v104, -15, v0
	s_movk_i32 s25, 0x208
	s_mov_b64 s[0:1], 0
.LBB112_333:                            ; =>This Inner Loop Header: Depth=1
	scratch_load_dwordx2 v[106:107], off, s24
	v_mov_b32_e32 v105, s25
	ds_read_b64 v[108:109], v105
	v_add_u32_e32 v104, -1, v104
	s_add_i32 s25, s25, 8
	s_add_i32 s24, s24, 8
	v_cmp_eq_u32_e32 vcc, 0, v104
	s_or_b64 s[0:1], vcc, s[0:1]
	s_waitcnt vmcnt(0) lgkmcnt(0)
	v_fmac_f64_e32 v[102:103], v[106:107], v[108:109]
	s_andn2_b64 exec, exec, s[0:1]
	s_cbranch_execnz .LBB112_333
; %bb.334:
	s_or_b64 exec, exec, s[0:1]
.LBB112_335:
	s_or_b64 exec, exec, s[8:9]
	v_mov_b32_e32 v104, 0
	ds_read_b64 v[104:105], v104 offset:112
	s_waitcnt lgkmcnt(0)
	v_mul_f64 v[102:103], v[102:103], v[104:105]
	scratch_store_dwordx2 off, v[102:103], off offset:112
.LBB112_336:
	;; [unrolled: 53-line block ×15, first 2 shown]
	s_or_b64 exec, exec, s[4:5]
	scratch_load_dwordx2 v[102:103], off, off
	v_cmp_ne_u32_e32 vcc, 0, v0
	s_waitcnt vmcnt(0)
	ds_write_b64 v1, v[102:103]
	s_waitcnt lgkmcnt(0)
	; wave barrier
	s_and_saveexec_b64 s[2:3], vcc
	s_cbranch_execz .LBB112_476
; %bb.467:
	s_andn2_b64 vcc, exec, s[6:7]
	s_cbranch_vccnz .LBB112_469
; %bb.468:
	scratch_load_dwordx2 v[102:103], v19, off
	ds_read_b64 v[104:105], v1
	s_waitcnt vmcnt(0) lgkmcnt(0)
	v_mul_f64 v[102:103], v[102:103], v[104:105]
	s_cbranch_execz .LBB112_470
	s_branch .LBB112_471
.LBB112_469:
                                        ; implicit-def: $vgpr102_vgpr103
.LBB112_470:
	ds_read_b64 v[102:103], v1
.LBB112_471:
	s_and_saveexec_b64 s[4:5], s[0:1]
	s_cbranch_execz .LBB112_475
; %bb.472:
	v_add_u32_e32 v104, -1, v0
	s_movk_i32 s8, 0x198
	s_mov_b64 s[0:1], 0
.LBB112_473:                            ; =>This Inner Loop Header: Depth=1
	scratch_load_dwordx2 v[106:107], off, s10
	v_mov_b32_e32 v105, s8
	ds_read_b64 v[108:109], v105
	v_add_u32_e32 v104, -1, v104
	s_add_i32 s8, s8, 8
	s_add_i32 s10, s10, 8
	v_cmp_eq_u32_e32 vcc, 0, v104
	s_or_b64 s[0:1], vcc, s[0:1]
	s_waitcnt vmcnt(0) lgkmcnt(0)
	v_fmac_f64_e32 v[102:103], v[106:107], v[108:109]
	s_andn2_b64 exec, exec, s[0:1]
	s_cbranch_execnz .LBB112_473
; %bb.474:
	s_or_b64 exec, exec, s[0:1]
.LBB112_475:
	s_or_b64 exec, exec, s[4:5]
	v_mov_b32_e32 v104, 0
	ds_read_b64 v[104:105], v104
	s_waitcnt lgkmcnt(0)
	v_mul_f64 v[102:103], v[102:103], v[104:105]
	scratch_store_dwordx2 off, v[102:103], off
.LBB112_476:
	s_or_b64 exec, exec, s[2:3]
	s_mov_b64 s[0:1], 0
.LBB112_477:
	s_and_b64 vcc, exec, s[0:1]
	s_cbranch_vccz .LBB112_949
; %bb.478:
	scratch_load_dwordx2 v[102:103], off, off offset:8
	v_cmp_eq_u32_e64 s[2:3], 0, v0
	s_waitcnt vmcnt(0)
	ds_write_b64 v1, v[102:103]
	s_waitcnt lgkmcnt(0)
	; wave barrier
	s_and_saveexec_b64 s[0:1], s[2:3]
	s_cbranch_execz .LBB112_484
; %bb.479:
	s_and_b64 vcc, exec, s[6:7]
	s_cbranch_vccz .LBB112_481
; %bb.480:
	scratch_load_dwordx2 v[102:103], v19, off
	ds_read_b64 v[104:105], v1
	s_waitcnt vmcnt(0) lgkmcnt(0)
	v_mul_f64 v[102:103], v[102:103], v[104:105]
	s_cbranch_execz .LBB112_482
	s_branch .LBB112_483
.LBB112_481:
                                        ; implicit-def: $vgpr102_vgpr103
.LBB112_482:
	ds_read_b64 v[102:103], v1
.LBB112_483:
	v_mov_b32_e32 v104, 0
	ds_read_b64 v[104:105], v104 offset:8
	s_waitcnt lgkmcnt(0)
	v_mul_f64 v[102:103], v[102:103], v[104:105]
	scratch_store_dwordx2 off, v[102:103], off offset:8
.LBB112_484:
	s_or_b64 exec, exec, s[0:1]
	scratch_load_dwordx2 v[102:103], off, off offset:16
	v_cndmask_b32_e64 v104, 0, 1, s[6:7]
	v_cmp_gt_u32_e32 vcc, 2, v0
	v_cmp_ne_u32_e64 s[0:1], 1, v104
	s_waitcnt vmcnt(0)
	ds_write_b64 v1, v[102:103]
	s_waitcnt lgkmcnt(0)
	; wave barrier
	s_and_saveexec_b64 s[4:5], vcc
	s_cbranch_execz .LBB112_490
; %bb.485:
	s_and_b64 vcc, exec, s[0:1]
	s_cbranch_vccnz .LBB112_487
; %bb.486:
	scratch_load_dwordx2 v[102:103], v19, off
	ds_read_b64 v[104:105], v1
	s_waitcnt vmcnt(0) lgkmcnt(0)
	v_mul_f64 v[102:103], v[102:103], v[104:105]
	s_cbranch_execz .LBB112_488
	s_branch .LBB112_489
.LBB112_487:
                                        ; implicit-def: $vgpr102_vgpr103
.LBB112_488:
	ds_read_b64 v[102:103], v1
.LBB112_489:
	scratch_load_dwordx2 v[108:109], off, off offset:8
	v_mov_b32_e32 v104, 0
	ds_read2_b64 v[104:107], v104 offset0:2 offset1:51
	s_waitcnt vmcnt(0) lgkmcnt(0)
	v_fma_f64 v[106:107], v[108:109], v[106:107], v[102:103]
	v_cndmask_b32_e64 v103, v103, v107, s[2:3]
	v_cndmask_b32_e64 v102, v102, v106, s[2:3]
	v_mul_f64 v[102:103], v[102:103], v[104:105]
	scratch_store_dwordx2 off, v[102:103], off offset:16
.LBB112_490:
	s_or_b64 exec, exec, s[4:5]
	scratch_load_dwordx2 v[102:103], off, off offset:24
	v_cmp_gt_u32_e32 vcc, 3, v0
	s_waitcnt vmcnt(0)
	ds_write_b64 v1, v[102:103]
	s_waitcnt lgkmcnt(0)
	; wave barrier
	s_and_saveexec_b64 s[4:5], vcc
	s_cbranch_execz .LBB112_498
; %bb.491:
	s_and_b64 vcc, exec, s[0:1]
	s_cbranch_vccnz .LBB112_493
; %bb.492:
	scratch_load_dwordx2 v[102:103], v19, off
	ds_read_b64 v[104:105], v1
	s_waitcnt vmcnt(0) lgkmcnt(0)
	v_mul_f64 v[102:103], v[102:103], v[104:105]
	s_cbranch_execz .LBB112_494
	s_branch .LBB112_495
.LBB112_493:
                                        ; implicit-def: $vgpr102_vgpr103
.LBB112_494:
	ds_read_b64 v[102:103], v1
.LBB112_495:
	v_cmp_ne_u32_e32 vcc, 2, v0
	s_and_saveexec_b64 s[6:7], vcc
	s_cbranch_execz .LBB112_497
; %bb.496:
	scratch_load_dwordx2 v[104:105], v19, off offset:8
	scratch_load_dwordx2 v[106:107], off, off offset:16
	ds_read_b64 v[108:109], v1 offset:8
	v_mov_b32_e32 v110, 0
	ds_read_b64 v[110:111], v110 offset:416
	s_waitcnt vmcnt(1) lgkmcnt(1)
	v_fmac_f64_e32 v[102:103], v[104:105], v[108:109]
	s_waitcnt vmcnt(0) lgkmcnt(0)
	v_fma_f64 v[104:105], v[106:107], v[110:111], v[102:103]
	v_cndmask_b32_e64 v103, v103, v105, s[2:3]
	v_cndmask_b32_e64 v102, v102, v104, s[2:3]
.LBB112_497:
	s_or_b64 exec, exec, s[6:7]
	v_mov_b32_e32 v104, 0
	ds_read_b64 v[104:105], v104 offset:24
	s_waitcnt lgkmcnt(0)
	v_mul_f64 v[102:103], v[102:103], v[104:105]
	scratch_store_dwordx2 off, v[102:103], off offset:24
.LBB112_498:
	s_or_b64 exec, exec, s[4:5]
	scratch_load_dwordx2 v[102:103], off, off offset:32
	v_cmp_gt_u32_e32 vcc, 4, v0
	s_waitcnt vmcnt(0)
	ds_write_b64 v1, v[102:103]
	s_waitcnt lgkmcnt(0)
	; wave barrier
	s_and_saveexec_b64 s[2:3], vcc
	s_cbranch_execz .LBB112_508
; %bb.499:
	s_and_b64 vcc, exec, s[0:1]
	s_cbranch_vccnz .LBB112_501
; %bb.500:
	scratch_load_dwordx2 v[102:103], v19, off
	ds_read_b64 v[104:105], v1
	s_waitcnt vmcnt(0) lgkmcnt(0)
	v_mul_f64 v[102:103], v[102:103], v[104:105]
	s_cbranch_execz .LBB112_502
	s_branch .LBB112_503
.LBB112_501:
                                        ; implicit-def: $vgpr102_vgpr103
.LBB112_502:
	ds_read_b64 v[102:103], v1
.LBB112_503:
	v_cmp_ne_u32_e32 vcc, 3, v0
	s_and_saveexec_b64 s[4:5], vcc
	s_cbranch_execz .LBB112_507
; %bb.504:
	s_mov_b32 s6, 0
	v_add_u32_e32 v104, 0x198, v18
	v_add3_u32 v105, v18, s6, 8
	s_mov_b64 s[6:7], 0
	v_mov_b32_e32 v106, v0
.LBB112_505:                            ; =>This Inner Loop Header: Depth=1
	scratch_load_dwordx2 v[108:109], v105, off
	ds_read_b64 v[110:111], v104
	v_add_u32_e32 v106, 1, v106
	v_cmp_lt_u32_e32 vcc, 2, v106
	v_add_u32_e32 v104, 8, v104
	v_add_u32_e32 v105, 8, v105
	s_or_b64 s[6:7], vcc, s[6:7]
	s_waitcnt vmcnt(0) lgkmcnt(0)
	v_fmac_f64_e32 v[102:103], v[108:109], v[110:111]
	s_andn2_b64 exec, exec, s[6:7]
	s_cbranch_execnz .LBB112_505
; %bb.506:
	s_or_b64 exec, exec, s[6:7]
.LBB112_507:
	s_or_b64 exec, exec, s[4:5]
	v_mov_b32_e32 v104, 0
	ds_read_b64 v[104:105], v104 offset:32
	s_waitcnt lgkmcnt(0)
	v_mul_f64 v[102:103], v[102:103], v[104:105]
	scratch_store_dwordx2 off, v[102:103], off offset:32
.LBB112_508:
	s_or_b64 exec, exec, s[2:3]
	scratch_load_dwordx2 v[102:103], off, off offset:40
	v_cmp_gt_u32_e32 vcc, 5, v0
	s_waitcnt vmcnt(0)
	ds_write_b64 v1, v[102:103]
	s_waitcnt lgkmcnt(0)
	; wave barrier
	s_and_saveexec_b64 s[2:3], vcc
	s_cbranch_execz .LBB112_518
; %bb.509:
	s_and_b64 vcc, exec, s[0:1]
	s_cbranch_vccnz .LBB112_511
; %bb.510:
	scratch_load_dwordx2 v[102:103], v19, off
	ds_read_b64 v[104:105], v1
	s_waitcnt vmcnt(0) lgkmcnt(0)
	v_mul_f64 v[102:103], v[102:103], v[104:105]
	s_cbranch_execz .LBB112_512
	s_branch .LBB112_513
.LBB112_511:
                                        ; implicit-def: $vgpr102_vgpr103
.LBB112_512:
	ds_read_b64 v[102:103], v1
.LBB112_513:
	v_cmp_ne_u32_e32 vcc, 4, v0
	s_and_saveexec_b64 s[4:5], vcc
	s_cbranch_execz .LBB112_517
; %bb.514:
	s_mov_b32 s6, 0
	v_add_u32_e32 v104, 0x198, v18
	v_add3_u32 v105, v18, s6, 8
	s_mov_b64 s[6:7], 0
	v_mov_b32_e32 v106, v0
.LBB112_515:                            ; =>This Inner Loop Header: Depth=1
	scratch_load_dwordx2 v[108:109], v105, off
	ds_read_b64 v[110:111], v104
	v_add_u32_e32 v106, 1, v106
	v_cmp_lt_u32_e32 vcc, 3, v106
	v_add_u32_e32 v104, 8, v104
	v_add_u32_e32 v105, 8, v105
	s_or_b64 s[6:7], vcc, s[6:7]
	s_waitcnt vmcnt(0) lgkmcnt(0)
	v_fmac_f64_e32 v[102:103], v[108:109], v[110:111]
	s_andn2_b64 exec, exec, s[6:7]
	s_cbranch_execnz .LBB112_515
; %bb.516:
	s_or_b64 exec, exec, s[6:7]
.LBB112_517:
	s_or_b64 exec, exec, s[4:5]
	v_mov_b32_e32 v104, 0
	ds_read_b64 v[104:105], v104 offset:40
	s_waitcnt lgkmcnt(0)
	v_mul_f64 v[102:103], v[102:103], v[104:105]
	scratch_store_dwordx2 off, v[102:103], off offset:40
.LBB112_518:
	;; [unrolled: 55-line block ×43, first 2 shown]
	s_or_b64 exec, exec, s[2:3]
	scratch_load_dwordx2 v[102:103], off, off offset:376
	v_cmp_gt_u32_e64 s[2:3], 47, v0
	s_waitcnt vmcnt(0)
	ds_write_b64 v1, v[102:103]
	s_waitcnt lgkmcnt(0)
	; wave barrier
	s_and_saveexec_b64 s[4:5], s[2:3]
	s_cbranch_execz .LBB112_938
; %bb.929:
	s_and_b64 vcc, exec, s[0:1]
	s_cbranch_vccnz .LBB112_931
; %bb.930:
	scratch_load_dwordx2 v[102:103], v19, off
	ds_read_b64 v[104:105], v1
	s_waitcnt vmcnt(0) lgkmcnt(0)
	v_mul_f64 v[102:103], v[102:103], v[104:105]
	s_cbranch_execz .LBB112_932
	s_branch .LBB112_933
.LBB112_931:
                                        ; implicit-def: $vgpr102_vgpr103
.LBB112_932:
	ds_read_b64 v[102:103], v1
.LBB112_933:
	v_cmp_ne_u32_e32 vcc, 46, v0
	s_and_saveexec_b64 s[6:7], vcc
	s_cbranch_execz .LBB112_937
; %bb.934:
	s_mov_b32 s8, 0
	v_add_u32_e32 v104, 0x198, v18
	v_add3_u32 v105, v18, s8, 8
	s_mov_b64 s[8:9], 0
	v_mov_b32_e32 v106, v0
.LBB112_935:                            ; =>This Inner Loop Header: Depth=1
	scratch_load_dwordx2 v[108:109], v105, off
	ds_read_b64 v[110:111], v104
	v_add_u32_e32 v106, 1, v106
	v_cmp_lt_u32_e32 vcc, 45, v106
	v_add_u32_e32 v104, 8, v104
	v_add_u32_e32 v105, 8, v105
	s_or_b64 s[8:9], vcc, s[8:9]
	s_waitcnt vmcnt(0) lgkmcnt(0)
	v_fmac_f64_e32 v[102:103], v[108:109], v[110:111]
	s_andn2_b64 exec, exec, s[8:9]
	s_cbranch_execnz .LBB112_935
; %bb.936:
	s_or_b64 exec, exec, s[8:9]
.LBB112_937:
	s_or_b64 exec, exec, s[6:7]
	v_mov_b32_e32 v104, 0
	ds_read_b64 v[104:105], v104 offset:376
	s_waitcnt lgkmcnt(0)
	v_mul_f64 v[102:103], v[102:103], v[104:105]
	scratch_store_dwordx2 off, v[102:103], off offset:376
.LBB112_938:
	s_or_b64 exec, exec, s[4:5]
	scratch_load_dwordx2 v[102:103], off, off offset:384
	v_cmp_ne_u32_e32 vcc, 48, v0
	s_waitcnt vmcnt(0)
	ds_write_b64 v1, v[102:103]
	s_waitcnt lgkmcnt(0)
	; wave barrier
	s_and_saveexec_b64 s[4:5], vcc
	s_cbranch_execz .LBB112_948
; %bb.939:
	s_and_b64 vcc, exec, s[0:1]
	s_cbranch_vccnz .LBB112_941
; %bb.940:
	scratch_load_dwordx2 v[102:103], v19, off
	ds_read_b64 v[104:105], v1
	s_waitcnt vmcnt(0) lgkmcnt(0)
	v_mul_f64 v[102:103], v[102:103], v[104:105]
	s_cbranch_execz .LBB112_942
	s_branch .LBB112_943
.LBB112_941:
                                        ; implicit-def: $vgpr102_vgpr103
.LBB112_942:
	ds_read_b64 v[102:103], v1
.LBB112_943:
	s_and_saveexec_b64 s[0:1], s[2:3]
	s_cbranch_execz .LBB112_947
; %bb.944:
	s_mov_b32 s2, 0
	v_add_u32_e32 v1, 0x198, v18
	v_add3_u32 v18, v18, s2, 8
	s_mov_b64 s[2:3], 0
.LBB112_945:                            ; =>This Inner Loop Header: Depth=1
	scratch_load_dwordx2 v[104:105], v18, off
	ds_read_b64 v[106:107], v1
	v_add_u32_e32 v0, 1, v0
	v_cmp_lt_u32_e32 vcc, 46, v0
	v_add_u32_e32 v1, 8, v1
	v_add_u32_e32 v18, 8, v18
	s_or_b64 s[2:3], vcc, s[2:3]
	s_waitcnt vmcnt(0) lgkmcnt(0)
	v_fmac_f64_e32 v[102:103], v[104:105], v[106:107]
	s_andn2_b64 exec, exec, s[2:3]
	s_cbranch_execnz .LBB112_945
; %bb.946:
	s_or_b64 exec, exec, s[2:3]
.LBB112_947:
	s_or_b64 exec, exec, s[0:1]
	v_mov_b32_e32 v0, 0
	ds_read_b64 v[0:1], v0 offset:384
	s_waitcnt lgkmcnt(0)
	v_mul_f64 v[0:1], v[102:103], v[0:1]
	scratch_store_dwordx2 off, v[0:1], off offset:384
.LBB112_948:
	s_or_b64 exec, exec, s[4:5]
.LBB112_949:
	scratch_load_dwordx2 v[0:1], off, off
	s_waitcnt vmcnt(0)
	flat_store_dwordx2 v[2:3], v[0:1]
	scratch_load_dwordx2 v[0:1], off, off offset:8
	s_waitcnt vmcnt(0)
	flat_store_dwordx2 v[4:5], v[0:1]
	scratch_load_dwordx2 v[0:1], off, off offset:16
	;; [unrolled: 3-line block ×48, first 2 shown]
	s_waitcnt vmcnt(0)
	flat_store_dwordx2 v[100:101], v[0:1]
.LBB112_950:
	s_endpgm
	.section	.rodata,"a",@progbits
	.p2align	6, 0x0
	.amdhsa_kernel _ZN9rocsolver6v33100L18trti2_kernel_smallILi49EdPKPdEEv13rocblas_fill_17rocblas_diagonal_T1_iil
		.amdhsa_group_segment_fixed_size 792
		.amdhsa_private_segment_fixed_size 400
		.amdhsa_kernarg_size 32
		.amdhsa_user_sgpr_count 2
		.amdhsa_user_sgpr_dispatch_ptr 0
		.amdhsa_user_sgpr_queue_ptr 0
		.amdhsa_user_sgpr_kernarg_segment_ptr 1
		.amdhsa_user_sgpr_dispatch_id 0
		.amdhsa_user_sgpr_kernarg_preload_length 0
		.amdhsa_user_sgpr_kernarg_preload_offset 0
		.amdhsa_user_sgpr_private_segment_size 0
		.amdhsa_uses_dynamic_stack 0
		.amdhsa_enable_private_segment 1
		.amdhsa_system_sgpr_workgroup_id_x 1
		.amdhsa_system_sgpr_workgroup_id_y 0
		.amdhsa_system_sgpr_workgroup_id_z 0
		.amdhsa_system_sgpr_workgroup_info 0
		.amdhsa_system_vgpr_workitem_id 0
		.amdhsa_next_free_vgpr 112
		.amdhsa_next_free_sgpr 58
		.amdhsa_accum_offset 112
		.amdhsa_reserve_vcc 1
		.amdhsa_float_round_mode_32 0
		.amdhsa_float_round_mode_16_64 0
		.amdhsa_float_denorm_mode_32 3
		.amdhsa_float_denorm_mode_16_64 3
		.amdhsa_dx10_clamp 1
		.amdhsa_ieee_mode 1
		.amdhsa_fp16_overflow 0
		.amdhsa_tg_split 0
		.amdhsa_exception_fp_ieee_invalid_op 0
		.amdhsa_exception_fp_denorm_src 0
		.amdhsa_exception_fp_ieee_div_zero 0
		.amdhsa_exception_fp_ieee_overflow 0
		.amdhsa_exception_fp_ieee_underflow 0
		.amdhsa_exception_fp_ieee_inexact 0
		.amdhsa_exception_int_div_zero 0
	.end_amdhsa_kernel
	.section	.text._ZN9rocsolver6v33100L18trti2_kernel_smallILi49EdPKPdEEv13rocblas_fill_17rocblas_diagonal_T1_iil,"axG",@progbits,_ZN9rocsolver6v33100L18trti2_kernel_smallILi49EdPKPdEEv13rocblas_fill_17rocblas_diagonal_T1_iil,comdat
.Lfunc_end112:
	.size	_ZN9rocsolver6v33100L18trti2_kernel_smallILi49EdPKPdEEv13rocblas_fill_17rocblas_diagonal_T1_iil, .Lfunc_end112-_ZN9rocsolver6v33100L18trti2_kernel_smallILi49EdPKPdEEv13rocblas_fill_17rocblas_diagonal_T1_iil
                                        ; -- End function
	.set _ZN9rocsolver6v33100L18trti2_kernel_smallILi49EdPKPdEEv13rocblas_fill_17rocblas_diagonal_T1_iil.num_vgpr, 112
	.set _ZN9rocsolver6v33100L18trti2_kernel_smallILi49EdPKPdEEv13rocblas_fill_17rocblas_diagonal_T1_iil.num_agpr, 0
	.set _ZN9rocsolver6v33100L18trti2_kernel_smallILi49EdPKPdEEv13rocblas_fill_17rocblas_diagonal_T1_iil.numbered_sgpr, 58
	.set _ZN9rocsolver6v33100L18trti2_kernel_smallILi49EdPKPdEEv13rocblas_fill_17rocblas_diagonal_T1_iil.num_named_barrier, 0
	.set _ZN9rocsolver6v33100L18trti2_kernel_smallILi49EdPKPdEEv13rocblas_fill_17rocblas_diagonal_T1_iil.private_seg_size, 400
	.set _ZN9rocsolver6v33100L18trti2_kernel_smallILi49EdPKPdEEv13rocblas_fill_17rocblas_diagonal_T1_iil.uses_vcc, 1
	.set _ZN9rocsolver6v33100L18trti2_kernel_smallILi49EdPKPdEEv13rocblas_fill_17rocblas_diagonal_T1_iil.uses_flat_scratch, 0
	.set _ZN9rocsolver6v33100L18trti2_kernel_smallILi49EdPKPdEEv13rocblas_fill_17rocblas_diagonal_T1_iil.has_dyn_sized_stack, 0
	.set _ZN9rocsolver6v33100L18trti2_kernel_smallILi49EdPKPdEEv13rocblas_fill_17rocblas_diagonal_T1_iil.has_recursion, 0
	.set _ZN9rocsolver6v33100L18trti2_kernel_smallILi49EdPKPdEEv13rocblas_fill_17rocblas_diagonal_T1_iil.has_indirect_call, 0
	.section	.AMDGPU.csdata,"",@progbits
; Kernel info:
; codeLenInByte = 23816
; TotalNumSgprs: 64
; NumVgprs: 112
; NumAgprs: 0
; TotalNumVgprs: 112
; ScratchSize: 400
; MemoryBound: 0
; FloatMode: 240
; IeeeMode: 1
; LDSByteSize: 792 bytes/workgroup (compile time only)
; SGPRBlocks: 7
; VGPRBlocks: 13
; NumSGPRsForWavesPerEU: 64
; NumVGPRsForWavesPerEU: 112
; AccumOffset: 112
; Occupancy: 4
; WaveLimiterHint : 1
; COMPUTE_PGM_RSRC2:SCRATCH_EN: 1
; COMPUTE_PGM_RSRC2:USER_SGPR: 2
; COMPUTE_PGM_RSRC2:TRAP_HANDLER: 0
; COMPUTE_PGM_RSRC2:TGID_X_EN: 1
; COMPUTE_PGM_RSRC2:TGID_Y_EN: 0
; COMPUTE_PGM_RSRC2:TGID_Z_EN: 0
; COMPUTE_PGM_RSRC2:TIDIG_COMP_CNT: 0
; COMPUTE_PGM_RSRC3_GFX90A:ACCUM_OFFSET: 27
; COMPUTE_PGM_RSRC3_GFX90A:TG_SPLIT: 0
	.section	.text._ZN9rocsolver6v33100L18trti2_kernel_smallILi50EdPKPdEEv13rocblas_fill_17rocblas_diagonal_T1_iil,"axG",@progbits,_ZN9rocsolver6v33100L18trti2_kernel_smallILi50EdPKPdEEv13rocblas_fill_17rocblas_diagonal_T1_iil,comdat
	.globl	_ZN9rocsolver6v33100L18trti2_kernel_smallILi50EdPKPdEEv13rocblas_fill_17rocblas_diagonal_T1_iil ; -- Begin function _ZN9rocsolver6v33100L18trti2_kernel_smallILi50EdPKPdEEv13rocblas_fill_17rocblas_diagonal_T1_iil
	.p2align	8
	.type	_ZN9rocsolver6v33100L18trti2_kernel_smallILi50EdPKPdEEv13rocblas_fill_17rocblas_diagonal_T1_iil,@function
_ZN9rocsolver6v33100L18trti2_kernel_smallILi50EdPKPdEEv13rocblas_fill_17rocblas_diagonal_T1_iil: ; @_ZN9rocsolver6v33100L18trti2_kernel_smallILi50EdPKPdEEv13rocblas_fill_17rocblas_diagonal_T1_iil
; %bb.0:
	v_cmp_gt_u32_e32 vcc, 50, v0
	s_and_saveexec_b64 s[4:5], vcc
	s_cbranch_execz .LBB113_970
; %bb.1:
	s_load_dwordx2 s[8:9], s[0:1], 0x10
	s_load_dwordx4 s[4:7], s[0:1], 0x0
	s_ashr_i32 s3, s2, 31
	s_lshl_b64 s[0:1], s[2:3], 3
	v_lshlrev_b32_e32 v18, 3, v0
	s_waitcnt lgkmcnt(0)
	s_ashr_i32 s3, s8, 31
	s_add_u32 s0, s6, s0
	s_addc_u32 s1, s7, s1
	s_load_dwordx2 s[0:1], s[0:1], 0x0
	s_mov_b32 s2, s8
	s_lshl_b64 s[2:3], s[2:3], 3
	v_mov_b32_e32 v19, 0
	s_waitcnt lgkmcnt(0)
	s_add_u32 s0, s0, s2
	s_addc_u32 s1, s1, s3
	v_lshl_add_u64 v[2:3], s[0:1], 0, v[18:19]
	flat_load_dwordx2 v[6:7], v[2:3]
	s_mov_b32 s2, s9
	s_ashr_i32 s3, s9, 31
	v_lshl_add_u64 v[4:5], s[2:3], 3, v[2:3]
	s_add_i32 s2, s9, s9
	v_add_u32_e32 v10, s2, v0
	v_ashrrev_i32_e32 v11, 31, v10
	s_cmpk_lg_i32 s5, 0x84
	s_cselect_b64 s[6:7], -1, 0
	s_cmpk_eq_i32 s5, 0x84
	s_waitcnt vmcnt(0) lgkmcnt(0)
	scratch_store_dwordx2 off, v[6:7], off
	flat_load_dwordx2 v[8:9], v[4:5]
	v_lshl_add_u64 v[6:7], v[10:11], 3, s[0:1]
	v_add_u32_e32 v10, s9, v10
	v_ashrrev_i32_e32 v11, 31, v10
	v_add_u32_e32 v14, s9, v10
	v_ashrrev_i32_e32 v15, 31, v14
	s_waitcnt vmcnt(0) lgkmcnt(0)
	scratch_store_dwordx2 off, v[8:9], off offset:8
	flat_load_dwordx2 v[12:13], v[6:7]
	v_lshl_add_u64 v[8:9], v[10:11], 3, s[0:1]
	v_lshl_add_u64 v[10:11], v[14:15], 3, s[0:1]
	v_add_u32_e32 v14, s9, v14
	v_ashrrev_i32_e32 v15, 31, v14
	v_add_u32_e32 v20, s9, v14
	v_ashrrev_i32_e32 v21, 31, v20
	s_waitcnt vmcnt(0) lgkmcnt(0)
	scratch_store_dwordx2 off, v[12:13], off offset:16
	flat_load_dwordx2 v[12:13], v[8:9]
	s_waitcnt vmcnt(0) lgkmcnt(0)
	scratch_store_dwordx2 off, v[12:13], off offset:24
	flat_load_dwordx2 v[16:17], v[10:11]
	v_lshl_add_u64 v[12:13], v[14:15], 3, s[0:1]
	v_lshl_add_u64 v[14:15], v[20:21], 3, s[0:1]
	v_add_u32_e32 v20, s9, v20
	v_ashrrev_i32_e32 v21, 31, v20
	v_add_u32_e32 v24, s9, v20
	v_ashrrev_i32_e32 v25, 31, v24
	s_waitcnt vmcnt(0) lgkmcnt(0)
	scratch_store_dwordx2 off, v[16:17], off offset:32
	flat_load_dwordx2 v[16:17], v[12:13]
	;; [unrolled: 12-line block ×22, first 2 shown]
	s_waitcnt vmcnt(0) lgkmcnt(0)
	scratch_store_dwordx2 off, v[98:99], off offset:360
	flat_load_dwordx2 v[102:103], v[96:97]
	v_lshl_add_u64 v[98:99], v[100:101], 3, s[0:1]
	v_lshl_add_u64 v[100:101], v[104:105], 3, s[0:1]
	s_waitcnt vmcnt(0) lgkmcnt(0)
	scratch_store_dwordx2 off, v[102:103], off offset:368
	flat_load_dwordx2 v[102:103], v[98:99]
	s_waitcnt vmcnt(0) lgkmcnt(0)
	scratch_store_dwordx2 off, v[102:103], off offset:376
	flat_load_dwordx2 v[106:107], v[100:101]
	v_add_u32_e32 v102, s9, v104
	v_ashrrev_i32_e32 v103, 31, v102
	v_lshl_add_u64 v[102:103], v[102:103], 3, s[0:1]
	s_waitcnt vmcnt(0) lgkmcnt(0)
	scratch_store_dwordx2 off, v[106:107], off offset:384
	flat_load_dwordx2 v[104:105], v[102:103]
	s_waitcnt vmcnt(0) lgkmcnt(0)
	scratch_store_dwordx2 off, v[104:105], off offset:392
	v_mov_b64_e32 v[104:105], -1.0
	s_cbranch_scc1 .LBB113_3
; %bb.2:
	scratch_load_dwordx2 v[104:105], v18, off
	s_waitcnt vmcnt(0)
	v_div_scale_f64 v[106:107], s[0:1], v[104:105], v[104:105], 1.0
	v_rcp_f64_e32 v[108:109], v[106:107]
	v_div_scale_f64 v[110:111], vcc, 1.0, v[104:105], 1.0
	v_fma_f64 v[112:113], -v[106:107], v[108:109], 1.0
	v_fmac_f64_e32 v[108:109], v[108:109], v[112:113]
	v_fma_f64 v[112:113], -v[106:107], v[108:109], 1.0
	v_fmac_f64_e32 v[108:109], v[108:109], v[112:113]
	v_mul_f64 v[112:113], v[110:111], v[108:109]
	v_fma_f64 v[106:107], -v[106:107], v[112:113], v[110:111]
	v_div_fmas_f64 v[106:107], v[106:107], v[108:109], v[112:113]
	v_div_fixup_f64 v[104:105], v[106:107], v[104:105], 1.0
	scratch_store_dwordx2 v18, v[104:105], off
	v_xor_b32_e32 v105, 0x80000000, v105
.LBB113_3:
	s_cmpk_eq_i32 s4, 0x79
	v_add_u32_e32 v1, 0x190, v18
	v_mov_b32_e32 v19, v18
	s_mov_b64 s[0:1], -1
	ds_write_b64 v18, v[104:105]
	s_cbranch_scc1 .LBB113_487
; %bb.4:
	scratch_load_dwordx2 v[104:105], off, off offset:384
	s_movk_i32 s8, 0x48
	s_movk_i32 s9, 0x50
	;; [unrolled: 1-line block ×39, first 2 shown]
	v_cmp_eq_u32_e64 s[0:1], 49, v0
	s_waitcnt vmcnt(0)
	ds_write_b64 v1, v[104:105]
	s_waitcnt lgkmcnt(0)
	; wave barrier
	s_and_saveexec_b64 s[2:3], s[0:1]
	s_cbranch_execz .LBB113_10
; %bb.5:
	s_and_b64 vcc, exec, s[6:7]
	s_cbranch_vccz .LBB113_7
; %bb.6:
	scratch_load_dwordx2 v[104:105], v19, off
	ds_read_b64 v[106:107], v1
	s_waitcnt vmcnt(0) lgkmcnt(0)
	v_mul_f64 v[104:105], v[104:105], v[106:107]
	s_cbranch_execz .LBB113_8
	s_branch .LBB113_9
.LBB113_7:
                                        ; implicit-def: $vgpr104_vgpr105
.LBB113_8:
	ds_read_b64 v[104:105], v1
.LBB113_9:
	v_mov_b32_e32 v106, 0
	ds_read_b64 v[106:107], v106 offset:384
	s_waitcnt lgkmcnt(0)
	v_mul_f64 v[104:105], v[104:105], v[106:107]
	scratch_store_dwordx2 off, v[104:105], off offset:384
.LBB113_10:
	s_or_b64 exec, exec, s[2:3]
	scratch_load_dwordx2 v[104:105], off, off offset:376
	s_or_b32 s10, 0, 8
	s_mov_b32 s11, 16
	s_mov_b32 s12, 24
	;; [unrolled: 1-line block ×9, first 2 shown]
	v_cmp_lt_u32_e64 s[2:3], 47, v0
	s_waitcnt vmcnt(0)
	ds_write_b64 v1, v[104:105]
	s_waitcnt lgkmcnt(0)
	; wave barrier
	s_and_saveexec_b64 s[4:5], s[2:3]
	s_cbranch_execz .LBB113_16
; %bb.11:
	s_andn2_b64 vcc, exec, s[6:7]
	s_cbranch_vccnz .LBB113_13
; %bb.12:
	scratch_load_dwordx2 v[104:105], v19, off
	ds_read_b64 v[106:107], v1
	s_waitcnt vmcnt(0) lgkmcnt(0)
	v_mul_f64 v[104:105], v[104:105], v[106:107]
	s_cbranch_execz .LBB113_14
	s_branch .LBB113_15
.LBB113_13:
                                        ; implicit-def: $vgpr104_vgpr105
.LBB113_14:
	ds_read_b64 v[104:105], v1
.LBB113_15:
	scratch_load_dwordx2 v[110:111], off, off offset:384
	v_mov_b32_e32 v106, 0
	ds_read2_b64 v[106:109], v106 offset0:47 offset1:98
	s_waitcnt vmcnt(0) lgkmcnt(0)
	v_fma_f64 v[108:109], v[110:111], v[108:109], v[104:105]
	v_cndmask_b32_e64 v105, v105, v109, s[0:1]
	v_cndmask_b32_e64 v104, v104, v108, s[0:1]
	v_mul_f64 v[104:105], v[104:105], v[106:107]
	scratch_store_dwordx2 off, v[104:105], off offset:376
.LBB113_16:
	s_or_b64 exec, exec, s[4:5]
	scratch_load_dwordx2 v[104:105], off, off offset:368
	v_cmp_lt_u32_e64 s[0:1], 46, v0
	s_waitcnt vmcnt(0)
	ds_write_b64 v1, v[104:105]
	s_waitcnt lgkmcnt(0)
	; wave barrier
	s_and_saveexec_b64 s[4:5], s[0:1]
	s_cbranch_execz .LBB113_26
; %bb.17:
	s_andn2_b64 vcc, exec, s[6:7]
	s_cbranch_vccnz .LBB113_19
; %bb.18:
	scratch_load_dwordx2 v[104:105], v19, off
	ds_read_b64 v[106:107], v1
	s_waitcnt vmcnt(0) lgkmcnt(0)
	v_mul_f64 v[104:105], v[104:105], v[106:107]
	s_cbranch_execz .LBB113_20
	s_branch .LBB113_21
.LBB113_19:
                                        ; implicit-def: $vgpr104_vgpr105
.LBB113_20:
	ds_read_b64 v[104:105], v1
.LBB113_21:
	s_and_saveexec_b64 s[8:9], s[2:3]
	s_cbranch_execz .LBB113_25
; %bb.22:
	v_subrev_u32_e32 v106, 47, v0
	s_movk_i32 s58, 0x308
	s_mov_b64 s[2:3], 0
.LBB113_23:                             ; =>This Inner Loop Header: Depth=1
	scratch_load_dwordx2 v[108:109], off, s57
	v_mov_b32_e32 v107, s58
	ds_read_b64 v[110:111], v107
	v_add_u32_e32 v106, -1, v106
	s_add_i32 s58, s58, 8
	s_add_i32 s57, s57, 8
	v_cmp_eq_u32_e32 vcc, 0, v106
	s_or_b64 s[2:3], vcc, s[2:3]
	s_waitcnt vmcnt(0) lgkmcnt(0)
	v_fmac_f64_e32 v[104:105], v[108:109], v[110:111]
	s_andn2_b64 exec, exec, s[2:3]
	s_cbranch_execnz .LBB113_23
; %bb.24:
	s_or_b64 exec, exec, s[2:3]
.LBB113_25:
	s_or_b64 exec, exec, s[8:9]
	v_mov_b32_e32 v106, 0
	ds_read_b64 v[106:107], v106 offset:368
	s_waitcnt lgkmcnt(0)
	v_mul_f64 v[104:105], v[104:105], v[106:107]
	scratch_store_dwordx2 off, v[104:105], off offset:368
.LBB113_26:
	s_or_b64 exec, exec, s[4:5]
	scratch_load_dwordx2 v[104:105], off, off offset:360
	v_cmp_lt_u32_e64 s[2:3], 45, v0
	s_waitcnt vmcnt(0)
	ds_write_b64 v1, v[104:105]
	s_waitcnt lgkmcnt(0)
	; wave barrier
	s_and_saveexec_b64 s[4:5], s[2:3]
	s_cbranch_execz .LBB113_36
; %bb.27:
	s_andn2_b64 vcc, exec, s[6:7]
	s_cbranch_vccnz .LBB113_29
; %bb.28:
	scratch_load_dwordx2 v[104:105], v19, off
	ds_read_b64 v[106:107], v1
	s_waitcnt vmcnt(0) lgkmcnt(0)
	v_mul_f64 v[104:105], v[104:105], v[106:107]
	s_cbranch_execz .LBB113_30
	s_branch .LBB113_31
.LBB113_29:
                                        ; implicit-def: $vgpr104_vgpr105
.LBB113_30:
	ds_read_b64 v[104:105], v1
.LBB113_31:
	s_and_saveexec_b64 s[8:9], s[0:1]
	s_cbranch_execz .LBB113_35
; %bb.32:
	v_subrev_u32_e32 v106, 46, v0
	s_movk_i32 s57, 0x300
	s_mov_b64 s[0:1], 0
.LBB113_33:                             ; =>This Inner Loop Header: Depth=1
	scratch_load_dwordx2 v[108:109], off, s56
	v_mov_b32_e32 v107, s57
	ds_read_b64 v[110:111], v107
	v_add_u32_e32 v106, -1, v106
	s_add_i32 s57, s57, 8
	s_add_i32 s56, s56, 8
	v_cmp_eq_u32_e32 vcc, 0, v106
	s_or_b64 s[0:1], vcc, s[0:1]
	s_waitcnt vmcnt(0) lgkmcnt(0)
	v_fmac_f64_e32 v[104:105], v[108:109], v[110:111]
	s_andn2_b64 exec, exec, s[0:1]
	s_cbranch_execnz .LBB113_33
; %bb.34:
	s_or_b64 exec, exec, s[0:1]
.LBB113_35:
	s_or_b64 exec, exec, s[8:9]
	v_mov_b32_e32 v106, 0
	ds_read_b64 v[106:107], v106 offset:360
	s_waitcnt lgkmcnt(0)
	v_mul_f64 v[104:105], v[104:105], v[106:107]
	scratch_store_dwordx2 off, v[104:105], off offset:360
.LBB113_36:
	;; [unrolled: 53-line block ×8, first 2 shown]
	s_or_b64 exec, exec, s[4:5]
	scratch_load_dwordx2 v[104:105], off, off offset:304
	v_cmp_lt_u32_e64 s[0:1], 38, v0
	s_waitcnt vmcnt(0)
	ds_write_b64 v1, v[104:105]
	s_waitcnt lgkmcnt(0)
	; wave barrier
	s_and_saveexec_b64 s[4:5], s[0:1]
	s_cbranch_execz .LBB113_106
; %bb.97:
	s_andn2_b64 vcc, exec, s[6:7]
	s_cbranch_vccnz .LBB113_99
; %bb.98:
	scratch_load_dwordx2 v[104:105], v19, off
	ds_read_b64 v[106:107], v1
	s_waitcnt vmcnt(0) lgkmcnt(0)
	v_mul_f64 v[104:105], v[104:105], v[106:107]
	s_cbranch_execz .LBB113_100
	s_branch .LBB113_101
.LBB113_99:
                                        ; implicit-def: $vgpr104_vgpr105
.LBB113_100:
	ds_read_b64 v[104:105], v1
.LBB113_101:
	s_and_saveexec_b64 s[8:9], s[2:3]
	s_cbranch_execz .LBB113_105
; %bb.102:
	v_subrev_u32_e32 v106, 39, v0
	s_movk_i32 s50, 0x2c8
	s_mov_b64 s[2:3], 0
.LBB113_103:                            ; =>This Inner Loop Header: Depth=1
	scratch_load_dwordx2 v[108:109], off, s49
	v_mov_b32_e32 v107, s50
	ds_read_b64 v[110:111], v107
	v_add_u32_e32 v106, -1, v106
	s_add_i32 s50, s50, 8
	s_add_i32 s49, s49, 8
	v_cmp_eq_u32_e32 vcc, 0, v106
	s_or_b64 s[2:3], vcc, s[2:3]
	s_waitcnt vmcnt(0) lgkmcnt(0)
	v_fmac_f64_e32 v[104:105], v[108:109], v[110:111]
	s_andn2_b64 exec, exec, s[2:3]
	s_cbranch_execnz .LBB113_103
; %bb.104:
	s_or_b64 exec, exec, s[2:3]
.LBB113_105:
	s_or_b64 exec, exec, s[8:9]
	v_mov_b32_e32 v106, 0
	ds_read_b64 v[106:107], v106 offset:304
	s_waitcnt lgkmcnt(0)
	v_mul_f64 v[104:105], v[104:105], v[106:107]
	scratch_store_dwordx2 off, v[104:105], off offset:304
.LBB113_106:
	s_or_b64 exec, exec, s[4:5]
	scratch_load_dwordx2 v[104:105], off, off offset:296
	v_cmp_lt_u32_e64 s[2:3], 37, v0
	s_waitcnt vmcnt(0)
	ds_write_b64 v1, v[104:105]
	s_waitcnt lgkmcnt(0)
	; wave barrier
	s_and_saveexec_b64 s[4:5], s[2:3]
	s_cbranch_execz .LBB113_116
; %bb.107:
	s_andn2_b64 vcc, exec, s[6:7]
	s_cbranch_vccnz .LBB113_109
; %bb.108:
	scratch_load_dwordx2 v[104:105], v19, off
	ds_read_b64 v[106:107], v1
	s_waitcnt vmcnt(0) lgkmcnt(0)
	v_mul_f64 v[104:105], v[104:105], v[106:107]
	s_cbranch_execz .LBB113_110
	s_branch .LBB113_111
.LBB113_109:
                                        ; implicit-def: $vgpr104_vgpr105
.LBB113_110:
	ds_read_b64 v[104:105], v1
.LBB113_111:
	s_and_saveexec_b64 s[8:9], s[0:1]
	s_cbranch_execz .LBB113_115
; %bb.112:
	v_subrev_u32_e32 v106, 38, v0
	s_movk_i32 s49, 0x2c0
	s_mov_b64 s[0:1], 0
.LBB113_113:                            ; =>This Inner Loop Header: Depth=1
	scratch_load_dwordx2 v[108:109], off, s48
	v_mov_b32_e32 v107, s49
	ds_read_b64 v[110:111], v107
	v_add_u32_e32 v106, -1, v106
	s_add_i32 s49, s49, 8
	s_add_i32 s48, s48, 8
	v_cmp_eq_u32_e32 vcc, 0, v106
	s_or_b64 s[0:1], vcc, s[0:1]
	s_waitcnt vmcnt(0) lgkmcnt(0)
	v_fmac_f64_e32 v[104:105], v[108:109], v[110:111]
	s_andn2_b64 exec, exec, s[0:1]
	s_cbranch_execnz .LBB113_113
; %bb.114:
	s_or_b64 exec, exec, s[0:1]
.LBB113_115:
	s_or_b64 exec, exec, s[8:9]
	v_mov_b32_e32 v106, 0
	ds_read_b64 v[106:107], v106 offset:296
	s_waitcnt lgkmcnt(0)
	v_mul_f64 v[104:105], v[104:105], v[106:107]
	scratch_store_dwordx2 off, v[104:105], off offset:296
.LBB113_116:
	s_or_b64 exec, exec, s[4:5]
	scratch_load_dwordx2 v[104:105], off, off offset:288
	v_cmp_lt_u32_e64 s[0:1], 36, v0
	s_waitcnt vmcnt(0)
	ds_write_b64 v1, v[104:105]
	s_waitcnt lgkmcnt(0)
	; wave barrier
	s_and_saveexec_b64 s[4:5], s[0:1]
	s_cbranch_execz .LBB113_126
; %bb.117:
	s_andn2_b64 vcc, exec, s[6:7]
	s_cbranch_vccnz .LBB113_119
; %bb.118:
	scratch_load_dwordx2 v[104:105], v19, off
	ds_read_b64 v[106:107], v1
	s_waitcnt vmcnt(0) lgkmcnt(0)
	v_mul_f64 v[104:105], v[104:105], v[106:107]
	s_cbranch_execz .LBB113_120
	s_branch .LBB113_121
.LBB113_119:
                                        ; implicit-def: $vgpr104_vgpr105
.LBB113_120:
	ds_read_b64 v[104:105], v1
.LBB113_121:
	s_and_saveexec_b64 s[8:9], s[2:3]
	s_cbranch_execz .LBB113_125
; %bb.122:
	v_subrev_u32_e32 v106, 37, v0
	s_movk_i32 s48, 0x2b8
	s_mov_b64 s[2:3], 0
.LBB113_123:                            ; =>This Inner Loop Header: Depth=1
	scratch_load_dwordx2 v[108:109], off, s47
	v_mov_b32_e32 v107, s48
	ds_read_b64 v[110:111], v107
	v_add_u32_e32 v106, -1, v106
	s_add_i32 s48, s48, 8
	s_add_i32 s47, s47, 8
	v_cmp_eq_u32_e32 vcc, 0, v106
	s_or_b64 s[2:3], vcc, s[2:3]
	s_waitcnt vmcnt(0) lgkmcnt(0)
	v_fmac_f64_e32 v[104:105], v[108:109], v[110:111]
	s_andn2_b64 exec, exec, s[2:3]
	s_cbranch_execnz .LBB113_123
; %bb.124:
	s_or_b64 exec, exec, s[2:3]
.LBB113_125:
	s_or_b64 exec, exec, s[8:9]
	v_mov_b32_e32 v106, 0
	ds_read_b64 v[106:107], v106 offset:288
	s_waitcnt lgkmcnt(0)
	v_mul_f64 v[104:105], v[104:105], v[106:107]
	scratch_store_dwordx2 off, v[104:105], off offset:288
.LBB113_126:
	s_or_b64 exec, exec, s[4:5]
	scratch_load_dwordx2 v[104:105], off, off offset:280
	v_cmp_lt_u32_e64 s[2:3], 35, v0
	s_waitcnt vmcnt(0)
	ds_write_b64 v1, v[104:105]
	s_waitcnt lgkmcnt(0)
	; wave barrier
	s_and_saveexec_b64 s[4:5], s[2:3]
	s_cbranch_execz .LBB113_136
; %bb.127:
	s_andn2_b64 vcc, exec, s[6:7]
	s_cbranch_vccnz .LBB113_129
; %bb.128:
	scratch_load_dwordx2 v[104:105], v19, off
	ds_read_b64 v[106:107], v1
	s_waitcnt vmcnt(0) lgkmcnt(0)
	v_mul_f64 v[104:105], v[104:105], v[106:107]
	s_cbranch_execz .LBB113_130
	s_branch .LBB113_131
.LBB113_129:
                                        ; implicit-def: $vgpr104_vgpr105
.LBB113_130:
	ds_read_b64 v[104:105], v1
.LBB113_131:
	s_and_saveexec_b64 s[8:9], s[0:1]
	s_cbranch_execz .LBB113_135
; %bb.132:
	v_subrev_u32_e32 v106, 36, v0
	s_movk_i32 s47, 0x2b0
	s_mov_b64 s[0:1], 0
.LBB113_133:                            ; =>This Inner Loop Header: Depth=1
	scratch_load_dwordx2 v[108:109], off, s46
	v_mov_b32_e32 v107, s47
	ds_read_b64 v[110:111], v107
	v_add_u32_e32 v106, -1, v106
	s_add_i32 s47, s47, 8
	s_add_i32 s46, s46, 8
	v_cmp_eq_u32_e32 vcc, 0, v106
	s_or_b64 s[0:1], vcc, s[0:1]
	s_waitcnt vmcnt(0) lgkmcnt(0)
	v_fmac_f64_e32 v[104:105], v[108:109], v[110:111]
	s_andn2_b64 exec, exec, s[0:1]
	s_cbranch_execnz .LBB113_133
; %bb.134:
	s_or_b64 exec, exec, s[0:1]
.LBB113_135:
	s_or_b64 exec, exec, s[8:9]
	v_mov_b32_e32 v106, 0
	ds_read_b64 v[106:107], v106 offset:280
	s_waitcnt lgkmcnt(0)
	v_mul_f64 v[104:105], v[104:105], v[106:107]
	scratch_store_dwordx2 off, v[104:105], off offset:280
.LBB113_136:
	s_or_b64 exec, exec, s[4:5]
	scratch_load_dwordx2 v[104:105], off, off offset:272
	v_cmp_lt_u32_e64 s[0:1], 34, v0
	s_waitcnt vmcnt(0)
	ds_write_b64 v1, v[104:105]
	s_waitcnt lgkmcnt(0)
	; wave barrier
	s_and_saveexec_b64 s[4:5], s[0:1]
	s_cbranch_execz .LBB113_146
; %bb.137:
	s_andn2_b64 vcc, exec, s[6:7]
	s_cbranch_vccnz .LBB113_139
; %bb.138:
	scratch_load_dwordx2 v[104:105], v19, off
	ds_read_b64 v[106:107], v1
	s_waitcnt vmcnt(0) lgkmcnt(0)
	v_mul_f64 v[104:105], v[104:105], v[106:107]
	s_cbranch_execz .LBB113_140
	s_branch .LBB113_141
.LBB113_139:
                                        ; implicit-def: $vgpr104_vgpr105
.LBB113_140:
	ds_read_b64 v[104:105], v1
.LBB113_141:
	s_and_saveexec_b64 s[8:9], s[2:3]
	s_cbranch_execz .LBB113_145
; %bb.142:
	v_subrev_u32_e32 v106, 35, v0
	s_movk_i32 s46, 0x2a8
	s_mov_b64 s[2:3], 0
.LBB113_143:                            ; =>This Inner Loop Header: Depth=1
	scratch_load_dwordx2 v[108:109], off, s45
	v_mov_b32_e32 v107, s46
	ds_read_b64 v[110:111], v107
	v_add_u32_e32 v106, -1, v106
	s_add_i32 s46, s46, 8
	s_add_i32 s45, s45, 8
	v_cmp_eq_u32_e32 vcc, 0, v106
	s_or_b64 s[2:3], vcc, s[2:3]
	s_waitcnt vmcnt(0) lgkmcnt(0)
	v_fmac_f64_e32 v[104:105], v[108:109], v[110:111]
	s_andn2_b64 exec, exec, s[2:3]
	s_cbranch_execnz .LBB113_143
; %bb.144:
	s_or_b64 exec, exec, s[2:3]
.LBB113_145:
	s_or_b64 exec, exec, s[8:9]
	v_mov_b32_e32 v106, 0
	ds_read_b64 v[106:107], v106 offset:272
	s_waitcnt lgkmcnt(0)
	v_mul_f64 v[104:105], v[104:105], v[106:107]
	scratch_store_dwordx2 off, v[104:105], off offset:272
.LBB113_146:
	s_or_b64 exec, exec, s[4:5]
	scratch_load_dwordx2 v[104:105], off, off offset:264
	v_cmp_lt_u32_e64 s[2:3], 33, v0
	s_waitcnt vmcnt(0)
	ds_write_b64 v1, v[104:105]
	s_waitcnt lgkmcnt(0)
	; wave barrier
	s_and_saveexec_b64 s[4:5], s[2:3]
	s_cbranch_execz .LBB113_156
; %bb.147:
	s_andn2_b64 vcc, exec, s[6:7]
	s_cbranch_vccnz .LBB113_149
; %bb.148:
	scratch_load_dwordx2 v[104:105], v19, off
	ds_read_b64 v[106:107], v1
	s_waitcnt vmcnt(0) lgkmcnt(0)
	v_mul_f64 v[104:105], v[104:105], v[106:107]
	s_cbranch_execz .LBB113_150
	s_branch .LBB113_151
.LBB113_149:
                                        ; implicit-def: $vgpr104_vgpr105
.LBB113_150:
	ds_read_b64 v[104:105], v1
.LBB113_151:
	s_and_saveexec_b64 s[8:9], s[0:1]
	s_cbranch_execz .LBB113_155
; %bb.152:
	v_subrev_u32_e32 v106, 34, v0
	s_movk_i32 s45, 0x2a0
	s_mov_b64 s[0:1], 0
.LBB113_153:                            ; =>This Inner Loop Header: Depth=1
	scratch_load_dwordx2 v[108:109], off, s44
	v_mov_b32_e32 v107, s45
	ds_read_b64 v[110:111], v107
	v_add_u32_e32 v106, -1, v106
	s_add_i32 s45, s45, 8
	s_add_i32 s44, s44, 8
	v_cmp_eq_u32_e32 vcc, 0, v106
	s_or_b64 s[0:1], vcc, s[0:1]
	s_waitcnt vmcnt(0) lgkmcnt(0)
	v_fmac_f64_e32 v[104:105], v[108:109], v[110:111]
	s_andn2_b64 exec, exec, s[0:1]
	s_cbranch_execnz .LBB113_153
; %bb.154:
	s_or_b64 exec, exec, s[0:1]
.LBB113_155:
	s_or_b64 exec, exec, s[8:9]
	v_mov_b32_e32 v106, 0
	ds_read_b64 v[106:107], v106 offset:264
	s_waitcnt lgkmcnt(0)
	v_mul_f64 v[104:105], v[104:105], v[106:107]
	scratch_store_dwordx2 off, v[104:105], off offset:264
.LBB113_156:
	s_or_b64 exec, exec, s[4:5]
	scratch_load_dwordx2 v[104:105], off, off offset:256
	v_cmp_lt_u32_e64 s[0:1], 32, v0
	s_waitcnt vmcnt(0)
	ds_write_b64 v1, v[104:105]
	s_waitcnt lgkmcnt(0)
	; wave barrier
	s_and_saveexec_b64 s[4:5], s[0:1]
	s_cbranch_execz .LBB113_166
; %bb.157:
	s_andn2_b64 vcc, exec, s[6:7]
	s_cbranch_vccnz .LBB113_159
; %bb.158:
	scratch_load_dwordx2 v[104:105], v19, off
	ds_read_b64 v[106:107], v1
	s_waitcnt vmcnt(0) lgkmcnt(0)
	v_mul_f64 v[104:105], v[104:105], v[106:107]
	s_cbranch_execz .LBB113_160
	s_branch .LBB113_161
.LBB113_159:
                                        ; implicit-def: $vgpr104_vgpr105
.LBB113_160:
	ds_read_b64 v[104:105], v1
.LBB113_161:
	s_and_saveexec_b64 s[8:9], s[2:3]
	s_cbranch_execz .LBB113_165
; %bb.162:
	v_subrev_u32_e32 v106, 33, v0
	s_movk_i32 s44, 0x298
	s_mov_b64 s[2:3], 0
.LBB113_163:                            ; =>This Inner Loop Header: Depth=1
	scratch_load_dwordx2 v[108:109], off, s43
	v_mov_b32_e32 v107, s44
	ds_read_b64 v[110:111], v107
	v_add_u32_e32 v106, -1, v106
	s_add_i32 s44, s44, 8
	s_add_i32 s43, s43, 8
	v_cmp_eq_u32_e32 vcc, 0, v106
	s_or_b64 s[2:3], vcc, s[2:3]
	s_waitcnt vmcnt(0) lgkmcnt(0)
	v_fmac_f64_e32 v[104:105], v[108:109], v[110:111]
	s_andn2_b64 exec, exec, s[2:3]
	s_cbranch_execnz .LBB113_163
; %bb.164:
	s_or_b64 exec, exec, s[2:3]
.LBB113_165:
	s_or_b64 exec, exec, s[8:9]
	v_mov_b32_e32 v106, 0
	ds_read_b64 v[106:107], v106 offset:256
	s_waitcnt lgkmcnt(0)
	v_mul_f64 v[104:105], v[104:105], v[106:107]
	scratch_store_dwordx2 off, v[104:105], off offset:256
.LBB113_166:
	s_or_b64 exec, exec, s[4:5]
	scratch_load_dwordx2 v[104:105], off, off offset:248
	v_cmp_lt_u32_e64 s[2:3], 31, v0
	s_waitcnt vmcnt(0)
	ds_write_b64 v1, v[104:105]
	s_waitcnt lgkmcnt(0)
	; wave barrier
	s_and_saveexec_b64 s[4:5], s[2:3]
	s_cbranch_execz .LBB113_176
; %bb.167:
	s_andn2_b64 vcc, exec, s[6:7]
	s_cbranch_vccnz .LBB113_169
; %bb.168:
	scratch_load_dwordx2 v[104:105], v19, off
	ds_read_b64 v[106:107], v1
	s_waitcnt vmcnt(0) lgkmcnt(0)
	v_mul_f64 v[104:105], v[104:105], v[106:107]
	s_cbranch_execz .LBB113_170
	s_branch .LBB113_171
.LBB113_169:
                                        ; implicit-def: $vgpr104_vgpr105
.LBB113_170:
	ds_read_b64 v[104:105], v1
.LBB113_171:
	s_and_saveexec_b64 s[8:9], s[0:1]
	s_cbranch_execz .LBB113_175
; %bb.172:
	v_subrev_u32_e32 v106, 32, v0
	s_movk_i32 s43, 0x290
	s_mov_b64 s[0:1], 0
.LBB113_173:                            ; =>This Inner Loop Header: Depth=1
	scratch_load_dwordx2 v[108:109], off, s42
	v_mov_b32_e32 v107, s43
	ds_read_b64 v[110:111], v107
	v_add_u32_e32 v106, -1, v106
	s_add_i32 s43, s43, 8
	s_add_i32 s42, s42, 8
	v_cmp_eq_u32_e32 vcc, 0, v106
	s_or_b64 s[0:1], vcc, s[0:1]
	s_waitcnt vmcnt(0) lgkmcnt(0)
	v_fmac_f64_e32 v[104:105], v[108:109], v[110:111]
	s_andn2_b64 exec, exec, s[0:1]
	s_cbranch_execnz .LBB113_173
; %bb.174:
	s_or_b64 exec, exec, s[0:1]
.LBB113_175:
	s_or_b64 exec, exec, s[8:9]
	v_mov_b32_e32 v106, 0
	ds_read_b64 v[106:107], v106 offset:248
	s_waitcnt lgkmcnt(0)
	v_mul_f64 v[104:105], v[104:105], v[106:107]
	scratch_store_dwordx2 off, v[104:105], off offset:248
.LBB113_176:
	s_or_b64 exec, exec, s[4:5]
	scratch_load_dwordx2 v[104:105], off, off offset:240
	v_cmp_lt_u32_e64 s[0:1], 30, v0
	s_waitcnt vmcnt(0)
	ds_write_b64 v1, v[104:105]
	s_waitcnt lgkmcnt(0)
	; wave barrier
	s_and_saveexec_b64 s[4:5], s[0:1]
	s_cbranch_execz .LBB113_186
; %bb.177:
	s_andn2_b64 vcc, exec, s[6:7]
	s_cbranch_vccnz .LBB113_179
; %bb.178:
	scratch_load_dwordx2 v[104:105], v19, off
	ds_read_b64 v[106:107], v1
	s_waitcnt vmcnt(0) lgkmcnt(0)
	v_mul_f64 v[104:105], v[104:105], v[106:107]
	s_cbranch_execz .LBB113_180
	s_branch .LBB113_181
.LBB113_179:
                                        ; implicit-def: $vgpr104_vgpr105
.LBB113_180:
	ds_read_b64 v[104:105], v1
.LBB113_181:
	s_and_saveexec_b64 s[8:9], s[2:3]
	s_cbranch_execz .LBB113_185
; %bb.182:
	v_subrev_u32_e32 v106, 31, v0
	s_movk_i32 s42, 0x288
	s_mov_b64 s[2:3], 0
.LBB113_183:                            ; =>This Inner Loop Header: Depth=1
	scratch_load_dwordx2 v[108:109], off, s41
	v_mov_b32_e32 v107, s42
	ds_read_b64 v[110:111], v107
	v_add_u32_e32 v106, -1, v106
	s_add_i32 s42, s42, 8
	s_add_i32 s41, s41, 8
	v_cmp_eq_u32_e32 vcc, 0, v106
	s_or_b64 s[2:3], vcc, s[2:3]
	s_waitcnt vmcnt(0) lgkmcnt(0)
	v_fmac_f64_e32 v[104:105], v[108:109], v[110:111]
	s_andn2_b64 exec, exec, s[2:3]
	s_cbranch_execnz .LBB113_183
; %bb.184:
	s_or_b64 exec, exec, s[2:3]
.LBB113_185:
	s_or_b64 exec, exec, s[8:9]
	v_mov_b32_e32 v106, 0
	ds_read_b64 v[106:107], v106 offset:240
	s_waitcnt lgkmcnt(0)
	v_mul_f64 v[104:105], v[104:105], v[106:107]
	scratch_store_dwordx2 off, v[104:105], off offset:240
.LBB113_186:
	s_or_b64 exec, exec, s[4:5]
	scratch_load_dwordx2 v[104:105], off, off offset:232
	v_cmp_lt_u32_e64 s[2:3], 29, v0
	s_waitcnt vmcnt(0)
	ds_write_b64 v1, v[104:105]
	s_waitcnt lgkmcnt(0)
	; wave barrier
	s_and_saveexec_b64 s[4:5], s[2:3]
	s_cbranch_execz .LBB113_196
; %bb.187:
	s_andn2_b64 vcc, exec, s[6:7]
	s_cbranch_vccnz .LBB113_189
; %bb.188:
	scratch_load_dwordx2 v[104:105], v19, off
	ds_read_b64 v[106:107], v1
	s_waitcnt vmcnt(0) lgkmcnt(0)
	v_mul_f64 v[104:105], v[104:105], v[106:107]
	s_cbranch_execz .LBB113_190
	s_branch .LBB113_191
.LBB113_189:
                                        ; implicit-def: $vgpr104_vgpr105
.LBB113_190:
	ds_read_b64 v[104:105], v1
.LBB113_191:
	s_and_saveexec_b64 s[8:9], s[0:1]
	s_cbranch_execz .LBB113_195
; %bb.192:
	v_subrev_u32_e32 v106, 30, v0
	s_movk_i32 s41, 0x280
	s_mov_b64 s[0:1], 0
.LBB113_193:                            ; =>This Inner Loop Header: Depth=1
	scratch_load_dwordx2 v[108:109], off, s40
	v_mov_b32_e32 v107, s41
	ds_read_b64 v[110:111], v107
	v_add_u32_e32 v106, -1, v106
	s_add_i32 s41, s41, 8
	s_add_i32 s40, s40, 8
	v_cmp_eq_u32_e32 vcc, 0, v106
	s_or_b64 s[0:1], vcc, s[0:1]
	s_waitcnt vmcnt(0) lgkmcnt(0)
	v_fmac_f64_e32 v[104:105], v[108:109], v[110:111]
	s_andn2_b64 exec, exec, s[0:1]
	s_cbranch_execnz .LBB113_193
; %bb.194:
	s_or_b64 exec, exec, s[0:1]
.LBB113_195:
	s_or_b64 exec, exec, s[8:9]
	v_mov_b32_e32 v106, 0
	ds_read_b64 v[106:107], v106 offset:232
	s_waitcnt lgkmcnt(0)
	v_mul_f64 v[104:105], v[104:105], v[106:107]
	scratch_store_dwordx2 off, v[104:105], off offset:232
.LBB113_196:
	s_or_b64 exec, exec, s[4:5]
	scratch_load_dwordx2 v[104:105], off, off offset:224
	v_cmp_lt_u32_e64 s[0:1], 28, v0
	s_waitcnt vmcnt(0)
	ds_write_b64 v1, v[104:105]
	s_waitcnt lgkmcnt(0)
	; wave barrier
	s_and_saveexec_b64 s[4:5], s[0:1]
	s_cbranch_execz .LBB113_206
; %bb.197:
	s_andn2_b64 vcc, exec, s[6:7]
	s_cbranch_vccnz .LBB113_199
; %bb.198:
	scratch_load_dwordx2 v[104:105], v19, off
	ds_read_b64 v[106:107], v1
	s_waitcnt vmcnt(0) lgkmcnt(0)
	v_mul_f64 v[104:105], v[104:105], v[106:107]
	s_cbranch_execz .LBB113_200
	s_branch .LBB113_201
.LBB113_199:
                                        ; implicit-def: $vgpr104_vgpr105
.LBB113_200:
	ds_read_b64 v[104:105], v1
.LBB113_201:
	s_and_saveexec_b64 s[8:9], s[2:3]
	s_cbranch_execz .LBB113_205
; %bb.202:
	v_subrev_u32_e32 v106, 29, v0
	s_movk_i32 s40, 0x278
	s_mov_b64 s[2:3], 0
.LBB113_203:                            ; =>This Inner Loop Header: Depth=1
	scratch_load_dwordx2 v[108:109], off, s39
	v_mov_b32_e32 v107, s40
	ds_read_b64 v[110:111], v107
	v_add_u32_e32 v106, -1, v106
	s_add_i32 s40, s40, 8
	s_add_i32 s39, s39, 8
	v_cmp_eq_u32_e32 vcc, 0, v106
	s_or_b64 s[2:3], vcc, s[2:3]
	s_waitcnt vmcnt(0) lgkmcnt(0)
	v_fmac_f64_e32 v[104:105], v[108:109], v[110:111]
	s_andn2_b64 exec, exec, s[2:3]
	s_cbranch_execnz .LBB113_203
; %bb.204:
	s_or_b64 exec, exec, s[2:3]
.LBB113_205:
	s_or_b64 exec, exec, s[8:9]
	v_mov_b32_e32 v106, 0
	ds_read_b64 v[106:107], v106 offset:224
	s_waitcnt lgkmcnt(0)
	v_mul_f64 v[104:105], v[104:105], v[106:107]
	scratch_store_dwordx2 off, v[104:105], off offset:224
.LBB113_206:
	s_or_b64 exec, exec, s[4:5]
	scratch_load_dwordx2 v[104:105], off, off offset:216
	v_cmp_lt_u32_e64 s[2:3], 27, v0
	s_waitcnt vmcnt(0)
	ds_write_b64 v1, v[104:105]
	s_waitcnt lgkmcnt(0)
	; wave barrier
	s_and_saveexec_b64 s[4:5], s[2:3]
	s_cbranch_execz .LBB113_216
; %bb.207:
	s_andn2_b64 vcc, exec, s[6:7]
	s_cbranch_vccnz .LBB113_209
; %bb.208:
	scratch_load_dwordx2 v[104:105], v19, off
	ds_read_b64 v[106:107], v1
	s_waitcnt vmcnt(0) lgkmcnt(0)
	v_mul_f64 v[104:105], v[104:105], v[106:107]
	s_cbranch_execz .LBB113_210
	s_branch .LBB113_211
.LBB113_209:
                                        ; implicit-def: $vgpr104_vgpr105
.LBB113_210:
	ds_read_b64 v[104:105], v1
.LBB113_211:
	s_and_saveexec_b64 s[8:9], s[0:1]
	s_cbranch_execz .LBB113_215
; %bb.212:
	v_subrev_u32_e32 v106, 28, v0
	s_movk_i32 s39, 0x270
	s_mov_b64 s[0:1], 0
.LBB113_213:                            ; =>This Inner Loop Header: Depth=1
	scratch_load_dwordx2 v[108:109], off, s38
	v_mov_b32_e32 v107, s39
	ds_read_b64 v[110:111], v107
	v_add_u32_e32 v106, -1, v106
	s_add_i32 s39, s39, 8
	s_add_i32 s38, s38, 8
	v_cmp_eq_u32_e32 vcc, 0, v106
	s_or_b64 s[0:1], vcc, s[0:1]
	s_waitcnt vmcnt(0) lgkmcnt(0)
	v_fmac_f64_e32 v[104:105], v[108:109], v[110:111]
	s_andn2_b64 exec, exec, s[0:1]
	s_cbranch_execnz .LBB113_213
; %bb.214:
	s_or_b64 exec, exec, s[0:1]
.LBB113_215:
	s_or_b64 exec, exec, s[8:9]
	v_mov_b32_e32 v106, 0
	ds_read_b64 v[106:107], v106 offset:216
	s_waitcnt lgkmcnt(0)
	v_mul_f64 v[104:105], v[104:105], v[106:107]
	scratch_store_dwordx2 off, v[104:105], off offset:216
.LBB113_216:
	s_or_b64 exec, exec, s[4:5]
	scratch_load_dwordx2 v[104:105], off, off offset:208
	v_cmp_lt_u32_e64 s[0:1], 26, v0
	s_waitcnt vmcnt(0)
	ds_write_b64 v1, v[104:105]
	s_waitcnt lgkmcnt(0)
	; wave barrier
	s_and_saveexec_b64 s[4:5], s[0:1]
	s_cbranch_execz .LBB113_226
; %bb.217:
	s_andn2_b64 vcc, exec, s[6:7]
	s_cbranch_vccnz .LBB113_219
; %bb.218:
	scratch_load_dwordx2 v[104:105], v19, off
	ds_read_b64 v[106:107], v1
	s_waitcnt vmcnt(0) lgkmcnt(0)
	v_mul_f64 v[104:105], v[104:105], v[106:107]
	s_cbranch_execz .LBB113_220
	s_branch .LBB113_221
.LBB113_219:
                                        ; implicit-def: $vgpr104_vgpr105
.LBB113_220:
	ds_read_b64 v[104:105], v1
.LBB113_221:
	s_and_saveexec_b64 s[8:9], s[2:3]
	s_cbranch_execz .LBB113_225
; %bb.222:
	v_subrev_u32_e32 v106, 27, v0
	s_movk_i32 s38, 0x268
	s_mov_b64 s[2:3], 0
.LBB113_223:                            ; =>This Inner Loop Header: Depth=1
	scratch_load_dwordx2 v[108:109], off, s37
	v_mov_b32_e32 v107, s38
	ds_read_b64 v[110:111], v107
	v_add_u32_e32 v106, -1, v106
	s_add_i32 s38, s38, 8
	s_add_i32 s37, s37, 8
	v_cmp_eq_u32_e32 vcc, 0, v106
	s_or_b64 s[2:3], vcc, s[2:3]
	s_waitcnt vmcnt(0) lgkmcnt(0)
	v_fmac_f64_e32 v[104:105], v[108:109], v[110:111]
	s_andn2_b64 exec, exec, s[2:3]
	s_cbranch_execnz .LBB113_223
; %bb.224:
	s_or_b64 exec, exec, s[2:3]
.LBB113_225:
	s_or_b64 exec, exec, s[8:9]
	v_mov_b32_e32 v106, 0
	ds_read_b64 v[106:107], v106 offset:208
	s_waitcnt lgkmcnt(0)
	v_mul_f64 v[104:105], v[104:105], v[106:107]
	scratch_store_dwordx2 off, v[104:105], off offset:208
.LBB113_226:
	s_or_b64 exec, exec, s[4:5]
	scratch_load_dwordx2 v[104:105], off, off offset:200
	v_cmp_lt_u32_e64 s[2:3], 25, v0
	s_waitcnt vmcnt(0)
	ds_write_b64 v1, v[104:105]
	s_waitcnt lgkmcnt(0)
	; wave barrier
	s_and_saveexec_b64 s[4:5], s[2:3]
	s_cbranch_execz .LBB113_236
; %bb.227:
	s_andn2_b64 vcc, exec, s[6:7]
	s_cbranch_vccnz .LBB113_229
; %bb.228:
	scratch_load_dwordx2 v[104:105], v19, off
	ds_read_b64 v[106:107], v1
	s_waitcnt vmcnt(0) lgkmcnt(0)
	v_mul_f64 v[104:105], v[104:105], v[106:107]
	s_cbranch_execz .LBB113_230
	s_branch .LBB113_231
.LBB113_229:
                                        ; implicit-def: $vgpr104_vgpr105
.LBB113_230:
	ds_read_b64 v[104:105], v1
.LBB113_231:
	s_and_saveexec_b64 s[8:9], s[0:1]
	s_cbranch_execz .LBB113_235
; %bb.232:
	v_subrev_u32_e32 v106, 26, v0
	s_movk_i32 s37, 0x260
	s_mov_b64 s[0:1], 0
.LBB113_233:                            ; =>This Inner Loop Header: Depth=1
	scratch_load_dwordx2 v[108:109], off, s36
	v_mov_b32_e32 v107, s37
	ds_read_b64 v[110:111], v107
	v_add_u32_e32 v106, -1, v106
	s_add_i32 s37, s37, 8
	s_add_i32 s36, s36, 8
	v_cmp_eq_u32_e32 vcc, 0, v106
	s_or_b64 s[0:1], vcc, s[0:1]
	s_waitcnt vmcnt(0) lgkmcnt(0)
	v_fmac_f64_e32 v[104:105], v[108:109], v[110:111]
	s_andn2_b64 exec, exec, s[0:1]
	s_cbranch_execnz .LBB113_233
; %bb.234:
	s_or_b64 exec, exec, s[0:1]
.LBB113_235:
	s_or_b64 exec, exec, s[8:9]
	v_mov_b32_e32 v106, 0
	ds_read_b64 v[106:107], v106 offset:200
	s_waitcnt lgkmcnt(0)
	v_mul_f64 v[104:105], v[104:105], v[106:107]
	scratch_store_dwordx2 off, v[104:105], off offset:200
.LBB113_236:
	s_or_b64 exec, exec, s[4:5]
	scratch_load_dwordx2 v[104:105], off, off offset:192
	v_cmp_lt_u32_e64 s[0:1], 24, v0
	s_waitcnt vmcnt(0)
	ds_write_b64 v1, v[104:105]
	s_waitcnt lgkmcnt(0)
	; wave barrier
	s_and_saveexec_b64 s[4:5], s[0:1]
	s_cbranch_execz .LBB113_246
; %bb.237:
	s_andn2_b64 vcc, exec, s[6:7]
	s_cbranch_vccnz .LBB113_239
; %bb.238:
	scratch_load_dwordx2 v[104:105], v19, off
	ds_read_b64 v[106:107], v1
	s_waitcnt vmcnt(0) lgkmcnt(0)
	v_mul_f64 v[104:105], v[104:105], v[106:107]
	s_cbranch_execz .LBB113_240
	s_branch .LBB113_241
.LBB113_239:
                                        ; implicit-def: $vgpr104_vgpr105
.LBB113_240:
	ds_read_b64 v[104:105], v1
.LBB113_241:
	s_and_saveexec_b64 s[8:9], s[2:3]
	s_cbranch_execz .LBB113_245
; %bb.242:
	v_subrev_u32_e32 v106, 25, v0
	s_movk_i32 s36, 0x258
	s_mov_b64 s[2:3], 0
.LBB113_243:                            ; =>This Inner Loop Header: Depth=1
	scratch_load_dwordx2 v[108:109], off, s35
	v_mov_b32_e32 v107, s36
	ds_read_b64 v[110:111], v107
	v_add_u32_e32 v106, -1, v106
	s_add_i32 s36, s36, 8
	s_add_i32 s35, s35, 8
	v_cmp_eq_u32_e32 vcc, 0, v106
	s_or_b64 s[2:3], vcc, s[2:3]
	s_waitcnt vmcnt(0) lgkmcnt(0)
	v_fmac_f64_e32 v[104:105], v[108:109], v[110:111]
	s_andn2_b64 exec, exec, s[2:3]
	s_cbranch_execnz .LBB113_243
; %bb.244:
	s_or_b64 exec, exec, s[2:3]
.LBB113_245:
	s_or_b64 exec, exec, s[8:9]
	v_mov_b32_e32 v106, 0
	ds_read_b64 v[106:107], v106 offset:192
	s_waitcnt lgkmcnt(0)
	v_mul_f64 v[104:105], v[104:105], v[106:107]
	scratch_store_dwordx2 off, v[104:105], off offset:192
.LBB113_246:
	s_or_b64 exec, exec, s[4:5]
	scratch_load_dwordx2 v[104:105], off, off offset:184
	v_cmp_lt_u32_e64 s[2:3], 23, v0
	s_waitcnt vmcnt(0)
	ds_write_b64 v1, v[104:105]
	s_waitcnt lgkmcnt(0)
	; wave barrier
	s_and_saveexec_b64 s[4:5], s[2:3]
	s_cbranch_execz .LBB113_256
; %bb.247:
	s_andn2_b64 vcc, exec, s[6:7]
	s_cbranch_vccnz .LBB113_249
; %bb.248:
	scratch_load_dwordx2 v[104:105], v19, off
	ds_read_b64 v[106:107], v1
	s_waitcnt vmcnt(0) lgkmcnt(0)
	v_mul_f64 v[104:105], v[104:105], v[106:107]
	s_cbranch_execz .LBB113_250
	s_branch .LBB113_251
.LBB113_249:
                                        ; implicit-def: $vgpr104_vgpr105
.LBB113_250:
	ds_read_b64 v[104:105], v1
.LBB113_251:
	s_and_saveexec_b64 s[8:9], s[0:1]
	s_cbranch_execz .LBB113_255
; %bb.252:
	v_subrev_u32_e32 v106, 24, v0
	s_movk_i32 s35, 0x250
	s_mov_b64 s[0:1], 0
.LBB113_253:                            ; =>This Inner Loop Header: Depth=1
	scratch_load_dwordx2 v[108:109], off, s34
	v_mov_b32_e32 v107, s35
	ds_read_b64 v[110:111], v107
	v_add_u32_e32 v106, -1, v106
	s_add_i32 s35, s35, 8
	s_add_i32 s34, s34, 8
	v_cmp_eq_u32_e32 vcc, 0, v106
	s_or_b64 s[0:1], vcc, s[0:1]
	s_waitcnt vmcnt(0) lgkmcnt(0)
	v_fmac_f64_e32 v[104:105], v[108:109], v[110:111]
	s_andn2_b64 exec, exec, s[0:1]
	s_cbranch_execnz .LBB113_253
; %bb.254:
	s_or_b64 exec, exec, s[0:1]
.LBB113_255:
	s_or_b64 exec, exec, s[8:9]
	v_mov_b32_e32 v106, 0
	ds_read_b64 v[106:107], v106 offset:184
	s_waitcnt lgkmcnt(0)
	v_mul_f64 v[104:105], v[104:105], v[106:107]
	scratch_store_dwordx2 off, v[104:105], off offset:184
.LBB113_256:
	s_or_b64 exec, exec, s[4:5]
	scratch_load_dwordx2 v[104:105], off, off offset:176
	v_cmp_lt_u32_e64 s[0:1], 22, v0
	s_waitcnt vmcnt(0)
	ds_write_b64 v1, v[104:105]
	s_waitcnt lgkmcnt(0)
	; wave barrier
	s_and_saveexec_b64 s[4:5], s[0:1]
	s_cbranch_execz .LBB113_266
; %bb.257:
	s_andn2_b64 vcc, exec, s[6:7]
	s_cbranch_vccnz .LBB113_259
; %bb.258:
	scratch_load_dwordx2 v[104:105], v19, off
	ds_read_b64 v[106:107], v1
	s_waitcnt vmcnt(0) lgkmcnt(0)
	v_mul_f64 v[104:105], v[104:105], v[106:107]
	s_cbranch_execz .LBB113_260
	s_branch .LBB113_261
.LBB113_259:
                                        ; implicit-def: $vgpr104_vgpr105
.LBB113_260:
	ds_read_b64 v[104:105], v1
.LBB113_261:
	s_and_saveexec_b64 s[8:9], s[2:3]
	s_cbranch_execz .LBB113_265
; %bb.262:
	v_subrev_u32_e32 v106, 23, v0
	s_movk_i32 s34, 0x248
	s_mov_b64 s[2:3], 0
.LBB113_263:                            ; =>This Inner Loop Header: Depth=1
	scratch_load_dwordx2 v[108:109], off, s33
	v_mov_b32_e32 v107, s34
	ds_read_b64 v[110:111], v107
	v_add_u32_e32 v106, -1, v106
	s_add_i32 s34, s34, 8
	s_add_i32 s33, s33, 8
	v_cmp_eq_u32_e32 vcc, 0, v106
	s_or_b64 s[2:3], vcc, s[2:3]
	s_waitcnt vmcnt(0) lgkmcnt(0)
	v_fmac_f64_e32 v[104:105], v[108:109], v[110:111]
	s_andn2_b64 exec, exec, s[2:3]
	s_cbranch_execnz .LBB113_263
; %bb.264:
	s_or_b64 exec, exec, s[2:3]
.LBB113_265:
	s_or_b64 exec, exec, s[8:9]
	v_mov_b32_e32 v106, 0
	ds_read_b64 v[106:107], v106 offset:176
	s_waitcnt lgkmcnt(0)
	v_mul_f64 v[104:105], v[104:105], v[106:107]
	scratch_store_dwordx2 off, v[104:105], off offset:176
.LBB113_266:
	s_or_b64 exec, exec, s[4:5]
	scratch_load_dwordx2 v[104:105], off, off offset:168
	v_cmp_lt_u32_e64 s[2:3], 21, v0
	s_waitcnt vmcnt(0)
	ds_write_b64 v1, v[104:105]
	s_waitcnt lgkmcnt(0)
	; wave barrier
	s_and_saveexec_b64 s[4:5], s[2:3]
	s_cbranch_execz .LBB113_276
; %bb.267:
	s_andn2_b64 vcc, exec, s[6:7]
	s_cbranch_vccnz .LBB113_269
; %bb.268:
	scratch_load_dwordx2 v[104:105], v19, off
	ds_read_b64 v[106:107], v1
	s_waitcnt vmcnt(0) lgkmcnt(0)
	v_mul_f64 v[104:105], v[104:105], v[106:107]
	s_cbranch_execz .LBB113_270
	s_branch .LBB113_271
.LBB113_269:
                                        ; implicit-def: $vgpr104_vgpr105
.LBB113_270:
	ds_read_b64 v[104:105], v1
.LBB113_271:
	s_and_saveexec_b64 s[8:9], s[0:1]
	s_cbranch_execz .LBB113_275
; %bb.272:
	v_subrev_u32_e32 v106, 22, v0
	s_movk_i32 s33, 0x240
	s_mov_b64 s[0:1], 0
.LBB113_273:                            ; =>This Inner Loop Header: Depth=1
	scratch_load_dwordx2 v[108:109], off, s31
	v_mov_b32_e32 v107, s33
	ds_read_b64 v[110:111], v107
	v_add_u32_e32 v106, -1, v106
	s_add_i32 s33, s33, 8
	s_add_i32 s31, s31, 8
	v_cmp_eq_u32_e32 vcc, 0, v106
	s_or_b64 s[0:1], vcc, s[0:1]
	s_waitcnt vmcnt(0) lgkmcnt(0)
	v_fmac_f64_e32 v[104:105], v[108:109], v[110:111]
	s_andn2_b64 exec, exec, s[0:1]
	s_cbranch_execnz .LBB113_273
; %bb.274:
	s_or_b64 exec, exec, s[0:1]
.LBB113_275:
	s_or_b64 exec, exec, s[8:9]
	v_mov_b32_e32 v106, 0
	ds_read_b64 v[106:107], v106 offset:168
	s_waitcnt lgkmcnt(0)
	v_mul_f64 v[104:105], v[104:105], v[106:107]
	scratch_store_dwordx2 off, v[104:105], off offset:168
.LBB113_276:
	s_or_b64 exec, exec, s[4:5]
	scratch_load_dwordx2 v[104:105], off, off offset:160
	v_cmp_lt_u32_e64 s[0:1], 20, v0
	s_waitcnt vmcnt(0)
	ds_write_b64 v1, v[104:105]
	s_waitcnt lgkmcnt(0)
	; wave barrier
	s_and_saveexec_b64 s[4:5], s[0:1]
	s_cbranch_execz .LBB113_286
; %bb.277:
	s_andn2_b64 vcc, exec, s[6:7]
	s_cbranch_vccnz .LBB113_279
; %bb.278:
	scratch_load_dwordx2 v[104:105], v19, off
	ds_read_b64 v[106:107], v1
	s_waitcnt vmcnt(0) lgkmcnt(0)
	v_mul_f64 v[104:105], v[104:105], v[106:107]
	s_cbranch_execz .LBB113_280
	s_branch .LBB113_281
.LBB113_279:
                                        ; implicit-def: $vgpr104_vgpr105
.LBB113_280:
	ds_read_b64 v[104:105], v1
.LBB113_281:
	s_and_saveexec_b64 s[8:9], s[2:3]
	s_cbranch_execz .LBB113_285
; %bb.282:
	v_subrev_u32_e32 v106, 21, v0
	s_movk_i32 s31, 0x238
	s_mov_b64 s[2:3], 0
.LBB113_283:                            ; =>This Inner Loop Header: Depth=1
	scratch_load_dwordx2 v[108:109], off, s30
	v_mov_b32_e32 v107, s31
	ds_read_b64 v[110:111], v107
	v_add_u32_e32 v106, -1, v106
	s_add_i32 s31, s31, 8
	s_add_i32 s30, s30, 8
	v_cmp_eq_u32_e32 vcc, 0, v106
	s_or_b64 s[2:3], vcc, s[2:3]
	s_waitcnt vmcnt(0) lgkmcnt(0)
	v_fmac_f64_e32 v[104:105], v[108:109], v[110:111]
	s_andn2_b64 exec, exec, s[2:3]
	s_cbranch_execnz .LBB113_283
; %bb.284:
	s_or_b64 exec, exec, s[2:3]
.LBB113_285:
	s_or_b64 exec, exec, s[8:9]
	v_mov_b32_e32 v106, 0
	ds_read_b64 v[106:107], v106 offset:160
	s_waitcnt lgkmcnt(0)
	v_mul_f64 v[104:105], v[104:105], v[106:107]
	scratch_store_dwordx2 off, v[104:105], off offset:160
.LBB113_286:
	s_or_b64 exec, exec, s[4:5]
	scratch_load_dwordx2 v[104:105], off, off offset:152
	v_cmp_lt_u32_e64 s[2:3], 19, v0
	s_waitcnt vmcnt(0)
	ds_write_b64 v1, v[104:105]
	s_waitcnt lgkmcnt(0)
	; wave barrier
	s_and_saveexec_b64 s[4:5], s[2:3]
	s_cbranch_execz .LBB113_296
; %bb.287:
	s_andn2_b64 vcc, exec, s[6:7]
	s_cbranch_vccnz .LBB113_289
; %bb.288:
	scratch_load_dwordx2 v[104:105], v19, off
	ds_read_b64 v[106:107], v1
	s_waitcnt vmcnt(0) lgkmcnt(0)
	v_mul_f64 v[104:105], v[104:105], v[106:107]
	s_cbranch_execz .LBB113_290
	s_branch .LBB113_291
.LBB113_289:
                                        ; implicit-def: $vgpr104_vgpr105
.LBB113_290:
	ds_read_b64 v[104:105], v1
.LBB113_291:
	s_and_saveexec_b64 s[8:9], s[0:1]
	s_cbranch_execz .LBB113_295
; %bb.292:
	v_subrev_u32_e32 v106, 20, v0
	s_movk_i32 s30, 0x230
	s_mov_b64 s[0:1], 0
.LBB113_293:                            ; =>This Inner Loop Header: Depth=1
	scratch_load_dwordx2 v[108:109], off, s29
	v_mov_b32_e32 v107, s30
	ds_read_b64 v[110:111], v107
	v_add_u32_e32 v106, -1, v106
	s_add_i32 s30, s30, 8
	s_add_i32 s29, s29, 8
	v_cmp_eq_u32_e32 vcc, 0, v106
	s_or_b64 s[0:1], vcc, s[0:1]
	s_waitcnt vmcnt(0) lgkmcnt(0)
	v_fmac_f64_e32 v[104:105], v[108:109], v[110:111]
	s_andn2_b64 exec, exec, s[0:1]
	s_cbranch_execnz .LBB113_293
; %bb.294:
	s_or_b64 exec, exec, s[0:1]
.LBB113_295:
	s_or_b64 exec, exec, s[8:9]
	v_mov_b32_e32 v106, 0
	ds_read_b64 v[106:107], v106 offset:152
	s_waitcnt lgkmcnt(0)
	v_mul_f64 v[104:105], v[104:105], v[106:107]
	scratch_store_dwordx2 off, v[104:105], off offset:152
.LBB113_296:
	s_or_b64 exec, exec, s[4:5]
	scratch_load_dwordx2 v[104:105], off, off offset:144
	v_cmp_lt_u32_e64 s[0:1], 18, v0
	s_waitcnt vmcnt(0)
	ds_write_b64 v1, v[104:105]
	s_waitcnt lgkmcnt(0)
	; wave barrier
	s_and_saveexec_b64 s[4:5], s[0:1]
	s_cbranch_execz .LBB113_306
; %bb.297:
	s_andn2_b64 vcc, exec, s[6:7]
	s_cbranch_vccnz .LBB113_299
; %bb.298:
	scratch_load_dwordx2 v[104:105], v19, off
	ds_read_b64 v[106:107], v1
	s_waitcnt vmcnt(0) lgkmcnt(0)
	v_mul_f64 v[104:105], v[104:105], v[106:107]
	s_cbranch_execz .LBB113_300
	s_branch .LBB113_301
.LBB113_299:
                                        ; implicit-def: $vgpr104_vgpr105
.LBB113_300:
	ds_read_b64 v[104:105], v1
.LBB113_301:
	s_and_saveexec_b64 s[8:9], s[2:3]
	s_cbranch_execz .LBB113_305
; %bb.302:
	v_subrev_u32_e32 v106, 19, v0
	s_movk_i32 s29, 0x228
	s_mov_b64 s[2:3], 0
.LBB113_303:                            ; =>This Inner Loop Header: Depth=1
	scratch_load_dwordx2 v[108:109], off, s28
	v_mov_b32_e32 v107, s29
	ds_read_b64 v[110:111], v107
	v_add_u32_e32 v106, -1, v106
	s_add_i32 s29, s29, 8
	s_add_i32 s28, s28, 8
	v_cmp_eq_u32_e32 vcc, 0, v106
	s_or_b64 s[2:3], vcc, s[2:3]
	s_waitcnt vmcnt(0) lgkmcnt(0)
	v_fmac_f64_e32 v[104:105], v[108:109], v[110:111]
	s_andn2_b64 exec, exec, s[2:3]
	s_cbranch_execnz .LBB113_303
; %bb.304:
	s_or_b64 exec, exec, s[2:3]
.LBB113_305:
	s_or_b64 exec, exec, s[8:9]
	v_mov_b32_e32 v106, 0
	ds_read_b64 v[106:107], v106 offset:144
	s_waitcnt lgkmcnt(0)
	v_mul_f64 v[104:105], v[104:105], v[106:107]
	scratch_store_dwordx2 off, v[104:105], off offset:144
.LBB113_306:
	s_or_b64 exec, exec, s[4:5]
	scratch_load_dwordx2 v[104:105], off, off offset:136
	v_cmp_lt_u32_e64 s[2:3], 17, v0
	s_waitcnt vmcnt(0)
	ds_write_b64 v1, v[104:105]
	s_waitcnt lgkmcnt(0)
	; wave barrier
	s_and_saveexec_b64 s[4:5], s[2:3]
	s_cbranch_execz .LBB113_316
; %bb.307:
	s_andn2_b64 vcc, exec, s[6:7]
	s_cbranch_vccnz .LBB113_309
; %bb.308:
	scratch_load_dwordx2 v[104:105], v19, off
	ds_read_b64 v[106:107], v1
	s_waitcnt vmcnt(0) lgkmcnt(0)
	v_mul_f64 v[104:105], v[104:105], v[106:107]
	s_cbranch_execz .LBB113_310
	s_branch .LBB113_311
.LBB113_309:
                                        ; implicit-def: $vgpr104_vgpr105
.LBB113_310:
	ds_read_b64 v[104:105], v1
.LBB113_311:
	s_and_saveexec_b64 s[8:9], s[0:1]
	s_cbranch_execz .LBB113_315
; %bb.312:
	v_subrev_u32_e32 v106, 18, v0
	s_movk_i32 s28, 0x220
	s_mov_b64 s[0:1], 0
.LBB113_313:                            ; =>This Inner Loop Header: Depth=1
	scratch_load_dwordx2 v[108:109], off, s27
	v_mov_b32_e32 v107, s28
	ds_read_b64 v[110:111], v107
	v_add_u32_e32 v106, -1, v106
	s_add_i32 s28, s28, 8
	s_add_i32 s27, s27, 8
	v_cmp_eq_u32_e32 vcc, 0, v106
	s_or_b64 s[0:1], vcc, s[0:1]
	s_waitcnt vmcnt(0) lgkmcnt(0)
	v_fmac_f64_e32 v[104:105], v[108:109], v[110:111]
	s_andn2_b64 exec, exec, s[0:1]
	s_cbranch_execnz .LBB113_313
; %bb.314:
	s_or_b64 exec, exec, s[0:1]
.LBB113_315:
	s_or_b64 exec, exec, s[8:9]
	v_mov_b32_e32 v106, 0
	ds_read_b64 v[106:107], v106 offset:136
	s_waitcnt lgkmcnt(0)
	v_mul_f64 v[104:105], v[104:105], v[106:107]
	scratch_store_dwordx2 off, v[104:105], off offset:136
.LBB113_316:
	s_or_b64 exec, exec, s[4:5]
	scratch_load_dwordx2 v[104:105], off, off offset:128
	v_cmp_lt_u32_e64 s[0:1], 16, v0
	s_waitcnt vmcnt(0)
	ds_write_b64 v1, v[104:105]
	s_waitcnt lgkmcnt(0)
	; wave barrier
	s_and_saveexec_b64 s[4:5], s[0:1]
	s_cbranch_execz .LBB113_326
; %bb.317:
	s_andn2_b64 vcc, exec, s[6:7]
	s_cbranch_vccnz .LBB113_319
; %bb.318:
	scratch_load_dwordx2 v[104:105], v19, off
	ds_read_b64 v[106:107], v1
	s_waitcnt vmcnt(0) lgkmcnt(0)
	v_mul_f64 v[104:105], v[104:105], v[106:107]
	s_cbranch_execz .LBB113_320
	s_branch .LBB113_321
.LBB113_319:
                                        ; implicit-def: $vgpr104_vgpr105
.LBB113_320:
	ds_read_b64 v[104:105], v1
.LBB113_321:
	s_and_saveexec_b64 s[8:9], s[2:3]
	s_cbranch_execz .LBB113_325
; %bb.322:
	v_subrev_u32_e32 v106, 17, v0
	s_movk_i32 s27, 0x218
	s_mov_b64 s[2:3], 0
.LBB113_323:                            ; =>This Inner Loop Header: Depth=1
	scratch_load_dwordx2 v[108:109], off, s26
	v_mov_b32_e32 v107, s27
	ds_read_b64 v[110:111], v107
	v_add_u32_e32 v106, -1, v106
	s_add_i32 s27, s27, 8
	s_add_i32 s26, s26, 8
	v_cmp_eq_u32_e32 vcc, 0, v106
	s_or_b64 s[2:3], vcc, s[2:3]
	s_waitcnt vmcnt(0) lgkmcnt(0)
	v_fmac_f64_e32 v[104:105], v[108:109], v[110:111]
	s_andn2_b64 exec, exec, s[2:3]
	s_cbranch_execnz .LBB113_323
; %bb.324:
	s_or_b64 exec, exec, s[2:3]
.LBB113_325:
	s_or_b64 exec, exec, s[8:9]
	v_mov_b32_e32 v106, 0
	ds_read_b64 v[106:107], v106 offset:128
	s_waitcnt lgkmcnt(0)
	v_mul_f64 v[104:105], v[104:105], v[106:107]
	scratch_store_dwordx2 off, v[104:105], off offset:128
.LBB113_326:
	s_or_b64 exec, exec, s[4:5]
	scratch_load_dwordx2 v[104:105], off, off offset:120
	v_cmp_lt_u32_e64 s[2:3], 15, v0
	s_waitcnt vmcnt(0)
	ds_write_b64 v1, v[104:105]
	s_waitcnt lgkmcnt(0)
	; wave barrier
	s_and_saveexec_b64 s[4:5], s[2:3]
	s_cbranch_execz .LBB113_336
; %bb.327:
	s_andn2_b64 vcc, exec, s[6:7]
	s_cbranch_vccnz .LBB113_329
; %bb.328:
	scratch_load_dwordx2 v[104:105], v19, off
	ds_read_b64 v[106:107], v1
	s_waitcnt vmcnt(0) lgkmcnt(0)
	v_mul_f64 v[104:105], v[104:105], v[106:107]
	s_cbranch_execz .LBB113_330
	s_branch .LBB113_331
.LBB113_329:
                                        ; implicit-def: $vgpr104_vgpr105
.LBB113_330:
	ds_read_b64 v[104:105], v1
.LBB113_331:
	s_and_saveexec_b64 s[8:9], s[0:1]
	s_cbranch_execz .LBB113_335
; %bb.332:
	v_add_u32_e32 v106, -16, v0
	s_movk_i32 s26, 0x210
	s_mov_b64 s[0:1], 0
.LBB113_333:                            ; =>This Inner Loop Header: Depth=1
	scratch_load_dwordx2 v[108:109], off, s25
	v_mov_b32_e32 v107, s26
	ds_read_b64 v[110:111], v107
	v_add_u32_e32 v106, -1, v106
	s_add_i32 s26, s26, 8
	s_add_i32 s25, s25, 8
	v_cmp_eq_u32_e32 vcc, 0, v106
	s_or_b64 s[0:1], vcc, s[0:1]
	s_waitcnt vmcnt(0) lgkmcnt(0)
	v_fmac_f64_e32 v[104:105], v[108:109], v[110:111]
	s_andn2_b64 exec, exec, s[0:1]
	s_cbranch_execnz .LBB113_333
; %bb.334:
	s_or_b64 exec, exec, s[0:1]
.LBB113_335:
	s_or_b64 exec, exec, s[8:9]
	v_mov_b32_e32 v106, 0
	ds_read_b64 v[106:107], v106 offset:120
	s_waitcnt lgkmcnt(0)
	v_mul_f64 v[104:105], v[104:105], v[106:107]
	scratch_store_dwordx2 off, v[104:105], off offset:120
.LBB113_336:
	s_or_b64 exec, exec, s[4:5]
	scratch_load_dwordx2 v[104:105], off, off offset:112
	v_cmp_lt_u32_e64 s[0:1], 14, v0
	s_waitcnt vmcnt(0)
	ds_write_b64 v1, v[104:105]
	s_waitcnt lgkmcnt(0)
	; wave barrier
	s_and_saveexec_b64 s[4:5], s[0:1]
	s_cbranch_execz .LBB113_346
; %bb.337:
	s_andn2_b64 vcc, exec, s[6:7]
	s_cbranch_vccnz .LBB113_339
; %bb.338:
	scratch_load_dwordx2 v[104:105], v19, off
	ds_read_b64 v[106:107], v1
	s_waitcnt vmcnt(0) lgkmcnt(0)
	v_mul_f64 v[104:105], v[104:105], v[106:107]
	s_cbranch_execz .LBB113_340
	s_branch .LBB113_341
.LBB113_339:
                                        ; implicit-def: $vgpr104_vgpr105
.LBB113_340:
	ds_read_b64 v[104:105], v1
.LBB113_341:
	s_and_saveexec_b64 s[8:9], s[2:3]
	s_cbranch_execz .LBB113_345
; %bb.342:
	v_add_u32_e32 v106, -15, v0
	s_movk_i32 s25, 0x208
	s_mov_b64 s[2:3], 0
.LBB113_343:                            ; =>This Inner Loop Header: Depth=1
	scratch_load_dwordx2 v[108:109], off, s24
	v_mov_b32_e32 v107, s25
	ds_read_b64 v[110:111], v107
	v_add_u32_e32 v106, -1, v106
	s_add_i32 s25, s25, 8
	s_add_i32 s24, s24, 8
	v_cmp_eq_u32_e32 vcc, 0, v106
	s_or_b64 s[2:3], vcc, s[2:3]
	s_waitcnt vmcnt(0) lgkmcnt(0)
	v_fmac_f64_e32 v[104:105], v[108:109], v[110:111]
	s_andn2_b64 exec, exec, s[2:3]
	s_cbranch_execnz .LBB113_343
; %bb.344:
	s_or_b64 exec, exec, s[2:3]
.LBB113_345:
	s_or_b64 exec, exec, s[8:9]
	v_mov_b32_e32 v106, 0
	ds_read_b64 v[106:107], v106 offset:112
	s_waitcnt lgkmcnt(0)
	v_mul_f64 v[104:105], v[104:105], v[106:107]
	scratch_store_dwordx2 off, v[104:105], off offset:112
.LBB113_346:
	;; [unrolled: 53-line block ×15, first 2 shown]
	s_or_b64 exec, exec, s[4:5]
	scratch_load_dwordx2 v[104:105], off, off
	v_cmp_ne_u32_e32 vcc, 0, v0
	s_waitcnt vmcnt(0)
	ds_write_b64 v1, v[104:105]
	s_waitcnt lgkmcnt(0)
	; wave barrier
	s_and_saveexec_b64 s[0:1], vcc
	s_cbranch_execz .LBB113_486
; %bb.477:
	s_andn2_b64 vcc, exec, s[6:7]
	s_cbranch_vccnz .LBB113_479
; %bb.478:
	scratch_load_dwordx2 v[104:105], v19, off
	ds_read_b64 v[106:107], v1
	s_waitcnt vmcnt(0) lgkmcnt(0)
	v_mul_f64 v[104:105], v[104:105], v[106:107]
	s_cbranch_execz .LBB113_480
	s_branch .LBB113_481
.LBB113_479:
                                        ; implicit-def: $vgpr104_vgpr105
.LBB113_480:
	ds_read_b64 v[104:105], v1
.LBB113_481:
	s_and_saveexec_b64 s[4:5], s[2:3]
	s_cbranch_execz .LBB113_485
; %bb.482:
	v_add_u32_e32 v106, -1, v0
	s_movk_i32 s8, 0x198
	s_mov_b64 s[2:3], 0
.LBB113_483:                            ; =>This Inner Loop Header: Depth=1
	scratch_load_dwordx2 v[108:109], off, s10
	v_mov_b32_e32 v107, s8
	ds_read_b64 v[110:111], v107
	v_add_u32_e32 v106, -1, v106
	s_add_i32 s8, s8, 8
	s_add_i32 s10, s10, 8
	v_cmp_eq_u32_e32 vcc, 0, v106
	s_or_b64 s[2:3], vcc, s[2:3]
	s_waitcnt vmcnt(0) lgkmcnt(0)
	v_fmac_f64_e32 v[104:105], v[108:109], v[110:111]
	s_andn2_b64 exec, exec, s[2:3]
	s_cbranch_execnz .LBB113_483
; %bb.484:
	s_or_b64 exec, exec, s[2:3]
.LBB113_485:
	s_or_b64 exec, exec, s[4:5]
	v_mov_b32_e32 v106, 0
	ds_read_b64 v[106:107], v106
	s_waitcnt lgkmcnt(0)
	v_mul_f64 v[104:105], v[104:105], v[106:107]
	scratch_store_dwordx2 off, v[104:105], off
.LBB113_486:
	s_or_b64 exec, exec, s[0:1]
	s_mov_b64 s[0:1], 0
.LBB113_487:
	s_and_b64 vcc, exec, s[0:1]
	s_cbranch_vccz .LBB113_969
; %bb.488:
	scratch_load_dwordx2 v[104:105], off, off offset:8
	v_cmp_eq_u32_e64 s[2:3], 0, v0
	s_waitcnt vmcnt(0)
	ds_write_b64 v1, v[104:105]
	s_waitcnt lgkmcnt(0)
	; wave barrier
	s_and_saveexec_b64 s[0:1], s[2:3]
	s_cbranch_execz .LBB113_494
; %bb.489:
	s_and_b64 vcc, exec, s[6:7]
	s_cbranch_vccz .LBB113_491
; %bb.490:
	scratch_load_dwordx2 v[104:105], v19, off
	ds_read_b64 v[106:107], v1
	s_waitcnt vmcnt(0) lgkmcnt(0)
	v_mul_f64 v[104:105], v[104:105], v[106:107]
	s_cbranch_execz .LBB113_492
	s_branch .LBB113_493
.LBB113_491:
                                        ; implicit-def: $vgpr104_vgpr105
.LBB113_492:
	ds_read_b64 v[104:105], v1
.LBB113_493:
	v_mov_b32_e32 v106, 0
	ds_read_b64 v[106:107], v106 offset:8
	s_waitcnt lgkmcnt(0)
	v_mul_f64 v[104:105], v[104:105], v[106:107]
	scratch_store_dwordx2 off, v[104:105], off offset:8
.LBB113_494:
	s_or_b64 exec, exec, s[0:1]
	scratch_load_dwordx2 v[104:105], off, off offset:16
	v_cndmask_b32_e64 v106, 0, 1, s[6:7]
	v_cmp_gt_u32_e32 vcc, 2, v0
	v_cmp_ne_u32_e64 s[0:1], 1, v106
	s_waitcnt vmcnt(0)
	ds_write_b64 v1, v[104:105]
	s_waitcnt lgkmcnt(0)
	; wave barrier
	s_and_saveexec_b64 s[4:5], vcc
	s_cbranch_execz .LBB113_500
; %bb.495:
	s_and_b64 vcc, exec, s[0:1]
	s_cbranch_vccnz .LBB113_497
; %bb.496:
	scratch_load_dwordx2 v[104:105], v19, off
	ds_read_b64 v[106:107], v1
	s_waitcnt vmcnt(0) lgkmcnt(0)
	v_mul_f64 v[104:105], v[104:105], v[106:107]
	s_cbranch_execz .LBB113_498
	s_branch .LBB113_499
.LBB113_497:
                                        ; implicit-def: $vgpr104_vgpr105
.LBB113_498:
	ds_read_b64 v[104:105], v1
.LBB113_499:
	scratch_load_dwordx2 v[110:111], off, off offset:8
	v_mov_b32_e32 v106, 0
	ds_read2_b64 v[106:109], v106 offset0:2 offset1:51
	s_waitcnt vmcnt(0) lgkmcnt(0)
	v_fma_f64 v[108:109], v[110:111], v[108:109], v[104:105]
	v_cndmask_b32_e64 v105, v105, v109, s[2:3]
	v_cndmask_b32_e64 v104, v104, v108, s[2:3]
	v_mul_f64 v[104:105], v[104:105], v[106:107]
	scratch_store_dwordx2 off, v[104:105], off offset:16
.LBB113_500:
	s_or_b64 exec, exec, s[4:5]
	scratch_load_dwordx2 v[104:105], off, off offset:24
	v_cmp_gt_u32_e32 vcc, 3, v0
	s_waitcnt vmcnt(0)
	ds_write_b64 v1, v[104:105]
	s_waitcnt lgkmcnt(0)
	; wave barrier
	s_and_saveexec_b64 s[4:5], vcc
	s_cbranch_execz .LBB113_508
; %bb.501:
	s_and_b64 vcc, exec, s[0:1]
	s_cbranch_vccnz .LBB113_503
; %bb.502:
	scratch_load_dwordx2 v[104:105], v19, off
	ds_read_b64 v[106:107], v1
	s_waitcnt vmcnt(0) lgkmcnt(0)
	v_mul_f64 v[104:105], v[104:105], v[106:107]
	s_cbranch_execz .LBB113_504
	s_branch .LBB113_505
.LBB113_503:
                                        ; implicit-def: $vgpr104_vgpr105
.LBB113_504:
	ds_read_b64 v[104:105], v1
.LBB113_505:
	v_cmp_ne_u32_e32 vcc, 2, v0
	s_and_saveexec_b64 s[6:7], vcc
	s_cbranch_execz .LBB113_507
; %bb.506:
	scratch_load_dwordx2 v[106:107], v19, off offset:8
	scratch_load_dwordx2 v[108:109], off, off offset:16
	ds_read_b64 v[110:111], v1 offset:8
	v_mov_b32_e32 v112, 0
	ds_read_b64 v[112:113], v112 offset:416
	s_waitcnt vmcnt(1) lgkmcnt(1)
	v_fmac_f64_e32 v[104:105], v[106:107], v[110:111]
	s_waitcnt vmcnt(0) lgkmcnt(0)
	v_fma_f64 v[106:107], v[108:109], v[112:113], v[104:105]
	v_cndmask_b32_e64 v105, v105, v107, s[2:3]
	v_cndmask_b32_e64 v104, v104, v106, s[2:3]
.LBB113_507:
	s_or_b64 exec, exec, s[6:7]
	v_mov_b32_e32 v106, 0
	ds_read_b64 v[106:107], v106 offset:24
	s_waitcnt lgkmcnt(0)
	v_mul_f64 v[104:105], v[104:105], v[106:107]
	scratch_store_dwordx2 off, v[104:105], off offset:24
.LBB113_508:
	s_or_b64 exec, exec, s[4:5]
	scratch_load_dwordx2 v[104:105], off, off offset:32
	v_cmp_gt_u32_e32 vcc, 4, v0
	s_waitcnt vmcnt(0)
	ds_write_b64 v1, v[104:105]
	s_waitcnt lgkmcnt(0)
	; wave barrier
	s_and_saveexec_b64 s[2:3], vcc
	s_cbranch_execz .LBB113_518
; %bb.509:
	s_and_b64 vcc, exec, s[0:1]
	s_cbranch_vccnz .LBB113_511
; %bb.510:
	scratch_load_dwordx2 v[104:105], v19, off
	ds_read_b64 v[106:107], v1
	s_waitcnt vmcnt(0) lgkmcnt(0)
	v_mul_f64 v[104:105], v[104:105], v[106:107]
	s_cbranch_execz .LBB113_512
	s_branch .LBB113_513
.LBB113_511:
                                        ; implicit-def: $vgpr104_vgpr105
.LBB113_512:
	ds_read_b64 v[104:105], v1
.LBB113_513:
	v_cmp_ne_u32_e32 vcc, 3, v0
	s_and_saveexec_b64 s[4:5], vcc
	s_cbranch_execz .LBB113_517
; %bb.514:
	s_mov_b32 s6, 0
	v_add_u32_e32 v106, 0x198, v18
	v_add3_u32 v107, v18, s6, 8
	s_mov_b64 s[6:7], 0
	v_mov_b32_e32 v108, v0
.LBB113_515:                            ; =>This Inner Loop Header: Depth=1
	scratch_load_dwordx2 v[110:111], v107, off
	ds_read_b64 v[112:113], v106
	v_add_u32_e32 v108, 1, v108
	v_cmp_lt_u32_e32 vcc, 2, v108
	v_add_u32_e32 v106, 8, v106
	v_add_u32_e32 v107, 8, v107
	s_or_b64 s[6:7], vcc, s[6:7]
	s_waitcnt vmcnt(0) lgkmcnt(0)
	v_fmac_f64_e32 v[104:105], v[110:111], v[112:113]
	s_andn2_b64 exec, exec, s[6:7]
	s_cbranch_execnz .LBB113_515
; %bb.516:
	s_or_b64 exec, exec, s[6:7]
.LBB113_517:
	s_or_b64 exec, exec, s[4:5]
	v_mov_b32_e32 v106, 0
	ds_read_b64 v[106:107], v106 offset:32
	s_waitcnt lgkmcnt(0)
	v_mul_f64 v[104:105], v[104:105], v[106:107]
	scratch_store_dwordx2 off, v[104:105], off offset:32
.LBB113_518:
	s_or_b64 exec, exec, s[2:3]
	scratch_load_dwordx2 v[104:105], off, off offset:40
	v_cmp_gt_u32_e32 vcc, 5, v0
	s_waitcnt vmcnt(0)
	ds_write_b64 v1, v[104:105]
	s_waitcnt lgkmcnt(0)
	; wave barrier
	s_and_saveexec_b64 s[2:3], vcc
	s_cbranch_execz .LBB113_528
; %bb.519:
	s_and_b64 vcc, exec, s[0:1]
	s_cbranch_vccnz .LBB113_521
; %bb.520:
	scratch_load_dwordx2 v[104:105], v19, off
	ds_read_b64 v[106:107], v1
	s_waitcnt vmcnt(0) lgkmcnt(0)
	v_mul_f64 v[104:105], v[104:105], v[106:107]
	s_cbranch_execz .LBB113_522
	s_branch .LBB113_523
.LBB113_521:
                                        ; implicit-def: $vgpr104_vgpr105
.LBB113_522:
	ds_read_b64 v[104:105], v1
.LBB113_523:
	v_cmp_ne_u32_e32 vcc, 4, v0
	s_and_saveexec_b64 s[4:5], vcc
	s_cbranch_execz .LBB113_527
; %bb.524:
	s_mov_b32 s6, 0
	v_add_u32_e32 v106, 0x198, v18
	v_add3_u32 v107, v18, s6, 8
	s_mov_b64 s[6:7], 0
	v_mov_b32_e32 v108, v0
.LBB113_525:                            ; =>This Inner Loop Header: Depth=1
	scratch_load_dwordx2 v[110:111], v107, off
	ds_read_b64 v[112:113], v106
	v_add_u32_e32 v108, 1, v108
	v_cmp_lt_u32_e32 vcc, 3, v108
	v_add_u32_e32 v106, 8, v106
	v_add_u32_e32 v107, 8, v107
	s_or_b64 s[6:7], vcc, s[6:7]
	s_waitcnt vmcnt(0) lgkmcnt(0)
	v_fmac_f64_e32 v[104:105], v[110:111], v[112:113]
	s_andn2_b64 exec, exec, s[6:7]
	s_cbranch_execnz .LBB113_525
; %bb.526:
	s_or_b64 exec, exec, s[6:7]
.LBB113_527:
	s_or_b64 exec, exec, s[4:5]
	v_mov_b32_e32 v106, 0
	ds_read_b64 v[106:107], v106 offset:40
	s_waitcnt lgkmcnt(0)
	v_mul_f64 v[104:105], v[104:105], v[106:107]
	scratch_store_dwordx2 off, v[104:105], off offset:40
.LBB113_528:
	;; [unrolled: 55-line block ×44, first 2 shown]
	s_or_b64 exec, exec, s[2:3]
	scratch_load_dwordx2 v[104:105], off, off offset:384
	v_cmp_gt_u32_e64 s[2:3], 48, v0
	s_waitcnt vmcnt(0)
	ds_write_b64 v1, v[104:105]
	s_waitcnt lgkmcnt(0)
	; wave barrier
	s_and_saveexec_b64 s[4:5], s[2:3]
	s_cbranch_execz .LBB113_958
; %bb.949:
	s_and_b64 vcc, exec, s[0:1]
	s_cbranch_vccnz .LBB113_951
; %bb.950:
	scratch_load_dwordx2 v[104:105], v19, off
	ds_read_b64 v[106:107], v1
	s_waitcnt vmcnt(0) lgkmcnt(0)
	v_mul_f64 v[104:105], v[104:105], v[106:107]
	s_cbranch_execz .LBB113_952
	s_branch .LBB113_953
.LBB113_951:
                                        ; implicit-def: $vgpr104_vgpr105
.LBB113_952:
	ds_read_b64 v[104:105], v1
.LBB113_953:
	v_cmp_ne_u32_e32 vcc, 47, v0
	s_and_saveexec_b64 s[6:7], vcc
	s_cbranch_execz .LBB113_957
; %bb.954:
	s_mov_b32 s8, 0
	v_add_u32_e32 v106, 0x198, v18
	v_add3_u32 v107, v18, s8, 8
	s_mov_b64 s[8:9], 0
	v_mov_b32_e32 v108, v0
.LBB113_955:                            ; =>This Inner Loop Header: Depth=1
	scratch_load_dwordx2 v[110:111], v107, off
	ds_read_b64 v[112:113], v106
	v_add_u32_e32 v108, 1, v108
	v_cmp_lt_u32_e32 vcc, 46, v108
	v_add_u32_e32 v106, 8, v106
	v_add_u32_e32 v107, 8, v107
	s_or_b64 s[8:9], vcc, s[8:9]
	s_waitcnt vmcnt(0) lgkmcnt(0)
	v_fmac_f64_e32 v[104:105], v[110:111], v[112:113]
	s_andn2_b64 exec, exec, s[8:9]
	s_cbranch_execnz .LBB113_955
; %bb.956:
	s_or_b64 exec, exec, s[8:9]
.LBB113_957:
	s_or_b64 exec, exec, s[6:7]
	v_mov_b32_e32 v106, 0
	ds_read_b64 v[106:107], v106 offset:384
	s_waitcnt lgkmcnt(0)
	v_mul_f64 v[104:105], v[104:105], v[106:107]
	scratch_store_dwordx2 off, v[104:105], off offset:384
.LBB113_958:
	s_or_b64 exec, exec, s[4:5]
	scratch_load_dwordx2 v[104:105], off, off offset:392
	v_cmp_ne_u32_e32 vcc, 49, v0
	s_waitcnt vmcnt(0)
	ds_write_b64 v1, v[104:105]
	s_waitcnt lgkmcnt(0)
	; wave barrier
	s_and_saveexec_b64 s[4:5], vcc
	s_cbranch_execz .LBB113_968
; %bb.959:
	s_and_b64 vcc, exec, s[0:1]
	s_cbranch_vccnz .LBB113_961
; %bb.960:
	scratch_load_dwordx2 v[104:105], v19, off
	ds_read_b64 v[106:107], v1
	s_waitcnt vmcnt(0) lgkmcnt(0)
	v_mul_f64 v[104:105], v[104:105], v[106:107]
	s_cbranch_execz .LBB113_962
	s_branch .LBB113_963
.LBB113_961:
                                        ; implicit-def: $vgpr104_vgpr105
.LBB113_962:
	ds_read_b64 v[104:105], v1
.LBB113_963:
	s_and_saveexec_b64 s[0:1], s[2:3]
	s_cbranch_execz .LBB113_967
; %bb.964:
	s_mov_b32 s2, 0
	v_add_u32_e32 v1, 0x198, v18
	v_add3_u32 v18, v18, s2, 8
	s_mov_b64 s[2:3], 0
.LBB113_965:                            ; =>This Inner Loop Header: Depth=1
	scratch_load_dwordx2 v[106:107], v18, off
	ds_read_b64 v[108:109], v1
	v_add_u32_e32 v0, 1, v0
	v_cmp_lt_u32_e32 vcc, 47, v0
	v_add_u32_e32 v1, 8, v1
	v_add_u32_e32 v18, 8, v18
	s_or_b64 s[2:3], vcc, s[2:3]
	s_waitcnt vmcnt(0) lgkmcnt(0)
	v_fmac_f64_e32 v[104:105], v[106:107], v[108:109]
	s_andn2_b64 exec, exec, s[2:3]
	s_cbranch_execnz .LBB113_965
; %bb.966:
	s_or_b64 exec, exec, s[2:3]
.LBB113_967:
	s_or_b64 exec, exec, s[0:1]
	v_mov_b32_e32 v0, 0
	ds_read_b64 v[0:1], v0 offset:392
	s_waitcnt lgkmcnt(0)
	v_mul_f64 v[0:1], v[104:105], v[0:1]
	scratch_store_dwordx2 off, v[0:1], off offset:392
.LBB113_968:
	s_or_b64 exec, exec, s[4:5]
.LBB113_969:
	scratch_load_dwordx2 v[0:1], off, off
	s_waitcnt vmcnt(0)
	flat_store_dwordx2 v[2:3], v[0:1]
	scratch_load_dwordx2 v[0:1], off, off offset:8
	s_waitcnt vmcnt(0)
	flat_store_dwordx2 v[4:5], v[0:1]
	scratch_load_dwordx2 v[0:1], off, off offset:16
	;; [unrolled: 3-line block ×49, first 2 shown]
	s_waitcnt vmcnt(0)
	flat_store_dwordx2 v[102:103], v[0:1]
.LBB113_970:
	s_endpgm
	.section	.rodata,"a",@progbits
	.p2align	6, 0x0
	.amdhsa_kernel _ZN9rocsolver6v33100L18trti2_kernel_smallILi50EdPKPdEEv13rocblas_fill_17rocblas_diagonal_T1_iil
		.amdhsa_group_segment_fixed_size 800
		.amdhsa_private_segment_fixed_size 416
		.amdhsa_kernarg_size 32
		.amdhsa_user_sgpr_count 2
		.amdhsa_user_sgpr_dispatch_ptr 0
		.amdhsa_user_sgpr_queue_ptr 0
		.amdhsa_user_sgpr_kernarg_segment_ptr 1
		.amdhsa_user_sgpr_dispatch_id 0
		.amdhsa_user_sgpr_kernarg_preload_length 0
		.amdhsa_user_sgpr_kernarg_preload_offset 0
		.amdhsa_user_sgpr_private_segment_size 0
		.amdhsa_uses_dynamic_stack 0
		.amdhsa_enable_private_segment 1
		.amdhsa_system_sgpr_workgroup_id_x 1
		.amdhsa_system_sgpr_workgroup_id_y 0
		.amdhsa_system_sgpr_workgroup_id_z 0
		.amdhsa_system_sgpr_workgroup_info 0
		.amdhsa_system_vgpr_workitem_id 0
		.amdhsa_next_free_vgpr 114
		.amdhsa_next_free_sgpr 59
		.amdhsa_accum_offset 116
		.amdhsa_reserve_vcc 1
		.amdhsa_float_round_mode_32 0
		.amdhsa_float_round_mode_16_64 0
		.amdhsa_float_denorm_mode_32 3
		.amdhsa_float_denorm_mode_16_64 3
		.amdhsa_dx10_clamp 1
		.amdhsa_ieee_mode 1
		.amdhsa_fp16_overflow 0
		.amdhsa_tg_split 0
		.amdhsa_exception_fp_ieee_invalid_op 0
		.amdhsa_exception_fp_denorm_src 0
		.amdhsa_exception_fp_ieee_div_zero 0
		.amdhsa_exception_fp_ieee_overflow 0
		.amdhsa_exception_fp_ieee_underflow 0
		.amdhsa_exception_fp_ieee_inexact 0
		.amdhsa_exception_int_div_zero 0
	.end_amdhsa_kernel
	.section	.text._ZN9rocsolver6v33100L18trti2_kernel_smallILi50EdPKPdEEv13rocblas_fill_17rocblas_diagonal_T1_iil,"axG",@progbits,_ZN9rocsolver6v33100L18trti2_kernel_smallILi50EdPKPdEEv13rocblas_fill_17rocblas_diagonal_T1_iil,comdat
.Lfunc_end113:
	.size	_ZN9rocsolver6v33100L18trti2_kernel_smallILi50EdPKPdEEv13rocblas_fill_17rocblas_diagonal_T1_iil, .Lfunc_end113-_ZN9rocsolver6v33100L18trti2_kernel_smallILi50EdPKPdEEv13rocblas_fill_17rocblas_diagonal_T1_iil
                                        ; -- End function
	.set _ZN9rocsolver6v33100L18trti2_kernel_smallILi50EdPKPdEEv13rocblas_fill_17rocblas_diagonal_T1_iil.num_vgpr, 114
	.set _ZN9rocsolver6v33100L18trti2_kernel_smallILi50EdPKPdEEv13rocblas_fill_17rocblas_diagonal_T1_iil.num_agpr, 0
	.set _ZN9rocsolver6v33100L18trti2_kernel_smallILi50EdPKPdEEv13rocblas_fill_17rocblas_diagonal_T1_iil.numbered_sgpr, 59
	.set _ZN9rocsolver6v33100L18trti2_kernel_smallILi50EdPKPdEEv13rocblas_fill_17rocblas_diagonal_T1_iil.num_named_barrier, 0
	.set _ZN9rocsolver6v33100L18trti2_kernel_smallILi50EdPKPdEEv13rocblas_fill_17rocblas_diagonal_T1_iil.private_seg_size, 416
	.set _ZN9rocsolver6v33100L18trti2_kernel_smallILi50EdPKPdEEv13rocblas_fill_17rocblas_diagonal_T1_iil.uses_vcc, 1
	.set _ZN9rocsolver6v33100L18trti2_kernel_smallILi50EdPKPdEEv13rocblas_fill_17rocblas_diagonal_T1_iil.uses_flat_scratch, 0
	.set _ZN9rocsolver6v33100L18trti2_kernel_smallILi50EdPKPdEEv13rocblas_fill_17rocblas_diagonal_T1_iil.has_dyn_sized_stack, 0
	.set _ZN9rocsolver6v33100L18trti2_kernel_smallILi50EdPKPdEEv13rocblas_fill_17rocblas_diagonal_T1_iil.has_recursion, 0
	.set _ZN9rocsolver6v33100L18trti2_kernel_smallILi50EdPKPdEEv13rocblas_fill_17rocblas_diagonal_T1_iil.has_indirect_call, 0
	.section	.AMDGPU.csdata,"",@progbits
; Kernel info:
; codeLenInByte = 24312
; TotalNumSgprs: 65
; NumVgprs: 114
; NumAgprs: 0
; TotalNumVgprs: 114
; ScratchSize: 416
; MemoryBound: 0
; FloatMode: 240
; IeeeMode: 1
; LDSByteSize: 800 bytes/workgroup (compile time only)
; SGPRBlocks: 8
; VGPRBlocks: 14
; NumSGPRsForWavesPerEU: 65
; NumVGPRsForWavesPerEU: 114
; AccumOffset: 116
; Occupancy: 4
; WaveLimiterHint : 1
; COMPUTE_PGM_RSRC2:SCRATCH_EN: 1
; COMPUTE_PGM_RSRC2:USER_SGPR: 2
; COMPUTE_PGM_RSRC2:TRAP_HANDLER: 0
; COMPUTE_PGM_RSRC2:TGID_X_EN: 1
; COMPUTE_PGM_RSRC2:TGID_Y_EN: 0
; COMPUTE_PGM_RSRC2:TGID_Z_EN: 0
; COMPUTE_PGM_RSRC2:TIDIG_COMP_CNT: 0
; COMPUTE_PGM_RSRC3_GFX90A:ACCUM_OFFSET: 28
; COMPUTE_PGM_RSRC3_GFX90A:TG_SPLIT: 0
	.section	.text._ZN9rocsolver6v33100L18trti2_kernel_smallILi51EdPKPdEEv13rocblas_fill_17rocblas_diagonal_T1_iil,"axG",@progbits,_ZN9rocsolver6v33100L18trti2_kernel_smallILi51EdPKPdEEv13rocblas_fill_17rocblas_diagonal_T1_iil,comdat
	.globl	_ZN9rocsolver6v33100L18trti2_kernel_smallILi51EdPKPdEEv13rocblas_fill_17rocblas_diagonal_T1_iil ; -- Begin function _ZN9rocsolver6v33100L18trti2_kernel_smallILi51EdPKPdEEv13rocblas_fill_17rocblas_diagonal_T1_iil
	.p2align	8
	.type	_ZN9rocsolver6v33100L18trti2_kernel_smallILi51EdPKPdEEv13rocblas_fill_17rocblas_diagonal_T1_iil,@function
_ZN9rocsolver6v33100L18trti2_kernel_smallILi51EdPKPdEEv13rocblas_fill_17rocblas_diagonal_T1_iil: ; @_ZN9rocsolver6v33100L18trti2_kernel_smallILi51EdPKPdEEv13rocblas_fill_17rocblas_diagonal_T1_iil
; %bb.0:
	v_cmp_gt_u32_e32 vcc, 51, v0
	s_and_saveexec_b64 s[4:5], vcc
	s_cbranch_execz .LBB114_990
; %bb.1:
	s_load_dwordx2 s[8:9], s[0:1], 0x10
	s_load_dwordx4 s[4:7], s[0:1], 0x0
	s_ashr_i32 s3, s2, 31
	s_lshl_b64 s[0:1], s[2:3], 3
	v_lshlrev_b32_e32 v18, 3, v0
	s_waitcnt lgkmcnt(0)
	s_ashr_i32 s3, s8, 31
	s_add_u32 s0, s6, s0
	s_addc_u32 s1, s7, s1
	s_load_dwordx2 s[0:1], s[0:1], 0x0
	s_mov_b32 s2, s8
	s_lshl_b64 s[2:3], s[2:3], 3
	v_mov_b32_e32 v19, 0
	s_waitcnt lgkmcnt(0)
	s_add_u32 s0, s0, s2
	s_addc_u32 s1, s1, s3
	v_lshl_add_u64 v[2:3], s[0:1], 0, v[18:19]
	flat_load_dwordx2 v[6:7], v[2:3]
	s_mov_b32 s2, s9
	s_ashr_i32 s3, s9, 31
	v_lshl_add_u64 v[4:5], s[2:3], 3, v[2:3]
	s_add_i32 s2, s9, s9
	v_add_u32_e32 v10, s2, v0
	v_ashrrev_i32_e32 v11, 31, v10
	s_cmpk_lg_i32 s5, 0x84
	s_cselect_b64 s[6:7], -1, 0
	s_cmpk_eq_i32 s5, 0x84
	s_waitcnt vmcnt(0) lgkmcnt(0)
	scratch_store_dwordx2 off, v[6:7], off
	flat_load_dwordx2 v[8:9], v[4:5]
	v_lshl_add_u64 v[6:7], v[10:11], 3, s[0:1]
	v_add_u32_e32 v10, s9, v10
	v_ashrrev_i32_e32 v11, 31, v10
	v_add_u32_e32 v14, s9, v10
	v_ashrrev_i32_e32 v15, 31, v14
	s_waitcnt vmcnt(0) lgkmcnt(0)
	scratch_store_dwordx2 off, v[8:9], off offset:8
	flat_load_dwordx2 v[12:13], v[6:7]
	v_lshl_add_u64 v[8:9], v[10:11], 3, s[0:1]
	v_lshl_add_u64 v[10:11], v[14:15], 3, s[0:1]
	v_add_u32_e32 v14, s9, v14
	v_ashrrev_i32_e32 v15, 31, v14
	v_add_u32_e32 v20, s9, v14
	v_ashrrev_i32_e32 v21, 31, v20
	s_waitcnt vmcnt(0) lgkmcnt(0)
	scratch_store_dwordx2 off, v[12:13], off offset:16
	flat_load_dwordx2 v[12:13], v[8:9]
	s_waitcnt vmcnt(0) lgkmcnt(0)
	scratch_store_dwordx2 off, v[12:13], off offset:24
	flat_load_dwordx2 v[16:17], v[10:11]
	v_lshl_add_u64 v[12:13], v[14:15], 3, s[0:1]
	v_lshl_add_u64 v[14:15], v[20:21], 3, s[0:1]
	v_add_u32_e32 v20, s9, v20
	v_ashrrev_i32_e32 v21, 31, v20
	v_add_u32_e32 v24, s9, v20
	v_ashrrev_i32_e32 v25, 31, v24
	s_waitcnt vmcnt(0) lgkmcnt(0)
	scratch_store_dwordx2 off, v[16:17], off offset:32
	flat_load_dwordx2 v[16:17], v[12:13]
	s_waitcnt vmcnt(0) lgkmcnt(0)
	scratch_store_dwordx2 off, v[16:17], off offset:40
	flat_load_dwordx2 v[22:23], v[14:15]
	v_lshl_add_u64 v[16:17], v[20:21], 3, s[0:1]
	v_lshl_add_u64 v[20:21], v[24:25], 3, s[0:1]
	v_add_u32_e32 v24, s9, v24
	v_ashrrev_i32_e32 v25, 31, v24
	v_add_u32_e32 v28, s9, v24
	v_ashrrev_i32_e32 v29, 31, v28
	s_waitcnt vmcnt(0) lgkmcnt(0)
	scratch_store_dwordx2 off, v[22:23], off offset:48
	flat_load_dwordx2 v[22:23], v[16:17]
	s_waitcnt vmcnt(0) lgkmcnt(0)
	scratch_store_dwordx2 off, v[22:23], off offset:56
	flat_load_dwordx2 v[26:27], v[20:21]
	v_lshl_add_u64 v[22:23], v[24:25], 3, s[0:1]
	v_lshl_add_u64 v[24:25], v[28:29], 3, s[0:1]
	v_add_u32_e32 v28, s9, v28
	v_ashrrev_i32_e32 v29, 31, v28
	v_add_u32_e32 v32, s9, v28
	v_ashrrev_i32_e32 v33, 31, v32
	s_waitcnt vmcnt(0) lgkmcnt(0)
	scratch_store_dwordx2 off, v[26:27], off offset:64
	flat_load_dwordx2 v[26:27], v[22:23]
	s_waitcnt vmcnt(0) lgkmcnt(0)
	scratch_store_dwordx2 off, v[26:27], off offset:72
	flat_load_dwordx2 v[30:31], v[24:25]
	v_lshl_add_u64 v[26:27], v[28:29], 3, s[0:1]
	v_lshl_add_u64 v[28:29], v[32:33], 3, s[0:1]
	v_add_u32_e32 v32, s9, v32
	v_ashrrev_i32_e32 v33, 31, v32
	v_add_u32_e32 v36, s9, v32
	v_ashrrev_i32_e32 v37, 31, v36
	s_waitcnt vmcnt(0) lgkmcnt(0)
	scratch_store_dwordx2 off, v[30:31], off offset:80
	flat_load_dwordx2 v[30:31], v[26:27]
	s_waitcnt vmcnt(0) lgkmcnt(0)
	scratch_store_dwordx2 off, v[30:31], off offset:88
	flat_load_dwordx2 v[34:35], v[28:29]
	v_lshl_add_u64 v[30:31], v[32:33], 3, s[0:1]
	v_lshl_add_u64 v[32:33], v[36:37], 3, s[0:1]
	v_add_u32_e32 v36, s9, v36
	v_ashrrev_i32_e32 v37, 31, v36
	v_add_u32_e32 v40, s9, v36
	v_ashrrev_i32_e32 v41, 31, v40
	s_waitcnt vmcnt(0) lgkmcnt(0)
	scratch_store_dwordx2 off, v[34:35], off offset:96
	flat_load_dwordx2 v[34:35], v[30:31]
	s_waitcnt vmcnt(0) lgkmcnt(0)
	scratch_store_dwordx2 off, v[34:35], off offset:104
	flat_load_dwordx2 v[38:39], v[32:33]
	v_lshl_add_u64 v[34:35], v[36:37], 3, s[0:1]
	v_lshl_add_u64 v[36:37], v[40:41], 3, s[0:1]
	v_add_u32_e32 v40, s9, v40
	v_ashrrev_i32_e32 v41, 31, v40
	v_add_u32_e32 v44, s9, v40
	v_ashrrev_i32_e32 v45, 31, v44
	s_waitcnt vmcnt(0) lgkmcnt(0)
	scratch_store_dwordx2 off, v[38:39], off offset:112
	flat_load_dwordx2 v[38:39], v[34:35]
	s_waitcnt vmcnt(0) lgkmcnt(0)
	scratch_store_dwordx2 off, v[38:39], off offset:120
	flat_load_dwordx2 v[42:43], v[36:37]
	v_lshl_add_u64 v[38:39], v[40:41], 3, s[0:1]
	v_lshl_add_u64 v[40:41], v[44:45], 3, s[0:1]
	v_add_u32_e32 v44, s9, v44
	v_ashrrev_i32_e32 v45, 31, v44
	v_add_u32_e32 v48, s9, v44
	v_ashrrev_i32_e32 v49, 31, v48
	s_waitcnt vmcnt(0) lgkmcnt(0)
	scratch_store_dwordx2 off, v[42:43], off offset:128
	flat_load_dwordx2 v[42:43], v[38:39]
	s_waitcnt vmcnt(0) lgkmcnt(0)
	scratch_store_dwordx2 off, v[42:43], off offset:136
	flat_load_dwordx2 v[46:47], v[40:41]
	v_lshl_add_u64 v[42:43], v[44:45], 3, s[0:1]
	v_lshl_add_u64 v[44:45], v[48:49], 3, s[0:1]
	v_add_u32_e32 v48, s9, v48
	v_ashrrev_i32_e32 v49, 31, v48
	v_add_u32_e32 v52, s9, v48
	v_ashrrev_i32_e32 v53, 31, v52
	s_waitcnt vmcnt(0) lgkmcnt(0)
	scratch_store_dwordx2 off, v[46:47], off offset:144
	flat_load_dwordx2 v[46:47], v[42:43]
	s_waitcnt vmcnt(0) lgkmcnt(0)
	scratch_store_dwordx2 off, v[46:47], off offset:152
	flat_load_dwordx2 v[50:51], v[44:45]
	v_lshl_add_u64 v[46:47], v[48:49], 3, s[0:1]
	v_lshl_add_u64 v[48:49], v[52:53], 3, s[0:1]
	v_add_u32_e32 v52, s9, v52
	v_ashrrev_i32_e32 v53, 31, v52
	v_add_u32_e32 v56, s9, v52
	v_ashrrev_i32_e32 v57, 31, v56
	s_waitcnt vmcnt(0) lgkmcnt(0)
	scratch_store_dwordx2 off, v[50:51], off offset:160
	flat_load_dwordx2 v[50:51], v[46:47]
	s_waitcnt vmcnt(0) lgkmcnt(0)
	scratch_store_dwordx2 off, v[50:51], off offset:168
	flat_load_dwordx2 v[54:55], v[48:49]
	v_lshl_add_u64 v[50:51], v[52:53], 3, s[0:1]
	v_lshl_add_u64 v[52:53], v[56:57], 3, s[0:1]
	v_add_u32_e32 v56, s9, v56
	v_ashrrev_i32_e32 v57, 31, v56
	v_add_u32_e32 v60, s9, v56
	v_ashrrev_i32_e32 v61, 31, v60
	s_waitcnt vmcnt(0) lgkmcnt(0)
	scratch_store_dwordx2 off, v[54:55], off offset:176
	flat_load_dwordx2 v[54:55], v[50:51]
	s_waitcnt vmcnt(0) lgkmcnt(0)
	scratch_store_dwordx2 off, v[54:55], off offset:184
	flat_load_dwordx2 v[58:59], v[52:53]
	v_lshl_add_u64 v[54:55], v[56:57], 3, s[0:1]
	v_lshl_add_u64 v[56:57], v[60:61], 3, s[0:1]
	v_add_u32_e32 v60, s9, v60
	v_ashrrev_i32_e32 v61, 31, v60
	v_add_u32_e32 v64, s9, v60
	v_ashrrev_i32_e32 v65, 31, v64
	s_waitcnt vmcnt(0) lgkmcnt(0)
	scratch_store_dwordx2 off, v[58:59], off offset:192
	flat_load_dwordx2 v[58:59], v[54:55]
	s_waitcnt vmcnt(0) lgkmcnt(0)
	scratch_store_dwordx2 off, v[58:59], off offset:200
	flat_load_dwordx2 v[62:63], v[56:57]
	v_lshl_add_u64 v[58:59], v[60:61], 3, s[0:1]
	v_lshl_add_u64 v[60:61], v[64:65], 3, s[0:1]
	v_add_u32_e32 v64, s9, v64
	v_ashrrev_i32_e32 v65, 31, v64
	v_add_u32_e32 v68, s9, v64
	v_ashrrev_i32_e32 v69, 31, v68
	s_waitcnt vmcnt(0) lgkmcnt(0)
	scratch_store_dwordx2 off, v[62:63], off offset:208
	flat_load_dwordx2 v[62:63], v[58:59]
	s_waitcnt vmcnt(0) lgkmcnt(0)
	scratch_store_dwordx2 off, v[62:63], off offset:216
	flat_load_dwordx2 v[66:67], v[60:61]
	v_lshl_add_u64 v[62:63], v[64:65], 3, s[0:1]
	v_lshl_add_u64 v[64:65], v[68:69], 3, s[0:1]
	v_add_u32_e32 v68, s9, v68
	v_ashrrev_i32_e32 v69, 31, v68
	v_add_u32_e32 v72, s9, v68
	v_ashrrev_i32_e32 v73, 31, v72
	s_waitcnt vmcnt(0) lgkmcnt(0)
	scratch_store_dwordx2 off, v[66:67], off offset:224
	flat_load_dwordx2 v[66:67], v[62:63]
	s_waitcnt vmcnt(0) lgkmcnt(0)
	scratch_store_dwordx2 off, v[66:67], off offset:232
	flat_load_dwordx2 v[70:71], v[64:65]
	v_lshl_add_u64 v[66:67], v[68:69], 3, s[0:1]
	v_lshl_add_u64 v[68:69], v[72:73], 3, s[0:1]
	v_add_u32_e32 v72, s9, v72
	v_ashrrev_i32_e32 v73, 31, v72
	v_add_u32_e32 v76, s9, v72
	v_ashrrev_i32_e32 v77, 31, v76
	s_waitcnt vmcnt(0) lgkmcnt(0)
	scratch_store_dwordx2 off, v[70:71], off offset:240
	flat_load_dwordx2 v[70:71], v[66:67]
	s_waitcnt vmcnt(0) lgkmcnt(0)
	scratch_store_dwordx2 off, v[70:71], off offset:248
	flat_load_dwordx2 v[74:75], v[68:69]
	v_lshl_add_u64 v[70:71], v[72:73], 3, s[0:1]
	v_lshl_add_u64 v[72:73], v[76:77], 3, s[0:1]
	v_add_u32_e32 v76, s9, v76
	v_ashrrev_i32_e32 v77, 31, v76
	v_add_u32_e32 v80, s9, v76
	v_ashrrev_i32_e32 v81, 31, v80
	s_waitcnt vmcnt(0) lgkmcnt(0)
	scratch_store_dwordx2 off, v[74:75], off offset:256
	flat_load_dwordx2 v[74:75], v[70:71]
	s_waitcnt vmcnt(0) lgkmcnt(0)
	scratch_store_dwordx2 off, v[74:75], off offset:264
	flat_load_dwordx2 v[78:79], v[72:73]
	v_lshl_add_u64 v[74:75], v[76:77], 3, s[0:1]
	v_lshl_add_u64 v[76:77], v[80:81], 3, s[0:1]
	v_add_u32_e32 v80, s9, v80
	v_ashrrev_i32_e32 v81, 31, v80
	v_add_u32_e32 v84, s9, v80
	v_ashrrev_i32_e32 v85, 31, v84
	s_waitcnt vmcnt(0) lgkmcnt(0)
	scratch_store_dwordx2 off, v[78:79], off offset:272
	flat_load_dwordx2 v[78:79], v[74:75]
	s_waitcnt vmcnt(0) lgkmcnt(0)
	scratch_store_dwordx2 off, v[78:79], off offset:280
	flat_load_dwordx2 v[82:83], v[76:77]
	v_lshl_add_u64 v[78:79], v[80:81], 3, s[0:1]
	v_lshl_add_u64 v[80:81], v[84:85], 3, s[0:1]
	v_add_u32_e32 v84, s9, v84
	v_ashrrev_i32_e32 v85, 31, v84
	v_add_u32_e32 v88, s9, v84
	v_ashrrev_i32_e32 v89, 31, v88
	s_waitcnt vmcnt(0) lgkmcnt(0)
	scratch_store_dwordx2 off, v[82:83], off offset:288
	flat_load_dwordx2 v[82:83], v[78:79]
	s_waitcnt vmcnt(0) lgkmcnt(0)
	scratch_store_dwordx2 off, v[82:83], off offset:296
	flat_load_dwordx2 v[86:87], v[80:81]
	v_lshl_add_u64 v[82:83], v[84:85], 3, s[0:1]
	v_lshl_add_u64 v[84:85], v[88:89], 3, s[0:1]
	v_add_u32_e32 v88, s9, v88
	v_ashrrev_i32_e32 v89, 31, v88
	v_add_u32_e32 v92, s9, v88
	v_ashrrev_i32_e32 v93, 31, v92
	s_waitcnt vmcnt(0) lgkmcnt(0)
	scratch_store_dwordx2 off, v[86:87], off offset:304
	flat_load_dwordx2 v[86:87], v[82:83]
	s_waitcnt vmcnt(0) lgkmcnt(0)
	scratch_store_dwordx2 off, v[86:87], off offset:312
	flat_load_dwordx2 v[90:91], v[84:85]
	v_lshl_add_u64 v[86:87], v[88:89], 3, s[0:1]
	v_lshl_add_u64 v[88:89], v[92:93], 3, s[0:1]
	v_add_u32_e32 v92, s9, v92
	v_ashrrev_i32_e32 v93, 31, v92
	v_add_u32_e32 v96, s9, v92
	v_ashrrev_i32_e32 v97, 31, v96
	s_waitcnt vmcnt(0) lgkmcnt(0)
	scratch_store_dwordx2 off, v[90:91], off offset:320
	flat_load_dwordx2 v[90:91], v[86:87]
	s_waitcnt vmcnt(0) lgkmcnt(0)
	scratch_store_dwordx2 off, v[90:91], off offset:328
	flat_load_dwordx2 v[94:95], v[88:89]
	v_lshl_add_u64 v[90:91], v[92:93], 3, s[0:1]
	v_lshl_add_u64 v[92:93], v[96:97], 3, s[0:1]
	v_add_u32_e32 v96, s9, v96
	v_ashrrev_i32_e32 v97, 31, v96
	v_add_u32_e32 v100, s9, v96
	v_ashrrev_i32_e32 v101, 31, v100
	s_waitcnt vmcnt(0) lgkmcnt(0)
	scratch_store_dwordx2 off, v[94:95], off offset:336
	flat_load_dwordx2 v[94:95], v[90:91]
	s_waitcnt vmcnt(0) lgkmcnt(0)
	scratch_store_dwordx2 off, v[94:95], off offset:344
	flat_load_dwordx2 v[98:99], v[92:93]
	v_lshl_add_u64 v[94:95], v[96:97], 3, s[0:1]
	v_lshl_add_u64 v[96:97], v[100:101], 3, s[0:1]
	v_add_u32_e32 v100, s9, v100
	v_ashrrev_i32_e32 v101, 31, v100
	v_add_u32_e32 v104, s9, v100
	v_ashrrev_i32_e32 v105, 31, v104
	s_waitcnt vmcnt(0) lgkmcnt(0)
	scratch_store_dwordx2 off, v[98:99], off offset:352
	flat_load_dwordx2 v[98:99], v[94:95]
	s_waitcnt vmcnt(0) lgkmcnt(0)
	scratch_store_dwordx2 off, v[98:99], off offset:360
	flat_load_dwordx2 v[102:103], v[96:97]
	v_lshl_add_u64 v[98:99], v[100:101], 3, s[0:1]
	v_lshl_add_u64 v[100:101], v[104:105], 3, s[0:1]
	v_add_u32_e32 v104, s9, v104
	v_ashrrev_i32_e32 v105, 31, v104
	s_waitcnt vmcnt(0) lgkmcnt(0)
	scratch_store_dwordx2 off, v[102:103], off offset:368
	flat_load_dwordx2 v[102:103], v[98:99]
	s_waitcnt vmcnt(0) lgkmcnt(0)
	scratch_store_dwordx2 off, v[102:103], off offset:376
	flat_load_dwordx2 v[106:107], v[100:101]
	v_lshl_add_u64 v[102:103], v[104:105], 3, s[0:1]
	v_add_u32_e32 v104, s9, v104
	v_ashrrev_i32_e32 v105, 31, v104
	v_lshl_add_u64 v[104:105], v[104:105], 3, s[0:1]
	s_waitcnt vmcnt(0) lgkmcnt(0)
	scratch_store_dwordx2 off, v[106:107], off offset:384
	flat_load_dwordx2 v[106:107], v[102:103]
	s_waitcnt vmcnt(0) lgkmcnt(0)
	scratch_store_dwordx2 off, v[106:107], off offset:392
	flat_load_dwordx2 v[106:107], v[104:105]
	s_waitcnt vmcnt(0) lgkmcnt(0)
	scratch_store_dwordx2 off, v[106:107], off offset:400
	v_mov_b64_e32 v[106:107], -1.0
	s_cbranch_scc1 .LBB114_3
; %bb.2:
	scratch_load_dwordx2 v[106:107], v18, off
	s_waitcnt vmcnt(0)
	v_div_scale_f64 v[108:109], s[0:1], v[106:107], v[106:107], 1.0
	v_rcp_f64_e32 v[110:111], v[108:109]
	v_div_scale_f64 v[112:113], vcc, 1.0, v[106:107], 1.0
	v_fma_f64 v[114:115], -v[108:109], v[110:111], 1.0
	v_fmac_f64_e32 v[110:111], v[110:111], v[114:115]
	v_fma_f64 v[114:115], -v[108:109], v[110:111], 1.0
	v_fmac_f64_e32 v[110:111], v[110:111], v[114:115]
	v_mul_f64 v[114:115], v[112:113], v[110:111]
	v_fma_f64 v[108:109], -v[108:109], v[114:115], v[112:113]
	v_div_fmas_f64 v[108:109], v[108:109], v[110:111], v[114:115]
	v_div_fixup_f64 v[106:107], v[108:109], v[106:107], 1.0
	scratch_store_dwordx2 v18, v[106:107], off
	v_xor_b32_e32 v107, 0x80000000, v107
.LBB114_3:
	s_cmpk_eq_i32 s4, 0x79
	v_add_u32_e32 v1, 0x1a0, v18
	v_mov_b32_e32 v19, v18
	s_mov_b64 s[0:1], -1
	ds_write_b64 v18, v[106:107]
	s_cbranch_scc1 .LBB114_497
; %bb.4:
	scratch_load_dwordx2 v[106:107], off, off offset:392
	s_movk_i32 s8, 0x48
	s_movk_i32 s9, 0x50
	;; [unrolled: 1-line block ×40, first 2 shown]
	v_cmp_eq_u32_e64 s[0:1], 50, v0
	s_waitcnt vmcnt(0)
	ds_write_b64 v1, v[106:107]
	s_waitcnt lgkmcnt(0)
	; wave barrier
	s_and_saveexec_b64 s[2:3], s[0:1]
	s_cbranch_execz .LBB114_10
; %bb.5:
	s_and_b64 vcc, exec, s[6:7]
	s_cbranch_vccz .LBB114_7
; %bb.6:
	scratch_load_dwordx2 v[106:107], v19, off
	ds_read_b64 v[108:109], v1
	s_waitcnt vmcnt(0) lgkmcnt(0)
	v_mul_f64 v[106:107], v[106:107], v[108:109]
	s_cbranch_execz .LBB114_8
	s_branch .LBB114_9
.LBB114_7:
                                        ; implicit-def: $vgpr106_vgpr107
.LBB114_8:
	ds_read_b64 v[106:107], v1
.LBB114_9:
	v_mov_b32_e32 v108, 0
	ds_read_b64 v[108:109], v108 offset:392
	s_waitcnt lgkmcnt(0)
	v_mul_f64 v[106:107], v[106:107], v[108:109]
	scratch_store_dwordx2 off, v[106:107], off offset:392
.LBB114_10:
	s_or_b64 exec, exec, s[2:3]
	scratch_load_dwordx2 v[106:107], off, off offset:384
	s_or_b32 s10, 0, 8
	s_mov_b32 s11, 16
	s_mov_b32 s12, 24
	;; [unrolled: 1-line block ×9, first 2 shown]
	v_cmp_lt_u32_e64 s[2:3], 48, v0
	s_waitcnt vmcnt(0)
	ds_write_b64 v1, v[106:107]
	s_waitcnt lgkmcnt(0)
	; wave barrier
	s_and_saveexec_b64 s[4:5], s[2:3]
	s_cbranch_execz .LBB114_16
; %bb.11:
	s_andn2_b64 vcc, exec, s[6:7]
	s_cbranch_vccnz .LBB114_13
; %bb.12:
	scratch_load_dwordx2 v[106:107], v19, off
	ds_read_b64 v[108:109], v1
	s_waitcnt vmcnt(0) lgkmcnt(0)
	v_mul_f64 v[106:107], v[106:107], v[108:109]
	s_cbranch_execz .LBB114_14
	s_branch .LBB114_15
.LBB114_13:
                                        ; implicit-def: $vgpr106_vgpr107
.LBB114_14:
	ds_read_b64 v[106:107], v1
.LBB114_15:
	scratch_load_dwordx2 v[112:113], off, off offset:392
	v_mov_b32_e32 v108, 0
	ds_read2_b64 v[108:111], v108 offset0:48 offset1:101
	s_waitcnt vmcnt(0) lgkmcnt(0)
	v_fma_f64 v[110:111], v[112:113], v[110:111], v[106:107]
	v_cndmask_b32_e64 v107, v107, v111, s[0:1]
	v_cndmask_b32_e64 v106, v106, v110, s[0:1]
	v_mul_f64 v[106:107], v[106:107], v[108:109]
	scratch_store_dwordx2 off, v[106:107], off offset:384
.LBB114_16:
	s_or_b64 exec, exec, s[4:5]
	scratch_load_dwordx2 v[106:107], off, off offset:376
	v_cmp_lt_u32_e64 s[0:1], 47, v0
	s_waitcnt vmcnt(0)
	ds_write_b64 v1, v[106:107]
	s_waitcnt lgkmcnt(0)
	; wave barrier
	s_and_saveexec_b64 s[4:5], s[0:1]
	s_cbranch_execz .LBB114_26
; %bb.17:
	s_andn2_b64 vcc, exec, s[6:7]
	s_cbranch_vccnz .LBB114_19
; %bb.18:
	scratch_load_dwordx2 v[106:107], v19, off
	ds_read_b64 v[108:109], v1
	s_waitcnt vmcnt(0) lgkmcnt(0)
	v_mul_f64 v[106:107], v[106:107], v[108:109]
	s_cbranch_execz .LBB114_20
	s_branch .LBB114_21
.LBB114_19:
                                        ; implicit-def: $vgpr106_vgpr107
.LBB114_20:
	ds_read_b64 v[106:107], v1
.LBB114_21:
	s_and_saveexec_b64 s[8:9], s[2:3]
	s_cbranch_execz .LBB114_25
; %bb.22:
	v_subrev_u32_e32 v108, 48, v0
	s_movk_i32 s59, 0x320
	s_mov_b64 s[2:3], 0
.LBB114_23:                             ; =>This Inner Loop Header: Depth=1
	scratch_load_dwordx2 v[110:111], off, s58
	v_mov_b32_e32 v109, s59
	ds_read_b64 v[112:113], v109
	v_add_u32_e32 v108, -1, v108
	s_add_i32 s59, s59, 8
	s_add_i32 s58, s58, 8
	v_cmp_eq_u32_e32 vcc, 0, v108
	s_or_b64 s[2:3], vcc, s[2:3]
	s_waitcnt vmcnt(0) lgkmcnt(0)
	v_fmac_f64_e32 v[106:107], v[110:111], v[112:113]
	s_andn2_b64 exec, exec, s[2:3]
	s_cbranch_execnz .LBB114_23
; %bb.24:
	s_or_b64 exec, exec, s[2:3]
.LBB114_25:
	s_or_b64 exec, exec, s[8:9]
	v_mov_b32_e32 v108, 0
	ds_read_b64 v[108:109], v108 offset:376
	s_waitcnt lgkmcnt(0)
	v_mul_f64 v[106:107], v[106:107], v[108:109]
	scratch_store_dwordx2 off, v[106:107], off offset:376
.LBB114_26:
	s_or_b64 exec, exec, s[4:5]
	scratch_load_dwordx2 v[106:107], off, off offset:368
	v_cmp_lt_u32_e64 s[2:3], 46, v0
	s_waitcnt vmcnt(0)
	ds_write_b64 v1, v[106:107]
	s_waitcnt lgkmcnt(0)
	; wave barrier
	s_and_saveexec_b64 s[4:5], s[2:3]
	s_cbranch_execz .LBB114_36
; %bb.27:
	s_andn2_b64 vcc, exec, s[6:7]
	s_cbranch_vccnz .LBB114_29
; %bb.28:
	scratch_load_dwordx2 v[106:107], v19, off
	ds_read_b64 v[108:109], v1
	s_waitcnt vmcnt(0) lgkmcnt(0)
	v_mul_f64 v[106:107], v[106:107], v[108:109]
	s_cbranch_execz .LBB114_30
	s_branch .LBB114_31
.LBB114_29:
                                        ; implicit-def: $vgpr106_vgpr107
.LBB114_30:
	ds_read_b64 v[106:107], v1
.LBB114_31:
	s_and_saveexec_b64 s[8:9], s[0:1]
	s_cbranch_execz .LBB114_35
; %bb.32:
	v_subrev_u32_e32 v108, 47, v0
	s_movk_i32 s58, 0x318
	s_mov_b64 s[0:1], 0
.LBB114_33:                             ; =>This Inner Loop Header: Depth=1
	scratch_load_dwordx2 v[110:111], off, s57
	v_mov_b32_e32 v109, s58
	ds_read_b64 v[112:113], v109
	v_add_u32_e32 v108, -1, v108
	s_add_i32 s58, s58, 8
	s_add_i32 s57, s57, 8
	v_cmp_eq_u32_e32 vcc, 0, v108
	s_or_b64 s[0:1], vcc, s[0:1]
	s_waitcnt vmcnt(0) lgkmcnt(0)
	v_fmac_f64_e32 v[106:107], v[110:111], v[112:113]
	s_andn2_b64 exec, exec, s[0:1]
	s_cbranch_execnz .LBB114_33
; %bb.34:
	s_or_b64 exec, exec, s[0:1]
.LBB114_35:
	s_or_b64 exec, exec, s[8:9]
	v_mov_b32_e32 v108, 0
	ds_read_b64 v[108:109], v108 offset:368
	s_waitcnt lgkmcnt(0)
	v_mul_f64 v[106:107], v[106:107], v[108:109]
	scratch_store_dwordx2 off, v[106:107], off offset:368
.LBB114_36:
	;; [unrolled: 53-line block ×8, first 2 shown]
	s_or_b64 exec, exec, s[4:5]
	scratch_load_dwordx2 v[106:107], off, off offset:312
	v_cmp_lt_u32_e64 s[0:1], 39, v0
	s_waitcnt vmcnt(0)
	ds_write_b64 v1, v[106:107]
	s_waitcnt lgkmcnt(0)
	; wave barrier
	s_and_saveexec_b64 s[4:5], s[0:1]
	s_cbranch_execz .LBB114_106
; %bb.97:
	s_andn2_b64 vcc, exec, s[6:7]
	s_cbranch_vccnz .LBB114_99
; %bb.98:
	scratch_load_dwordx2 v[106:107], v19, off
	ds_read_b64 v[108:109], v1
	s_waitcnt vmcnt(0) lgkmcnt(0)
	v_mul_f64 v[106:107], v[106:107], v[108:109]
	s_cbranch_execz .LBB114_100
	s_branch .LBB114_101
.LBB114_99:
                                        ; implicit-def: $vgpr106_vgpr107
.LBB114_100:
	ds_read_b64 v[106:107], v1
.LBB114_101:
	s_and_saveexec_b64 s[8:9], s[2:3]
	s_cbranch_execz .LBB114_105
; %bb.102:
	v_subrev_u32_e32 v108, 40, v0
	s_movk_i32 s51, 0x2e0
	s_mov_b64 s[2:3], 0
.LBB114_103:                            ; =>This Inner Loop Header: Depth=1
	scratch_load_dwordx2 v[110:111], off, s50
	v_mov_b32_e32 v109, s51
	ds_read_b64 v[112:113], v109
	v_add_u32_e32 v108, -1, v108
	s_add_i32 s51, s51, 8
	s_add_i32 s50, s50, 8
	v_cmp_eq_u32_e32 vcc, 0, v108
	s_or_b64 s[2:3], vcc, s[2:3]
	s_waitcnt vmcnt(0) lgkmcnt(0)
	v_fmac_f64_e32 v[106:107], v[110:111], v[112:113]
	s_andn2_b64 exec, exec, s[2:3]
	s_cbranch_execnz .LBB114_103
; %bb.104:
	s_or_b64 exec, exec, s[2:3]
.LBB114_105:
	s_or_b64 exec, exec, s[8:9]
	v_mov_b32_e32 v108, 0
	ds_read_b64 v[108:109], v108 offset:312
	s_waitcnt lgkmcnt(0)
	v_mul_f64 v[106:107], v[106:107], v[108:109]
	scratch_store_dwordx2 off, v[106:107], off offset:312
.LBB114_106:
	s_or_b64 exec, exec, s[4:5]
	scratch_load_dwordx2 v[106:107], off, off offset:304
	v_cmp_lt_u32_e64 s[2:3], 38, v0
	s_waitcnt vmcnt(0)
	ds_write_b64 v1, v[106:107]
	s_waitcnt lgkmcnt(0)
	; wave barrier
	s_and_saveexec_b64 s[4:5], s[2:3]
	s_cbranch_execz .LBB114_116
; %bb.107:
	s_andn2_b64 vcc, exec, s[6:7]
	s_cbranch_vccnz .LBB114_109
; %bb.108:
	scratch_load_dwordx2 v[106:107], v19, off
	ds_read_b64 v[108:109], v1
	s_waitcnt vmcnt(0) lgkmcnt(0)
	v_mul_f64 v[106:107], v[106:107], v[108:109]
	s_cbranch_execz .LBB114_110
	s_branch .LBB114_111
.LBB114_109:
                                        ; implicit-def: $vgpr106_vgpr107
.LBB114_110:
	ds_read_b64 v[106:107], v1
.LBB114_111:
	s_and_saveexec_b64 s[8:9], s[0:1]
	s_cbranch_execz .LBB114_115
; %bb.112:
	v_subrev_u32_e32 v108, 39, v0
	s_movk_i32 s50, 0x2d8
	s_mov_b64 s[0:1], 0
.LBB114_113:                            ; =>This Inner Loop Header: Depth=1
	scratch_load_dwordx2 v[110:111], off, s49
	v_mov_b32_e32 v109, s50
	ds_read_b64 v[112:113], v109
	v_add_u32_e32 v108, -1, v108
	s_add_i32 s50, s50, 8
	s_add_i32 s49, s49, 8
	v_cmp_eq_u32_e32 vcc, 0, v108
	s_or_b64 s[0:1], vcc, s[0:1]
	s_waitcnt vmcnt(0) lgkmcnt(0)
	v_fmac_f64_e32 v[106:107], v[110:111], v[112:113]
	s_andn2_b64 exec, exec, s[0:1]
	s_cbranch_execnz .LBB114_113
; %bb.114:
	s_or_b64 exec, exec, s[0:1]
.LBB114_115:
	s_or_b64 exec, exec, s[8:9]
	v_mov_b32_e32 v108, 0
	ds_read_b64 v[108:109], v108 offset:304
	s_waitcnt lgkmcnt(0)
	v_mul_f64 v[106:107], v[106:107], v[108:109]
	scratch_store_dwordx2 off, v[106:107], off offset:304
.LBB114_116:
	;; [unrolled: 53-line block ×24, first 2 shown]
	s_or_b64 exec, exec, s[4:5]
	scratch_load_dwordx2 v[106:107], off, off offset:120
	v_cmp_lt_u32_e64 s[0:1], 15, v0
	s_waitcnt vmcnt(0)
	ds_write_b64 v1, v[106:107]
	s_waitcnt lgkmcnt(0)
	; wave barrier
	s_and_saveexec_b64 s[4:5], s[0:1]
	s_cbranch_execz .LBB114_346
; %bb.337:
	s_andn2_b64 vcc, exec, s[6:7]
	s_cbranch_vccnz .LBB114_339
; %bb.338:
	scratch_load_dwordx2 v[106:107], v19, off
	ds_read_b64 v[108:109], v1
	s_waitcnt vmcnt(0) lgkmcnt(0)
	v_mul_f64 v[106:107], v[106:107], v[108:109]
	s_cbranch_execz .LBB114_340
	s_branch .LBB114_341
.LBB114_339:
                                        ; implicit-def: $vgpr106_vgpr107
.LBB114_340:
	ds_read_b64 v[106:107], v1
.LBB114_341:
	s_and_saveexec_b64 s[8:9], s[2:3]
	s_cbranch_execz .LBB114_345
; %bb.342:
	v_add_u32_e32 v108, -16, v0
	s_movk_i32 s26, 0x220
	s_mov_b64 s[2:3], 0
.LBB114_343:                            ; =>This Inner Loop Header: Depth=1
	scratch_load_dwordx2 v[110:111], off, s25
	v_mov_b32_e32 v109, s26
	ds_read_b64 v[112:113], v109
	v_add_u32_e32 v108, -1, v108
	s_add_i32 s26, s26, 8
	s_add_i32 s25, s25, 8
	v_cmp_eq_u32_e32 vcc, 0, v108
	s_or_b64 s[2:3], vcc, s[2:3]
	s_waitcnt vmcnt(0) lgkmcnt(0)
	v_fmac_f64_e32 v[106:107], v[110:111], v[112:113]
	s_andn2_b64 exec, exec, s[2:3]
	s_cbranch_execnz .LBB114_343
; %bb.344:
	s_or_b64 exec, exec, s[2:3]
.LBB114_345:
	s_or_b64 exec, exec, s[8:9]
	v_mov_b32_e32 v108, 0
	ds_read_b64 v[108:109], v108 offset:120
	s_waitcnt lgkmcnt(0)
	v_mul_f64 v[106:107], v[106:107], v[108:109]
	scratch_store_dwordx2 off, v[106:107], off offset:120
.LBB114_346:
	s_or_b64 exec, exec, s[4:5]
	scratch_load_dwordx2 v[106:107], off, off offset:112
	v_cmp_lt_u32_e64 s[2:3], 14, v0
	s_waitcnt vmcnt(0)
	ds_write_b64 v1, v[106:107]
	s_waitcnt lgkmcnt(0)
	; wave barrier
	s_and_saveexec_b64 s[4:5], s[2:3]
	s_cbranch_execz .LBB114_356
; %bb.347:
	s_andn2_b64 vcc, exec, s[6:7]
	s_cbranch_vccnz .LBB114_349
; %bb.348:
	scratch_load_dwordx2 v[106:107], v19, off
	ds_read_b64 v[108:109], v1
	s_waitcnt vmcnt(0) lgkmcnt(0)
	v_mul_f64 v[106:107], v[106:107], v[108:109]
	s_cbranch_execz .LBB114_350
	s_branch .LBB114_351
.LBB114_349:
                                        ; implicit-def: $vgpr106_vgpr107
.LBB114_350:
	ds_read_b64 v[106:107], v1
.LBB114_351:
	s_and_saveexec_b64 s[8:9], s[0:1]
	s_cbranch_execz .LBB114_355
; %bb.352:
	v_add_u32_e32 v108, -15, v0
	s_movk_i32 s25, 0x218
	s_mov_b64 s[0:1], 0
.LBB114_353:                            ; =>This Inner Loop Header: Depth=1
	scratch_load_dwordx2 v[110:111], off, s24
	v_mov_b32_e32 v109, s25
	ds_read_b64 v[112:113], v109
	v_add_u32_e32 v108, -1, v108
	s_add_i32 s25, s25, 8
	s_add_i32 s24, s24, 8
	v_cmp_eq_u32_e32 vcc, 0, v108
	s_or_b64 s[0:1], vcc, s[0:1]
	s_waitcnt vmcnt(0) lgkmcnt(0)
	v_fmac_f64_e32 v[106:107], v[110:111], v[112:113]
	s_andn2_b64 exec, exec, s[0:1]
	s_cbranch_execnz .LBB114_353
; %bb.354:
	s_or_b64 exec, exec, s[0:1]
.LBB114_355:
	s_or_b64 exec, exec, s[8:9]
	v_mov_b32_e32 v108, 0
	ds_read_b64 v[108:109], v108 offset:112
	s_waitcnt lgkmcnt(0)
	v_mul_f64 v[106:107], v[106:107], v[108:109]
	scratch_store_dwordx2 off, v[106:107], off offset:112
.LBB114_356:
	;; [unrolled: 53-line block ×15, first 2 shown]
	s_or_b64 exec, exec, s[4:5]
	scratch_load_dwordx2 v[106:107], off, off
	v_cmp_ne_u32_e32 vcc, 0, v0
	s_waitcnt vmcnt(0)
	ds_write_b64 v1, v[106:107]
	s_waitcnt lgkmcnt(0)
	; wave barrier
	s_and_saveexec_b64 s[2:3], vcc
	s_cbranch_execz .LBB114_496
; %bb.487:
	s_andn2_b64 vcc, exec, s[6:7]
	s_cbranch_vccnz .LBB114_489
; %bb.488:
	scratch_load_dwordx2 v[106:107], v19, off
	ds_read_b64 v[108:109], v1
	s_waitcnt vmcnt(0) lgkmcnt(0)
	v_mul_f64 v[106:107], v[106:107], v[108:109]
	s_cbranch_execz .LBB114_490
	s_branch .LBB114_491
.LBB114_489:
                                        ; implicit-def: $vgpr106_vgpr107
.LBB114_490:
	ds_read_b64 v[106:107], v1
.LBB114_491:
	s_and_saveexec_b64 s[4:5], s[0:1]
	s_cbranch_execz .LBB114_495
; %bb.492:
	v_add_u32_e32 v108, -1, v0
	s_movk_i32 s8, 0x1a8
	s_mov_b64 s[0:1], 0
.LBB114_493:                            ; =>This Inner Loop Header: Depth=1
	scratch_load_dwordx2 v[110:111], off, s10
	v_mov_b32_e32 v109, s8
	ds_read_b64 v[112:113], v109
	v_add_u32_e32 v108, -1, v108
	s_add_i32 s8, s8, 8
	s_add_i32 s10, s10, 8
	v_cmp_eq_u32_e32 vcc, 0, v108
	s_or_b64 s[0:1], vcc, s[0:1]
	s_waitcnt vmcnt(0) lgkmcnt(0)
	v_fmac_f64_e32 v[106:107], v[110:111], v[112:113]
	s_andn2_b64 exec, exec, s[0:1]
	s_cbranch_execnz .LBB114_493
; %bb.494:
	s_or_b64 exec, exec, s[0:1]
.LBB114_495:
	s_or_b64 exec, exec, s[4:5]
	v_mov_b32_e32 v108, 0
	ds_read_b64 v[108:109], v108
	s_waitcnt lgkmcnt(0)
	v_mul_f64 v[106:107], v[106:107], v[108:109]
	scratch_store_dwordx2 off, v[106:107], off
.LBB114_496:
	s_or_b64 exec, exec, s[2:3]
	s_mov_b64 s[0:1], 0
.LBB114_497:
	s_and_b64 vcc, exec, s[0:1]
	s_cbranch_vccz .LBB114_989
; %bb.498:
	scratch_load_dwordx2 v[106:107], off, off offset:8
	v_cmp_eq_u32_e64 s[2:3], 0, v0
	s_waitcnt vmcnt(0)
	ds_write_b64 v1, v[106:107]
	s_waitcnt lgkmcnt(0)
	; wave barrier
	s_and_saveexec_b64 s[0:1], s[2:3]
	s_cbranch_execz .LBB114_504
; %bb.499:
	s_and_b64 vcc, exec, s[6:7]
	s_cbranch_vccz .LBB114_501
; %bb.500:
	scratch_load_dwordx2 v[106:107], v19, off
	ds_read_b64 v[108:109], v1
	s_waitcnt vmcnt(0) lgkmcnt(0)
	v_mul_f64 v[106:107], v[106:107], v[108:109]
	s_cbranch_execz .LBB114_502
	s_branch .LBB114_503
.LBB114_501:
                                        ; implicit-def: $vgpr106_vgpr107
.LBB114_502:
	ds_read_b64 v[106:107], v1
.LBB114_503:
	v_mov_b32_e32 v108, 0
	ds_read_b64 v[108:109], v108 offset:8
	s_waitcnt lgkmcnt(0)
	v_mul_f64 v[106:107], v[106:107], v[108:109]
	scratch_store_dwordx2 off, v[106:107], off offset:8
.LBB114_504:
	s_or_b64 exec, exec, s[0:1]
	scratch_load_dwordx2 v[106:107], off, off offset:16
	v_cndmask_b32_e64 v108, 0, 1, s[6:7]
	v_cmp_gt_u32_e32 vcc, 2, v0
	v_cmp_ne_u32_e64 s[0:1], 1, v108
	s_waitcnt vmcnt(0)
	ds_write_b64 v1, v[106:107]
	s_waitcnt lgkmcnt(0)
	; wave barrier
	s_and_saveexec_b64 s[4:5], vcc
	s_cbranch_execz .LBB114_510
; %bb.505:
	s_and_b64 vcc, exec, s[0:1]
	s_cbranch_vccnz .LBB114_507
; %bb.506:
	scratch_load_dwordx2 v[106:107], v19, off
	ds_read_b64 v[108:109], v1
	s_waitcnt vmcnt(0) lgkmcnt(0)
	v_mul_f64 v[106:107], v[106:107], v[108:109]
	s_cbranch_execz .LBB114_508
	s_branch .LBB114_509
.LBB114_507:
                                        ; implicit-def: $vgpr106_vgpr107
.LBB114_508:
	ds_read_b64 v[106:107], v1
.LBB114_509:
	scratch_load_dwordx2 v[112:113], off, off offset:8
	v_mov_b32_e32 v108, 0
	ds_read2_b64 v[108:111], v108 offset0:2 offset1:53
	s_waitcnt vmcnt(0) lgkmcnt(0)
	v_fma_f64 v[110:111], v[112:113], v[110:111], v[106:107]
	v_cndmask_b32_e64 v107, v107, v111, s[2:3]
	v_cndmask_b32_e64 v106, v106, v110, s[2:3]
	v_mul_f64 v[106:107], v[106:107], v[108:109]
	scratch_store_dwordx2 off, v[106:107], off offset:16
.LBB114_510:
	s_or_b64 exec, exec, s[4:5]
	scratch_load_dwordx2 v[106:107], off, off offset:24
	v_cmp_gt_u32_e32 vcc, 3, v0
	s_waitcnt vmcnt(0)
	ds_write_b64 v1, v[106:107]
	s_waitcnt lgkmcnt(0)
	; wave barrier
	s_and_saveexec_b64 s[4:5], vcc
	s_cbranch_execz .LBB114_518
; %bb.511:
	s_and_b64 vcc, exec, s[0:1]
	s_cbranch_vccnz .LBB114_513
; %bb.512:
	scratch_load_dwordx2 v[106:107], v19, off
	ds_read_b64 v[108:109], v1
	s_waitcnt vmcnt(0) lgkmcnt(0)
	v_mul_f64 v[106:107], v[106:107], v[108:109]
	s_cbranch_execz .LBB114_514
	s_branch .LBB114_515
.LBB114_513:
                                        ; implicit-def: $vgpr106_vgpr107
.LBB114_514:
	ds_read_b64 v[106:107], v1
.LBB114_515:
	v_cmp_ne_u32_e32 vcc, 2, v0
	s_and_saveexec_b64 s[6:7], vcc
	s_cbranch_execz .LBB114_517
; %bb.516:
	scratch_load_dwordx2 v[108:109], v19, off offset:8
	scratch_load_dwordx2 v[110:111], off, off offset:16
	ds_read_b64 v[112:113], v1 offset:8
	v_mov_b32_e32 v114, 0
	ds_read_b64 v[114:115], v114 offset:432
	s_waitcnt vmcnt(1) lgkmcnt(1)
	v_fmac_f64_e32 v[106:107], v[108:109], v[112:113]
	s_waitcnt vmcnt(0) lgkmcnt(0)
	v_fma_f64 v[108:109], v[110:111], v[114:115], v[106:107]
	v_cndmask_b32_e64 v107, v107, v109, s[2:3]
	v_cndmask_b32_e64 v106, v106, v108, s[2:3]
.LBB114_517:
	s_or_b64 exec, exec, s[6:7]
	v_mov_b32_e32 v108, 0
	ds_read_b64 v[108:109], v108 offset:24
	s_waitcnt lgkmcnt(0)
	v_mul_f64 v[106:107], v[106:107], v[108:109]
	scratch_store_dwordx2 off, v[106:107], off offset:24
.LBB114_518:
	s_or_b64 exec, exec, s[4:5]
	scratch_load_dwordx2 v[106:107], off, off offset:32
	v_cmp_gt_u32_e32 vcc, 4, v0
	s_waitcnt vmcnt(0)
	ds_write_b64 v1, v[106:107]
	s_waitcnt lgkmcnt(0)
	; wave barrier
	s_and_saveexec_b64 s[2:3], vcc
	s_cbranch_execz .LBB114_528
; %bb.519:
	s_and_b64 vcc, exec, s[0:1]
	s_cbranch_vccnz .LBB114_521
; %bb.520:
	scratch_load_dwordx2 v[106:107], v19, off
	ds_read_b64 v[108:109], v1
	s_waitcnt vmcnt(0) lgkmcnt(0)
	v_mul_f64 v[106:107], v[106:107], v[108:109]
	s_cbranch_execz .LBB114_522
	s_branch .LBB114_523
.LBB114_521:
                                        ; implicit-def: $vgpr106_vgpr107
.LBB114_522:
	ds_read_b64 v[106:107], v1
.LBB114_523:
	v_cmp_ne_u32_e32 vcc, 3, v0
	s_and_saveexec_b64 s[4:5], vcc
	s_cbranch_execz .LBB114_527
; %bb.524:
	s_mov_b32 s6, 0
	v_add_u32_e32 v108, 0x1a8, v18
	v_add3_u32 v109, v18, s6, 8
	s_mov_b64 s[6:7], 0
	v_mov_b32_e32 v110, v0
.LBB114_525:                            ; =>This Inner Loop Header: Depth=1
	scratch_load_dwordx2 v[112:113], v109, off
	ds_read_b64 v[114:115], v108
	v_add_u32_e32 v110, 1, v110
	v_cmp_lt_u32_e32 vcc, 2, v110
	v_add_u32_e32 v108, 8, v108
	v_add_u32_e32 v109, 8, v109
	s_or_b64 s[6:7], vcc, s[6:7]
	s_waitcnt vmcnt(0) lgkmcnt(0)
	v_fmac_f64_e32 v[106:107], v[112:113], v[114:115]
	s_andn2_b64 exec, exec, s[6:7]
	s_cbranch_execnz .LBB114_525
; %bb.526:
	s_or_b64 exec, exec, s[6:7]
.LBB114_527:
	s_or_b64 exec, exec, s[4:5]
	v_mov_b32_e32 v108, 0
	ds_read_b64 v[108:109], v108 offset:32
	s_waitcnt lgkmcnt(0)
	v_mul_f64 v[106:107], v[106:107], v[108:109]
	scratch_store_dwordx2 off, v[106:107], off offset:32
.LBB114_528:
	s_or_b64 exec, exec, s[2:3]
	scratch_load_dwordx2 v[106:107], off, off offset:40
	v_cmp_gt_u32_e32 vcc, 5, v0
	s_waitcnt vmcnt(0)
	ds_write_b64 v1, v[106:107]
	s_waitcnt lgkmcnt(0)
	; wave barrier
	s_and_saveexec_b64 s[2:3], vcc
	s_cbranch_execz .LBB114_538
; %bb.529:
	s_and_b64 vcc, exec, s[0:1]
	s_cbranch_vccnz .LBB114_531
; %bb.530:
	scratch_load_dwordx2 v[106:107], v19, off
	ds_read_b64 v[108:109], v1
	s_waitcnt vmcnt(0) lgkmcnt(0)
	v_mul_f64 v[106:107], v[106:107], v[108:109]
	s_cbranch_execz .LBB114_532
	s_branch .LBB114_533
.LBB114_531:
                                        ; implicit-def: $vgpr106_vgpr107
.LBB114_532:
	ds_read_b64 v[106:107], v1
.LBB114_533:
	v_cmp_ne_u32_e32 vcc, 4, v0
	s_and_saveexec_b64 s[4:5], vcc
	s_cbranch_execz .LBB114_537
; %bb.534:
	s_mov_b32 s6, 0
	v_add_u32_e32 v108, 0x1a8, v18
	v_add3_u32 v109, v18, s6, 8
	s_mov_b64 s[6:7], 0
	v_mov_b32_e32 v110, v0
.LBB114_535:                            ; =>This Inner Loop Header: Depth=1
	scratch_load_dwordx2 v[112:113], v109, off
	ds_read_b64 v[114:115], v108
	v_add_u32_e32 v110, 1, v110
	v_cmp_lt_u32_e32 vcc, 3, v110
	v_add_u32_e32 v108, 8, v108
	v_add_u32_e32 v109, 8, v109
	s_or_b64 s[6:7], vcc, s[6:7]
	s_waitcnt vmcnt(0) lgkmcnt(0)
	v_fmac_f64_e32 v[106:107], v[112:113], v[114:115]
	s_andn2_b64 exec, exec, s[6:7]
	s_cbranch_execnz .LBB114_535
; %bb.536:
	s_or_b64 exec, exec, s[6:7]
.LBB114_537:
	s_or_b64 exec, exec, s[4:5]
	v_mov_b32_e32 v108, 0
	ds_read_b64 v[108:109], v108 offset:40
	s_waitcnt lgkmcnt(0)
	v_mul_f64 v[106:107], v[106:107], v[108:109]
	scratch_store_dwordx2 off, v[106:107], off offset:40
.LBB114_538:
	;; [unrolled: 55-line block ×45, first 2 shown]
	s_or_b64 exec, exec, s[2:3]
	scratch_load_dwordx2 v[106:107], off, off offset:392
	v_cmp_gt_u32_e64 s[2:3], 49, v0
	s_waitcnt vmcnt(0)
	ds_write_b64 v1, v[106:107]
	s_waitcnt lgkmcnt(0)
	; wave barrier
	s_and_saveexec_b64 s[4:5], s[2:3]
	s_cbranch_execz .LBB114_978
; %bb.969:
	s_and_b64 vcc, exec, s[0:1]
	s_cbranch_vccnz .LBB114_971
; %bb.970:
	scratch_load_dwordx2 v[106:107], v19, off
	ds_read_b64 v[108:109], v1
	s_waitcnt vmcnt(0) lgkmcnt(0)
	v_mul_f64 v[106:107], v[106:107], v[108:109]
	s_cbranch_execz .LBB114_972
	s_branch .LBB114_973
.LBB114_971:
                                        ; implicit-def: $vgpr106_vgpr107
.LBB114_972:
	ds_read_b64 v[106:107], v1
.LBB114_973:
	v_cmp_ne_u32_e32 vcc, 48, v0
	s_and_saveexec_b64 s[6:7], vcc
	s_cbranch_execz .LBB114_977
; %bb.974:
	s_mov_b32 s8, 0
	v_add_u32_e32 v108, 0x1a8, v18
	v_add3_u32 v109, v18, s8, 8
	s_mov_b64 s[8:9], 0
	v_mov_b32_e32 v110, v0
.LBB114_975:                            ; =>This Inner Loop Header: Depth=1
	scratch_load_dwordx2 v[112:113], v109, off
	ds_read_b64 v[114:115], v108
	v_add_u32_e32 v110, 1, v110
	v_cmp_lt_u32_e32 vcc, 47, v110
	v_add_u32_e32 v108, 8, v108
	v_add_u32_e32 v109, 8, v109
	s_or_b64 s[8:9], vcc, s[8:9]
	s_waitcnt vmcnt(0) lgkmcnt(0)
	v_fmac_f64_e32 v[106:107], v[112:113], v[114:115]
	s_andn2_b64 exec, exec, s[8:9]
	s_cbranch_execnz .LBB114_975
; %bb.976:
	s_or_b64 exec, exec, s[8:9]
.LBB114_977:
	s_or_b64 exec, exec, s[6:7]
	v_mov_b32_e32 v108, 0
	ds_read_b64 v[108:109], v108 offset:392
	s_waitcnt lgkmcnt(0)
	v_mul_f64 v[106:107], v[106:107], v[108:109]
	scratch_store_dwordx2 off, v[106:107], off offset:392
.LBB114_978:
	s_or_b64 exec, exec, s[4:5]
	scratch_load_dwordx2 v[106:107], off, off offset:400
	v_cmp_ne_u32_e32 vcc, 50, v0
	s_waitcnt vmcnt(0)
	ds_write_b64 v1, v[106:107]
	s_waitcnt lgkmcnt(0)
	; wave barrier
	s_and_saveexec_b64 s[4:5], vcc
	s_cbranch_execz .LBB114_988
; %bb.979:
	s_and_b64 vcc, exec, s[0:1]
	s_cbranch_vccnz .LBB114_981
; %bb.980:
	scratch_load_dwordx2 v[106:107], v19, off
	ds_read_b64 v[108:109], v1
	s_waitcnt vmcnt(0) lgkmcnt(0)
	v_mul_f64 v[106:107], v[106:107], v[108:109]
	s_cbranch_execz .LBB114_982
	s_branch .LBB114_983
.LBB114_981:
                                        ; implicit-def: $vgpr106_vgpr107
.LBB114_982:
	ds_read_b64 v[106:107], v1
.LBB114_983:
	s_and_saveexec_b64 s[0:1], s[2:3]
	s_cbranch_execz .LBB114_987
; %bb.984:
	s_mov_b32 s2, 0
	v_add_u32_e32 v1, 0x1a8, v18
	v_add3_u32 v18, v18, s2, 8
	s_mov_b64 s[2:3], 0
.LBB114_985:                            ; =>This Inner Loop Header: Depth=1
	scratch_load_dwordx2 v[108:109], v18, off
	ds_read_b64 v[110:111], v1
	v_add_u32_e32 v0, 1, v0
	v_cmp_lt_u32_e32 vcc, 48, v0
	v_add_u32_e32 v1, 8, v1
	v_add_u32_e32 v18, 8, v18
	s_or_b64 s[2:3], vcc, s[2:3]
	s_waitcnt vmcnt(0) lgkmcnt(0)
	v_fmac_f64_e32 v[106:107], v[108:109], v[110:111]
	s_andn2_b64 exec, exec, s[2:3]
	s_cbranch_execnz .LBB114_985
; %bb.986:
	s_or_b64 exec, exec, s[2:3]
.LBB114_987:
	s_or_b64 exec, exec, s[0:1]
	v_mov_b32_e32 v0, 0
	ds_read_b64 v[0:1], v0 offset:400
	s_waitcnt lgkmcnt(0)
	v_mul_f64 v[0:1], v[106:107], v[0:1]
	scratch_store_dwordx2 off, v[0:1], off offset:400
.LBB114_988:
	s_or_b64 exec, exec, s[4:5]
.LBB114_989:
	scratch_load_dwordx2 v[0:1], off, off
	s_waitcnt vmcnt(0)
	flat_store_dwordx2 v[2:3], v[0:1]
	scratch_load_dwordx2 v[0:1], off, off offset:8
	s_waitcnt vmcnt(0)
	flat_store_dwordx2 v[4:5], v[0:1]
	scratch_load_dwordx2 v[0:1], off, off offset:16
	;; [unrolled: 3-line block ×50, first 2 shown]
	s_waitcnt vmcnt(0)
	flat_store_dwordx2 v[104:105], v[0:1]
.LBB114_990:
	s_endpgm
	.section	.rodata,"a",@progbits
	.p2align	6, 0x0
	.amdhsa_kernel _ZN9rocsolver6v33100L18trti2_kernel_smallILi51EdPKPdEEv13rocblas_fill_17rocblas_diagonal_T1_iil
		.amdhsa_group_segment_fixed_size 824
		.amdhsa_private_segment_fixed_size 416
		.amdhsa_kernarg_size 32
		.amdhsa_user_sgpr_count 2
		.amdhsa_user_sgpr_dispatch_ptr 0
		.amdhsa_user_sgpr_queue_ptr 0
		.amdhsa_user_sgpr_kernarg_segment_ptr 1
		.amdhsa_user_sgpr_dispatch_id 0
		.amdhsa_user_sgpr_kernarg_preload_length 0
		.amdhsa_user_sgpr_kernarg_preload_offset 0
		.amdhsa_user_sgpr_private_segment_size 0
		.amdhsa_uses_dynamic_stack 0
		.amdhsa_enable_private_segment 1
		.amdhsa_system_sgpr_workgroup_id_x 1
		.amdhsa_system_sgpr_workgroup_id_y 0
		.amdhsa_system_sgpr_workgroup_id_z 0
		.amdhsa_system_sgpr_workgroup_info 0
		.amdhsa_system_vgpr_workitem_id 0
		.amdhsa_next_free_vgpr 116
		.amdhsa_next_free_sgpr 60
		.amdhsa_accum_offset 116
		.amdhsa_reserve_vcc 1
		.amdhsa_float_round_mode_32 0
		.amdhsa_float_round_mode_16_64 0
		.amdhsa_float_denorm_mode_32 3
		.amdhsa_float_denorm_mode_16_64 3
		.amdhsa_dx10_clamp 1
		.amdhsa_ieee_mode 1
		.amdhsa_fp16_overflow 0
		.amdhsa_tg_split 0
		.amdhsa_exception_fp_ieee_invalid_op 0
		.amdhsa_exception_fp_denorm_src 0
		.amdhsa_exception_fp_ieee_div_zero 0
		.amdhsa_exception_fp_ieee_overflow 0
		.amdhsa_exception_fp_ieee_underflow 0
		.amdhsa_exception_fp_ieee_inexact 0
		.amdhsa_exception_int_div_zero 0
	.end_amdhsa_kernel
	.section	.text._ZN9rocsolver6v33100L18trti2_kernel_smallILi51EdPKPdEEv13rocblas_fill_17rocblas_diagonal_T1_iil,"axG",@progbits,_ZN9rocsolver6v33100L18trti2_kernel_smallILi51EdPKPdEEv13rocblas_fill_17rocblas_diagonal_T1_iil,comdat
.Lfunc_end114:
	.size	_ZN9rocsolver6v33100L18trti2_kernel_smallILi51EdPKPdEEv13rocblas_fill_17rocblas_diagonal_T1_iil, .Lfunc_end114-_ZN9rocsolver6v33100L18trti2_kernel_smallILi51EdPKPdEEv13rocblas_fill_17rocblas_diagonal_T1_iil
                                        ; -- End function
	.set _ZN9rocsolver6v33100L18trti2_kernel_smallILi51EdPKPdEEv13rocblas_fill_17rocblas_diagonal_T1_iil.num_vgpr, 116
	.set _ZN9rocsolver6v33100L18trti2_kernel_smallILi51EdPKPdEEv13rocblas_fill_17rocblas_diagonal_T1_iil.num_agpr, 0
	.set _ZN9rocsolver6v33100L18trti2_kernel_smallILi51EdPKPdEEv13rocblas_fill_17rocblas_diagonal_T1_iil.numbered_sgpr, 60
	.set _ZN9rocsolver6v33100L18trti2_kernel_smallILi51EdPKPdEEv13rocblas_fill_17rocblas_diagonal_T1_iil.num_named_barrier, 0
	.set _ZN9rocsolver6v33100L18trti2_kernel_smallILi51EdPKPdEEv13rocblas_fill_17rocblas_diagonal_T1_iil.private_seg_size, 416
	.set _ZN9rocsolver6v33100L18trti2_kernel_smallILi51EdPKPdEEv13rocblas_fill_17rocblas_diagonal_T1_iil.uses_vcc, 1
	.set _ZN9rocsolver6v33100L18trti2_kernel_smallILi51EdPKPdEEv13rocblas_fill_17rocblas_diagonal_T1_iil.uses_flat_scratch, 0
	.set _ZN9rocsolver6v33100L18trti2_kernel_smallILi51EdPKPdEEv13rocblas_fill_17rocblas_diagonal_T1_iil.has_dyn_sized_stack, 0
	.set _ZN9rocsolver6v33100L18trti2_kernel_smallILi51EdPKPdEEv13rocblas_fill_17rocblas_diagonal_T1_iil.has_recursion, 0
	.set _ZN9rocsolver6v33100L18trti2_kernel_smallILi51EdPKPdEEv13rocblas_fill_17rocblas_diagonal_T1_iil.has_indirect_call, 0
	.section	.AMDGPU.csdata,"",@progbits
; Kernel info:
; codeLenInByte = 24808
; TotalNumSgprs: 66
; NumVgprs: 116
; NumAgprs: 0
; TotalNumVgprs: 116
; ScratchSize: 416
; MemoryBound: 0
; FloatMode: 240
; IeeeMode: 1
; LDSByteSize: 824 bytes/workgroup (compile time only)
; SGPRBlocks: 8
; VGPRBlocks: 14
; NumSGPRsForWavesPerEU: 66
; NumVGPRsForWavesPerEU: 116
; AccumOffset: 116
; Occupancy: 4
; WaveLimiterHint : 1
; COMPUTE_PGM_RSRC2:SCRATCH_EN: 1
; COMPUTE_PGM_RSRC2:USER_SGPR: 2
; COMPUTE_PGM_RSRC2:TRAP_HANDLER: 0
; COMPUTE_PGM_RSRC2:TGID_X_EN: 1
; COMPUTE_PGM_RSRC2:TGID_Y_EN: 0
; COMPUTE_PGM_RSRC2:TGID_Z_EN: 0
; COMPUTE_PGM_RSRC2:TIDIG_COMP_CNT: 0
; COMPUTE_PGM_RSRC3_GFX90A:ACCUM_OFFSET: 28
; COMPUTE_PGM_RSRC3_GFX90A:TG_SPLIT: 0
	.section	.text._ZN9rocsolver6v33100L18trti2_kernel_smallILi52EdPKPdEEv13rocblas_fill_17rocblas_diagonal_T1_iil,"axG",@progbits,_ZN9rocsolver6v33100L18trti2_kernel_smallILi52EdPKPdEEv13rocblas_fill_17rocblas_diagonal_T1_iil,comdat
	.globl	_ZN9rocsolver6v33100L18trti2_kernel_smallILi52EdPKPdEEv13rocblas_fill_17rocblas_diagonal_T1_iil ; -- Begin function _ZN9rocsolver6v33100L18trti2_kernel_smallILi52EdPKPdEEv13rocblas_fill_17rocblas_diagonal_T1_iil
	.p2align	8
	.type	_ZN9rocsolver6v33100L18trti2_kernel_smallILi52EdPKPdEEv13rocblas_fill_17rocblas_diagonal_T1_iil,@function
_ZN9rocsolver6v33100L18trti2_kernel_smallILi52EdPKPdEEv13rocblas_fill_17rocblas_diagonal_T1_iil: ; @_ZN9rocsolver6v33100L18trti2_kernel_smallILi52EdPKPdEEv13rocblas_fill_17rocblas_diagonal_T1_iil
; %bb.0:
	v_cmp_gt_u32_e32 vcc, 52, v0
	s_and_saveexec_b64 s[4:5], vcc
	s_cbranch_execz .LBB115_1010
; %bb.1:
	s_load_dwordx2 s[8:9], s[0:1], 0x10
	s_load_dwordx4 s[4:7], s[0:1], 0x0
	s_ashr_i32 s3, s2, 31
	s_lshl_b64 s[0:1], s[2:3], 3
	v_lshlrev_b32_e32 v18, 3, v0
	s_waitcnt lgkmcnt(0)
	s_ashr_i32 s3, s8, 31
	s_add_u32 s0, s6, s0
	s_addc_u32 s1, s7, s1
	s_load_dwordx2 s[0:1], s[0:1], 0x0
	s_mov_b32 s2, s8
	s_lshl_b64 s[2:3], s[2:3], 3
	v_mov_b32_e32 v19, 0
	s_waitcnt lgkmcnt(0)
	s_add_u32 s0, s0, s2
	s_addc_u32 s1, s1, s3
	v_lshl_add_u64 v[2:3], s[0:1], 0, v[18:19]
	flat_load_dwordx2 v[6:7], v[2:3]
	s_mov_b32 s2, s9
	s_ashr_i32 s3, s9, 31
	v_lshl_add_u64 v[4:5], s[2:3], 3, v[2:3]
	s_add_i32 s2, s9, s9
	v_add_u32_e32 v10, s2, v0
	v_ashrrev_i32_e32 v11, 31, v10
	s_cmpk_lg_i32 s5, 0x84
	s_cselect_b64 s[6:7], -1, 0
	s_cmpk_eq_i32 s5, 0x84
	s_waitcnt vmcnt(0) lgkmcnt(0)
	scratch_store_dwordx2 off, v[6:7], off
	flat_load_dwordx2 v[8:9], v[4:5]
	v_lshl_add_u64 v[6:7], v[10:11], 3, s[0:1]
	v_add_u32_e32 v10, s9, v10
	v_ashrrev_i32_e32 v11, 31, v10
	v_add_u32_e32 v14, s9, v10
	v_ashrrev_i32_e32 v15, 31, v14
	s_waitcnt vmcnt(0) lgkmcnt(0)
	scratch_store_dwordx2 off, v[8:9], off offset:8
	flat_load_dwordx2 v[12:13], v[6:7]
	v_lshl_add_u64 v[8:9], v[10:11], 3, s[0:1]
	v_lshl_add_u64 v[10:11], v[14:15], 3, s[0:1]
	v_add_u32_e32 v14, s9, v14
	v_ashrrev_i32_e32 v15, 31, v14
	v_add_u32_e32 v20, s9, v14
	v_ashrrev_i32_e32 v21, 31, v20
	s_waitcnt vmcnt(0) lgkmcnt(0)
	scratch_store_dwordx2 off, v[12:13], off offset:16
	flat_load_dwordx2 v[12:13], v[8:9]
	s_waitcnt vmcnt(0) lgkmcnt(0)
	scratch_store_dwordx2 off, v[12:13], off offset:24
	flat_load_dwordx2 v[16:17], v[10:11]
	v_lshl_add_u64 v[12:13], v[14:15], 3, s[0:1]
	v_lshl_add_u64 v[14:15], v[20:21], 3, s[0:1]
	v_add_u32_e32 v20, s9, v20
	v_ashrrev_i32_e32 v21, 31, v20
	v_add_u32_e32 v24, s9, v20
	v_ashrrev_i32_e32 v25, 31, v24
	s_waitcnt vmcnt(0) lgkmcnt(0)
	scratch_store_dwordx2 off, v[16:17], off offset:32
	flat_load_dwordx2 v[16:17], v[12:13]
	;; [unrolled: 12-line block ×23, first 2 shown]
	s_waitcnt vmcnt(0) lgkmcnt(0)
	scratch_store_dwordx2 off, v[102:103], off offset:376
	flat_load_dwordx2 v[106:107], v[100:101]
	v_lshl_add_u64 v[102:103], v[104:105], 3, s[0:1]
	v_lshl_add_u64 v[104:105], v[108:109], 3, s[0:1]
	s_waitcnt vmcnt(0) lgkmcnt(0)
	scratch_store_dwordx2 off, v[106:107], off offset:384
	flat_load_dwordx2 v[106:107], v[102:103]
	s_waitcnt vmcnt(0) lgkmcnt(0)
	scratch_store_dwordx2 off, v[106:107], off offset:392
	flat_load_dwordx2 v[110:111], v[104:105]
	v_add_u32_e32 v106, s9, v108
	v_ashrrev_i32_e32 v107, 31, v106
	v_lshl_add_u64 v[106:107], v[106:107], 3, s[0:1]
	s_waitcnt vmcnt(0) lgkmcnt(0)
	scratch_store_dwordx2 off, v[110:111], off offset:400
	flat_load_dwordx2 v[108:109], v[106:107]
	s_waitcnt vmcnt(0) lgkmcnt(0)
	scratch_store_dwordx2 off, v[108:109], off offset:408
	v_mov_b64_e32 v[108:109], -1.0
	s_cbranch_scc1 .LBB115_3
; %bb.2:
	scratch_load_dwordx2 v[108:109], v18, off
	s_waitcnt vmcnt(0)
	v_div_scale_f64 v[110:111], s[0:1], v[108:109], v[108:109], 1.0
	v_rcp_f64_e32 v[112:113], v[110:111]
	v_div_scale_f64 v[114:115], vcc, 1.0, v[108:109], 1.0
	v_fma_f64 v[116:117], -v[110:111], v[112:113], 1.0
	v_fmac_f64_e32 v[112:113], v[112:113], v[116:117]
	v_fma_f64 v[116:117], -v[110:111], v[112:113], 1.0
	v_fmac_f64_e32 v[112:113], v[112:113], v[116:117]
	v_mul_f64 v[116:117], v[114:115], v[112:113]
	v_fma_f64 v[110:111], -v[110:111], v[116:117], v[114:115]
	v_div_fmas_f64 v[110:111], v[110:111], v[112:113], v[116:117]
	v_div_fixup_f64 v[108:109], v[110:111], v[108:109], 1.0
	scratch_store_dwordx2 v18, v[108:109], off
	v_xor_b32_e32 v109, 0x80000000, v109
.LBB115_3:
	s_cmpk_eq_i32 s4, 0x79
	v_add_u32_e32 v1, 0x1a0, v18
	v_mov_b32_e32 v19, v18
	s_mov_b64 s[0:1], -1
	ds_write_b64 v18, v[108:109]
	s_cbranch_scc1 .LBB115_507
; %bb.4:
	scratch_load_dwordx2 v[108:109], off, off offset:400
	s_movk_i32 s8, 0x48
	s_movk_i32 s9, 0x50
	;; [unrolled: 1-line block ×41, first 2 shown]
	v_cmp_eq_u32_e64 s[0:1], 51, v0
	s_waitcnt vmcnt(0)
	ds_write_b64 v1, v[108:109]
	s_waitcnt lgkmcnt(0)
	; wave barrier
	s_and_saveexec_b64 s[2:3], s[0:1]
	s_cbranch_execz .LBB115_10
; %bb.5:
	s_and_b64 vcc, exec, s[6:7]
	s_cbranch_vccz .LBB115_7
; %bb.6:
	scratch_load_dwordx2 v[108:109], v19, off
	ds_read_b64 v[110:111], v1
	s_waitcnt vmcnt(0) lgkmcnt(0)
	v_mul_f64 v[108:109], v[108:109], v[110:111]
	s_cbranch_execz .LBB115_8
	s_branch .LBB115_9
.LBB115_7:
                                        ; implicit-def: $vgpr108_vgpr109
.LBB115_8:
	ds_read_b64 v[108:109], v1
.LBB115_9:
	v_mov_b32_e32 v110, 0
	ds_read_b64 v[110:111], v110 offset:400
	s_waitcnt lgkmcnt(0)
	v_mul_f64 v[108:109], v[108:109], v[110:111]
	scratch_store_dwordx2 off, v[108:109], off offset:400
.LBB115_10:
	s_or_b64 exec, exec, s[2:3]
	scratch_load_dwordx2 v[108:109], off, off offset:392
	s_or_b32 s10, 0, 8
	s_mov_b32 s11, 16
	s_mov_b32 s12, 24
	;; [unrolled: 1-line block ×9, first 2 shown]
	v_cmp_lt_u32_e64 s[2:3], 49, v0
	s_waitcnt vmcnt(0)
	ds_write_b64 v1, v[108:109]
	s_waitcnt lgkmcnt(0)
	; wave barrier
	s_and_saveexec_b64 s[4:5], s[2:3]
	s_cbranch_execz .LBB115_16
; %bb.11:
	s_andn2_b64 vcc, exec, s[6:7]
	s_cbranch_vccnz .LBB115_13
; %bb.12:
	scratch_load_dwordx2 v[108:109], v19, off
	ds_read_b64 v[110:111], v1
	s_waitcnt vmcnt(0) lgkmcnt(0)
	v_mul_f64 v[108:109], v[108:109], v[110:111]
	s_cbranch_execz .LBB115_14
	s_branch .LBB115_15
.LBB115_13:
                                        ; implicit-def: $vgpr108_vgpr109
.LBB115_14:
	ds_read_b64 v[108:109], v1
.LBB115_15:
	scratch_load_dwordx2 v[114:115], off, off offset:400
	v_mov_b32_e32 v110, 0
	ds_read2_b64 v[110:113], v110 offset0:49 offset1:102
	s_waitcnt vmcnt(0) lgkmcnt(0)
	v_fma_f64 v[112:113], v[114:115], v[112:113], v[108:109]
	v_cndmask_b32_e64 v109, v109, v113, s[0:1]
	v_cndmask_b32_e64 v108, v108, v112, s[0:1]
	v_mul_f64 v[108:109], v[108:109], v[110:111]
	scratch_store_dwordx2 off, v[108:109], off offset:392
.LBB115_16:
	s_or_b64 exec, exec, s[4:5]
	scratch_load_dwordx2 v[108:109], off, off offset:384
	v_cmp_lt_u32_e64 s[0:1], 48, v0
	s_waitcnt vmcnt(0)
	ds_write_b64 v1, v[108:109]
	s_waitcnt lgkmcnt(0)
	; wave barrier
	s_and_saveexec_b64 s[4:5], s[0:1]
	s_cbranch_execz .LBB115_26
; %bb.17:
	s_andn2_b64 vcc, exec, s[6:7]
	s_cbranch_vccnz .LBB115_19
; %bb.18:
	scratch_load_dwordx2 v[108:109], v19, off
	ds_read_b64 v[110:111], v1
	s_waitcnt vmcnt(0) lgkmcnt(0)
	v_mul_f64 v[108:109], v[108:109], v[110:111]
	s_cbranch_execz .LBB115_20
	s_branch .LBB115_21
.LBB115_19:
                                        ; implicit-def: $vgpr108_vgpr109
.LBB115_20:
	ds_read_b64 v[108:109], v1
.LBB115_21:
	s_and_saveexec_b64 s[8:9], s[2:3]
	s_cbranch_execz .LBB115_25
; %bb.22:
	v_subrev_u32_e32 v110, 49, v0
	s_movk_i32 s60, 0x328
	s_mov_b64 s[2:3], 0
.LBB115_23:                             ; =>This Inner Loop Header: Depth=1
	scratch_load_dwordx2 v[112:113], off, s59
	v_mov_b32_e32 v111, s60
	ds_read_b64 v[114:115], v111
	v_add_u32_e32 v110, -1, v110
	s_add_i32 s60, s60, 8
	s_add_i32 s59, s59, 8
	v_cmp_eq_u32_e32 vcc, 0, v110
	s_or_b64 s[2:3], vcc, s[2:3]
	s_waitcnt vmcnt(0) lgkmcnt(0)
	v_fmac_f64_e32 v[108:109], v[112:113], v[114:115]
	s_andn2_b64 exec, exec, s[2:3]
	s_cbranch_execnz .LBB115_23
; %bb.24:
	s_or_b64 exec, exec, s[2:3]
.LBB115_25:
	s_or_b64 exec, exec, s[8:9]
	v_mov_b32_e32 v110, 0
	ds_read_b64 v[110:111], v110 offset:384
	s_waitcnt lgkmcnt(0)
	v_mul_f64 v[108:109], v[108:109], v[110:111]
	scratch_store_dwordx2 off, v[108:109], off offset:384
.LBB115_26:
	s_or_b64 exec, exec, s[4:5]
	scratch_load_dwordx2 v[108:109], off, off offset:376
	v_cmp_lt_u32_e64 s[2:3], 47, v0
	s_waitcnt vmcnt(0)
	ds_write_b64 v1, v[108:109]
	s_waitcnt lgkmcnt(0)
	; wave barrier
	s_and_saveexec_b64 s[4:5], s[2:3]
	s_cbranch_execz .LBB115_36
; %bb.27:
	s_andn2_b64 vcc, exec, s[6:7]
	s_cbranch_vccnz .LBB115_29
; %bb.28:
	scratch_load_dwordx2 v[108:109], v19, off
	ds_read_b64 v[110:111], v1
	s_waitcnt vmcnt(0) lgkmcnt(0)
	v_mul_f64 v[108:109], v[108:109], v[110:111]
	s_cbranch_execz .LBB115_30
	s_branch .LBB115_31
.LBB115_29:
                                        ; implicit-def: $vgpr108_vgpr109
.LBB115_30:
	ds_read_b64 v[108:109], v1
.LBB115_31:
	s_and_saveexec_b64 s[8:9], s[0:1]
	s_cbranch_execz .LBB115_35
; %bb.32:
	v_subrev_u32_e32 v110, 48, v0
	s_movk_i32 s59, 0x320
	s_mov_b64 s[0:1], 0
.LBB115_33:                             ; =>This Inner Loop Header: Depth=1
	scratch_load_dwordx2 v[112:113], off, s58
	v_mov_b32_e32 v111, s59
	ds_read_b64 v[114:115], v111
	v_add_u32_e32 v110, -1, v110
	s_add_i32 s59, s59, 8
	s_add_i32 s58, s58, 8
	v_cmp_eq_u32_e32 vcc, 0, v110
	s_or_b64 s[0:1], vcc, s[0:1]
	s_waitcnt vmcnt(0) lgkmcnt(0)
	v_fmac_f64_e32 v[108:109], v[112:113], v[114:115]
	s_andn2_b64 exec, exec, s[0:1]
	s_cbranch_execnz .LBB115_33
; %bb.34:
	s_or_b64 exec, exec, s[0:1]
.LBB115_35:
	s_or_b64 exec, exec, s[8:9]
	v_mov_b32_e32 v110, 0
	ds_read_b64 v[110:111], v110 offset:376
	s_waitcnt lgkmcnt(0)
	v_mul_f64 v[108:109], v[108:109], v[110:111]
	scratch_store_dwordx2 off, v[108:109], off offset:376
.LBB115_36:
	;; [unrolled: 53-line block ×8, first 2 shown]
	s_or_b64 exec, exec, s[4:5]
	scratch_load_dwordx2 v[108:109], off, off offset:320
	v_cmp_lt_u32_e64 s[0:1], 40, v0
	s_waitcnt vmcnt(0)
	ds_write_b64 v1, v[108:109]
	s_waitcnt lgkmcnt(0)
	; wave barrier
	s_and_saveexec_b64 s[4:5], s[0:1]
	s_cbranch_execz .LBB115_106
; %bb.97:
	s_andn2_b64 vcc, exec, s[6:7]
	s_cbranch_vccnz .LBB115_99
; %bb.98:
	scratch_load_dwordx2 v[108:109], v19, off
	ds_read_b64 v[110:111], v1
	s_waitcnt vmcnt(0) lgkmcnt(0)
	v_mul_f64 v[108:109], v[108:109], v[110:111]
	s_cbranch_execz .LBB115_100
	s_branch .LBB115_101
.LBB115_99:
                                        ; implicit-def: $vgpr108_vgpr109
.LBB115_100:
	ds_read_b64 v[108:109], v1
.LBB115_101:
	s_and_saveexec_b64 s[8:9], s[2:3]
	s_cbranch_execz .LBB115_105
; %bb.102:
	v_subrev_u32_e32 v110, 41, v0
	s_movk_i32 s52, 0x2e8
	s_mov_b64 s[2:3], 0
.LBB115_103:                            ; =>This Inner Loop Header: Depth=1
	scratch_load_dwordx2 v[112:113], off, s51
	v_mov_b32_e32 v111, s52
	ds_read_b64 v[114:115], v111
	v_add_u32_e32 v110, -1, v110
	s_add_i32 s52, s52, 8
	s_add_i32 s51, s51, 8
	v_cmp_eq_u32_e32 vcc, 0, v110
	s_or_b64 s[2:3], vcc, s[2:3]
	s_waitcnt vmcnt(0) lgkmcnt(0)
	v_fmac_f64_e32 v[108:109], v[112:113], v[114:115]
	s_andn2_b64 exec, exec, s[2:3]
	s_cbranch_execnz .LBB115_103
; %bb.104:
	s_or_b64 exec, exec, s[2:3]
.LBB115_105:
	s_or_b64 exec, exec, s[8:9]
	v_mov_b32_e32 v110, 0
	ds_read_b64 v[110:111], v110 offset:320
	s_waitcnt lgkmcnt(0)
	v_mul_f64 v[108:109], v[108:109], v[110:111]
	scratch_store_dwordx2 off, v[108:109], off offset:320
.LBB115_106:
	s_or_b64 exec, exec, s[4:5]
	scratch_load_dwordx2 v[108:109], off, off offset:312
	v_cmp_lt_u32_e64 s[2:3], 39, v0
	s_waitcnt vmcnt(0)
	ds_write_b64 v1, v[108:109]
	s_waitcnt lgkmcnt(0)
	; wave barrier
	s_and_saveexec_b64 s[4:5], s[2:3]
	s_cbranch_execz .LBB115_116
; %bb.107:
	s_andn2_b64 vcc, exec, s[6:7]
	s_cbranch_vccnz .LBB115_109
; %bb.108:
	scratch_load_dwordx2 v[108:109], v19, off
	ds_read_b64 v[110:111], v1
	s_waitcnt vmcnt(0) lgkmcnt(0)
	v_mul_f64 v[108:109], v[108:109], v[110:111]
	s_cbranch_execz .LBB115_110
	s_branch .LBB115_111
.LBB115_109:
                                        ; implicit-def: $vgpr108_vgpr109
.LBB115_110:
	ds_read_b64 v[108:109], v1
.LBB115_111:
	s_and_saveexec_b64 s[8:9], s[0:1]
	s_cbranch_execz .LBB115_115
; %bb.112:
	v_subrev_u32_e32 v110, 40, v0
	s_movk_i32 s51, 0x2e0
	s_mov_b64 s[0:1], 0
.LBB115_113:                            ; =>This Inner Loop Header: Depth=1
	scratch_load_dwordx2 v[112:113], off, s50
	v_mov_b32_e32 v111, s51
	ds_read_b64 v[114:115], v111
	v_add_u32_e32 v110, -1, v110
	s_add_i32 s51, s51, 8
	s_add_i32 s50, s50, 8
	v_cmp_eq_u32_e32 vcc, 0, v110
	s_or_b64 s[0:1], vcc, s[0:1]
	s_waitcnt vmcnt(0) lgkmcnt(0)
	v_fmac_f64_e32 v[108:109], v[112:113], v[114:115]
	s_andn2_b64 exec, exec, s[0:1]
	s_cbranch_execnz .LBB115_113
; %bb.114:
	s_or_b64 exec, exec, s[0:1]
.LBB115_115:
	s_or_b64 exec, exec, s[8:9]
	v_mov_b32_e32 v110, 0
	ds_read_b64 v[110:111], v110 offset:312
	s_waitcnt lgkmcnt(0)
	v_mul_f64 v[108:109], v[108:109], v[110:111]
	scratch_store_dwordx2 off, v[108:109], off offset:312
.LBB115_116:
	;; [unrolled: 53-line block ×25, first 2 shown]
	s_or_b64 exec, exec, s[4:5]
	scratch_load_dwordx2 v[108:109], off, off offset:120
	v_cmp_lt_u32_e64 s[2:3], 15, v0
	s_waitcnt vmcnt(0)
	ds_write_b64 v1, v[108:109]
	s_waitcnt lgkmcnt(0)
	; wave barrier
	s_and_saveexec_b64 s[4:5], s[2:3]
	s_cbranch_execz .LBB115_356
; %bb.347:
	s_andn2_b64 vcc, exec, s[6:7]
	s_cbranch_vccnz .LBB115_349
; %bb.348:
	scratch_load_dwordx2 v[108:109], v19, off
	ds_read_b64 v[110:111], v1
	s_waitcnt vmcnt(0) lgkmcnt(0)
	v_mul_f64 v[108:109], v[108:109], v[110:111]
	s_cbranch_execz .LBB115_350
	s_branch .LBB115_351
.LBB115_349:
                                        ; implicit-def: $vgpr108_vgpr109
.LBB115_350:
	ds_read_b64 v[108:109], v1
.LBB115_351:
	s_and_saveexec_b64 s[8:9], s[0:1]
	s_cbranch_execz .LBB115_355
; %bb.352:
	v_add_u32_e32 v110, -16, v0
	s_movk_i32 s26, 0x220
	s_mov_b64 s[0:1], 0
.LBB115_353:                            ; =>This Inner Loop Header: Depth=1
	scratch_load_dwordx2 v[112:113], off, s25
	v_mov_b32_e32 v111, s26
	ds_read_b64 v[114:115], v111
	v_add_u32_e32 v110, -1, v110
	s_add_i32 s26, s26, 8
	s_add_i32 s25, s25, 8
	v_cmp_eq_u32_e32 vcc, 0, v110
	s_or_b64 s[0:1], vcc, s[0:1]
	s_waitcnt vmcnt(0) lgkmcnt(0)
	v_fmac_f64_e32 v[108:109], v[112:113], v[114:115]
	s_andn2_b64 exec, exec, s[0:1]
	s_cbranch_execnz .LBB115_353
; %bb.354:
	s_or_b64 exec, exec, s[0:1]
.LBB115_355:
	s_or_b64 exec, exec, s[8:9]
	v_mov_b32_e32 v110, 0
	ds_read_b64 v[110:111], v110 offset:120
	s_waitcnt lgkmcnt(0)
	v_mul_f64 v[108:109], v[108:109], v[110:111]
	scratch_store_dwordx2 off, v[108:109], off offset:120
.LBB115_356:
	s_or_b64 exec, exec, s[4:5]
	scratch_load_dwordx2 v[108:109], off, off offset:112
	v_cmp_lt_u32_e64 s[0:1], 14, v0
	s_waitcnt vmcnt(0)
	ds_write_b64 v1, v[108:109]
	s_waitcnt lgkmcnt(0)
	; wave barrier
	s_and_saveexec_b64 s[4:5], s[0:1]
	s_cbranch_execz .LBB115_366
; %bb.357:
	s_andn2_b64 vcc, exec, s[6:7]
	s_cbranch_vccnz .LBB115_359
; %bb.358:
	scratch_load_dwordx2 v[108:109], v19, off
	ds_read_b64 v[110:111], v1
	s_waitcnt vmcnt(0) lgkmcnt(0)
	v_mul_f64 v[108:109], v[108:109], v[110:111]
	s_cbranch_execz .LBB115_360
	s_branch .LBB115_361
.LBB115_359:
                                        ; implicit-def: $vgpr108_vgpr109
.LBB115_360:
	ds_read_b64 v[108:109], v1
.LBB115_361:
	s_and_saveexec_b64 s[8:9], s[2:3]
	s_cbranch_execz .LBB115_365
; %bb.362:
	v_add_u32_e32 v110, -15, v0
	s_movk_i32 s25, 0x218
	s_mov_b64 s[2:3], 0
.LBB115_363:                            ; =>This Inner Loop Header: Depth=1
	scratch_load_dwordx2 v[112:113], off, s24
	v_mov_b32_e32 v111, s25
	ds_read_b64 v[114:115], v111
	v_add_u32_e32 v110, -1, v110
	s_add_i32 s25, s25, 8
	s_add_i32 s24, s24, 8
	v_cmp_eq_u32_e32 vcc, 0, v110
	s_or_b64 s[2:3], vcc, s[2:3]
	s_waitcnt vmcnt(0) lgkmcnt(0)
	v_fmac_f64_e32 v[108:109], v[112:113], v[114:115]
	s_andn2_b64 exec, exec, s[2:3]
	s_cbranch_execnz .LBB115_363
; %bb.364:
	s_or_b64 exec, exec, s[2:3]
.LBB115_365:
	s_or_b64 exec, exec, s[8:9]
	v_mov_b32_e32 v110, 0
	ds_read_b64 v[110:111], v110 offset:112
	s_waitcnt lgkmcnt(0)
	v_mul_f64 v[108:109], v[108:109], v[110:111]
	scratch_store_dwordx2 off, v[108:109], off offset:112
.LBB115_366:
	;; [unrolled: 53-line block ×15, first 2 shown]
	s_or_b64 exec, exec, s[4:5]
	scratch_load_dwordx2 v[108:109], off, off
	v_cmp_ne_u32_e32 vcc, 0, v0
	s_waitcnt vmcnt(0)
	ds_write_b64 v1, v[108:109]
	s_waitcnt lgkmcnt(0)
	; wave barrier
	s_and_saveexec_b64 s[0:1], vcc
	s_cbranch_execz .LBB115_506
; %bb.497:
	s_andn2_b64 vcc, exec, s[6:7]
	s_cbranch_vccnz .LBB115_499
; %bb.498:
	scratch_load_dwordx2 v[108:109], v19, off
	ds_read_b64 v[110:111], v1
	s_waitcnt vmcnt(0) lgkmcnt(0)
	v_mul_f64 v[108:109], v[108:109], v[110:111]
	s_cbranch_execz .LBB115_500
	s_branch .LBB115_501
.LBB115_499:
                                        ; implicit-def: $vgpr108_vgpr109
.LBB115_500:
	ds_read_b64 v[108:109], v1
.LBB115_501:
	s_and_saveexec_b64 s[4:5], s[2:3]
	s_cbranch_execz .LBB115_505
; %bb.502:
	v_add_u32_e32 v110, -1, v0
	s_movk_i32 s8, 0x1a8
	s_mov_b64 s[2:3], 0
.LBB115_503:                            ; =>This Inner Loop Header: Depth=1
	scratch_load_dwordx2 v[112:113], off, s10
	v_mov_b32_e32 v111, s8
	ds_read_b64 v[114:115], v111
	v_add_u32_e32 v110, -1, v110
	s_add_i32 s8, s8, 8
	s_add_i32 s10, s10, 8
	v_cmp_eq_u32_e32 vcc, 0, v110
	s_or_b64 s[2:3], vcc, s[2:3]
	s_waitcnt vmcnt(0) lgkmcnt(0)
	v_fmac_f64_e32 v[108:109], v[112:113], v[114:115]
	s_andn2_b64 exec, exec, s[2:3]
	s_cbranch_execnz .LBB115_503
; %bb.504:
	s_or_b64 exec, exec, s[2:3]
.LBB115_505:
	s_or_b64 exec, exec, s[4:5]
	v_mov_b32_e32 v110, 0
	ds_read_b64 v[110:111], v110
	s_waitcnt lgkmcnt(0)
	v_mul_f64 v[108:109], v[108:109], v[110:111]
	scratch_store_dwordx2 off, v[108:109], off
.LBB115_506:
	s_or_b64 exec, exec, s[0:1]
	s_mov_b64 s[0:1], 0
.LBB115_507:
	s_and_b64 vcc, exec, s[0:1]
	s_cbranch_vccz .LBB115_1009
; %bb.508:
	scratch_load_dwordx2 v[108:109], off, off offset:8
	v_cmp_eq_u32_e64 s[2:3], 0, v0
	s_waitcnt vmcnt(0)
	ds_write_b64 v1, v[108:109]
	s_waitcnt lgkmcnt(0)
	; wave barrier
	s_and_saveexec_b64 s[0:1], s[2:3]
	s_cbranch_execz .LBB115_514
; %bb.509:
	s_and_b64 vcc, exec, s[6:7]
	s_cbranch_vccz .LBB115_511
; %bb.510:
	scratch_load_dwordx2 v[108:109], v19, off
	ds_read_b64 v[110:111], v1
	s_waitcnt vmcnt(0) lgkmcnt(0)
	v_mul_f64 v[108:109], v[108:109], v[110:111]
	s_cbranch_execz .LBB115_512
	s_branch .LBB115_513
.LBB115_511:
                                        ; implicit-def: $vgpr108_vgpr109
.LBB115_512:
	ds_read_b64 v[108:109], v1
.LBB115_513:
	v_mov_b32_e32 v110, 0
	ds_read_b64 v[110:111], v110 offset:8
	s_waitcnt lgkmcnt(0)
	v_mul_f64 v[108:109], v[108:109], v[110:111]
	scratch_store_dwordx2 off, v[108:109], off offset:8
.LBB115_514:
	s_or_b64 exec, exec, s[0:1]
	scratch_load_dwordx2 v[108:109], off, off offset:16
	v_cndmask_b32_e64 v110, 0, 1, s[6:7]
	v_cmp_gt_u32_e32 vcc, 2, v0
	v_cmp_ne_u32_e64 s[0:1], 1, v110
	s_waitcnt vmcnt(0)
	ds_write_b64 v1, v[108:109]
	s_waitcnt lgkmcnt(0)
	; wave barrier
	s_and_saveexec_b64 s[4:5], vcc
	s_cbranch_execz .LBB115_520
; %bb.515:
	s_and_b64 vcc, exec, s[0:1]
	s_cbranch_vccnz .LBB115_517
; %bb.516:
	scratch_load_dwordx2 v[108:109], v19, off
	ds_read_b64 v[110:111], v1
	s_waitcnt vmcnt(0) lgkmcnt(0)
	v_mul_f64 v[108:109], v[108:109], v[110:111]
	s_cbranch_execz .LBB115_518
	s_branch .LBB115_519
.LBB115_517:
                                        ; implicit-def: $vgpr108_vgpr109
.LBB115_518:
	ds_read_b64 v[108:109], v1
.LBB115_519:
	scratch_load_dwordx2 v[114:115], off, off offset:8
	v_mov_b32_e32 v110, 0
	ds_read2_b64 v[110:113], v110 offset0:2 offset1:53
	s_waitcnt vmcnt(0) lgkmcnt(0)
	v_fma_f64 v[112:113], v[114:115], v[112:113], v[108:109]
	v_cndmask_b32_e64 v109, v109, v113, s[2:3]
	v_cndmask_b32_e64 v108, v108, v112, s[2:3]
	v_mul_f64 v[108:109], v[108:109], v[110:111]
	scratch_store_dwordx2 off, v[108:109], off offset:16
.LBB115_520:
	s_or_b64 exec, exec, s[4:5]
	scratch_load_dwordx2 v[108:109], off, off offset:24
	v_cmp_gt_u32_e32 vcc, 3, v0
	s_waitcnt vmcnt(0)
	ds_write_b64 v1, v[108:109]
	s_waitcnt lgkmcnt(0)
	; wave barrier
	s_and_saveexec_b64 s[4:5], vcc
	s_cbranch_execz .LBB115_528
; %bb.521:
	s_and_b64 vcc, exec, s[0:1]
	s_cbranch_vccnz .LBB115_523
; %bb.522:
	scratch_load_dwordx2 v[108:109], v19, off
	ds_read_b64 v[110:111], v1
	s_waitcnt vmcnt(0) lgkmcnt(0)
	v_mul_f64 v[108:109], v[108:109], v[110:111]
	s_cbranch_execz .LBB115_524
	s_branch .LBB115_525
.LBB115_523:
                                        ; implicit-def: $vgpr108_vgpr109
.LBB115_524:
	ds_read_b64 v[108:109], v1
.LBB115_525:
	v_cmp_ne_u32_e32 vcc, 2, v0
	s_and_saveexec_b64 s[6:7], vcc
	s_cbranch_execz .LBB115_527
; %bb.526:
	scratch_load_dwordx2 v[110:111], v19, off offset:8
	scratch_load_dwordx2 v[112:113], off, off offset:16
	ds_read_b64 v[114:115], v1 offset:8
	v_mov_b32_e32 v116, 0
	ds_read_b64 v[116:117], v116 offset:432
	s_waitcnt vmcnt(1) lgkmcnt(1)
	v_fmac_f64_e32 v[108:109], v[110:111], v[114:115]
	s_waitcnt vmcnt(0) lgkmcnt(0)
	v_fma_f64 v[110:111], v[112:113], v[116:117], v[108:109]
	v_cndmask_b32_e64 v109, v109, v111, s[2:3]
	v_cndmask_b32_e64 v108, v108, v110, s[2:3]
.LBB115_527:
	s_or_b64 exec, exec, s[6:7]
	v_mov_b32_e32 v110, 0
	ds_read_b64 v[110:111], v110 offset:24
	s_waitcnt lgkmcnt(0)
	v_mul_f64 v[108:109], v[108:109], v[110:111]
	scratch_store_dwordx2 off, v[108:109], off offset:24
.LBB115_528:
	s_or_b64 exec, exec, s[4:5]
	scratch_load_dwordx2 v[108:109], off, off offset:32
	v_cmp_gt_u32_e32 vcc, 4, v0
	s_waitcnt vmcnt(0)
	ds_write_b64 v1, v[108:109]
	s_waitcnt lgkmcnt(0)
	; wave barrier
	s_and_saveexec_b64 s[2:3], vcc
	s_cbranch_execz .LBB115_538
; %bb.529:
	s_and_b64 vcc, exec, s[0:1]
	s_cbranch_vccnz .LBB115_531
; %bb.530:
	scratch_load_dwordx2 v[108:109], v19, off
	ds_read_b64 v[110:111], v1
	s_waitcnt vmcnt(0) lgkmcnt(0)
	v_mul_f64 v[108:109], v[108:109], v[110:111]
	s_cbranch_execz .LBB115_532
	s_branch .LBB115_533
.LBB115_531:
                                        ; implicit-def: $vgpr108_vgpr109
.LBB115_532:
	ds_read_b64 v[108:109], v1
.LBB115_533:
	v_cmp_ne_u32_e32 vcc, 3, v0
	s_and_saveexec_b64 s[4:5], vcc
	s_cbranch_execz .LBB115_537
; %bb.534:
	s_mov_b32 s6, 0
	v_add_u32_e32 v110, 0x1a8, v18
	v_add3_u32 v111, v18, s6, 8
	s_mov_b64 s[6:7], 0
	v_mov_b32_e32 v112, v0
.LBB115_535:                            ; =>This Inner Loop Header: Depth=1
	scratch_load_dwordx2 v[114:115], v111, off
	ds_read_b64 v[116:117], v110
	v_add_u32_e32 v112, 1, v112
	v_cmp_lt_u32_e32 vcc, 2, v112
	v_add_u32_e32 v110, 8, v110
	v_add_u32_e32 v111, 8, v111
	s_or_b64 s[6:7], vcc, s[6:7]
	s_waitcnt vmcnt(0) lgkmcnt(0)
	v_fmac_f64_e32 v[108:109], v[114:115], v[116:117]
	s_andn2_b64 exec, exec, s[6:7]
	s_cbranch_execnz .LBB115_535
; %bb.536:
	s_or_b64 exec, exec, s[6:7]
.LBB115_537:
	s_or_b64 exec, exec, s[4:5]
	v_mov_b32_e32 v110, 0
	ds_read_b64 v[110:111], v110 offset:32
	s_waitcnt lgkmcnt(0)
	v_mul_f64 v[108:109], v[108:109], v[110:111]
	scratch_store_dwordx2 off, v[108:109], off offset:32
.LBB115_538:
	s_or_b64 exec, exec, s[2:3]
	scratch_load_dwordx2 v[108:109], off, off offset:40
	v_cmp_gt_u32_e32 vcc, 5, v0
	s_waitcnt vmcnt(0)
	ds_write_b64 v1, v[108:109]
	s_waitcnt lgkmcnt(0)
	; wave barrier
	s_and_saveexec_b64 s[2:3], vcc
	s_cbranch_execz .LBB115_548
; %bb.539:
	s_and_b64 vcc, exec, s[0:1]
	s_cbranch_vccnz .LBB115_541
; %bb.540:
	scratch_load_dwordx2 v[108:109], v19, off
	ds_read_b64 v[110:111], v1
	s_waitcnt vmcnt(0) lgkmcnt(0)
	v_mul_f64 v[108:109], v[108:109], v[110:111]
	s_cbranch_execz .LBB115_542
	s_branch .LBB115_543
.LBB115_541:
                                        ; implicit-def: $vgpr108_vgpr109
.LBB115_542:
	ds_read_b64 v[108:109], v1
.LBB115_543:
	v_cmp_ne_u32_e32 vcc, 4, v0
	s_and_saveexec_b64 s[4:5], vcc
	s_cbranch_execz .LBB115_547
; %bb.544:
	s_mov_b32 s6, 0
	v_add_u32_e32 v110, 0x1a8, v18
	v_add3_u32 v111, v18, s6, 8
	s_mov_b64 s[6:7], 0
	v_mov_b32_e32 v112, v0
.LBB115_545:                            ; =>This Inner Loop Header: Depth=1
	scratch_load_dwordx2 v[114:115], v111, off
	ds_read_b64 v[116:117], v110
	v_add_u32_e32 v112, 1, v112
	v_cmp_lt_u32_e32 vcc, 3, v112
	v_add_u32_e32 v110, 8, v110
	v_add_u32_e32 v111, 8, v111
	s_or_b64 s[6:7], vcc, s[6:7]
	s_waitcnt vmcnt(0) lgkmcnt(0)
	v_fmac_f64_e32 v[108:109], v[114:115], v[116:117]
	s_andn2_b64 exec, exec, s[6:7]
	s_cbranch_execnz .LBB115_545
; %bb.546:
	s_or_b64 exec, exec, s[6:7]
.LBB115_547:
	s_or_b64 exec, exec, s[4:5]
	v_mov_b32_e32 v110, 0
	ds_read_b64 v[110:111], v110 offset:40
	s_waitcnt lgkmcnt(0)
	v_mul_f64 v[108:109], v[108:109], v[110:111]
	scratch_store_dwordx2 off, v[108:109], off offset:40
.LBB115_548:
	;; [unrolled: 55-line block ×46, first 2 shown]
	s_or_b64 exec, exec, s[2:3]
	scratch_load_dwordx2 v[108:109], off, off offset:400
	v_cmp_gt_u32_e64 s[2:3], 50, v0
	s_waitcnt vmcnt(0)
	ds_write_b64 v1, v[108:109]
	s_waitcnt lgkmcnt(0)
	; wave barrier
	s_and_saveexec_b64 s[4:5], s[2:3]
	s_cbranch_execz .LBB115_998
; %bb.989:
	s_and_b64 vcc, exec, s[0:1]
	s_cbranch_vccnz .LBB115_991
; %bb.990:
	scratch_load_dwordx2 v[108:109], v19, off
	ds_read_b64 v[110:111], v1
	s_waitcnt vmcnt(0) lgkmcnt(0)
	v_mul_f64 v[108:109], v[108:109], v[110:111]
	s_cbranch_execz .LBB115_992
	s_branch .LBB115_993
.LBB115_991:
                                        ; implicit-def: $vgpr108_vgpr109
.LBB115_992:
	ds_read_b64 v[108:109], v1
.LBB115_993:
	v_cmp_ne_u32_e32 vcc, 49, v0
	s_and_saveexec_b64 s[6:7], vcc
	s_cbranch_execz .LBB115_997
; %bb.994:
	s_mov_b32 s8, 0
	v_add_u32_e32 v110, 0x1a8, v18
	v_add3_u32 v111, v18, s8, 8
	s_mov_b64 s[8:9], 0
	v_mov_b32_e32 v112, v0
.LBB115_995:                            ; =>This Inner Loop Header: Depth=1
	scratch_load_dwordx2 v[114:115], v111, off
	ds_read_b64 v[116:117], v110
	v_add_u32_e32 v112, 1, v112
	v_cmp_lt_u32_e32 vcc, 48, v112
	v_add_u32_e32 v110, 8, v110
	v_add_u32_e32 v111, 8, v111
	s_or_b64 s[8:9], vcc, s[8:9]
	s_waitcnt vmcnt(0) lgkmcnt(0)
	v_fmac_f64_e32 v[108:109], v[114:115], v[116:117]
	s_andn2_b64 exec, exec, s[8:9]
	s_cbranch_execnz .LBB115_995
; %bb.996:
	s_or_b64 exec, exec, s[8:9]
.LBB115_997:
	s_or_b64 exec, exec, s[6:7]
	v_mov_b32_e32 v110, 0
	ds_read_b64 v[110:111], v110 offset:400
	s_waitcnt lgkmcnt(0)
	v_mul_f64 v[108:109], v[108:109], v[110:111]
	scratch_store_dwordx2 off, v[108:109], off offset:400
.LBB115_998:
	s_or_b64 exec, exec, s[4:5]
	scratch_load_dwordx2 v[108:109], off, off offset:408
	v_cmp_ne_u32_e32 vcc, 51, v0
	s_waitcnt vmcnt(0)
	ds_write_b64 v1, v[108:109]
	s_waitcnt lgkmcnt(0)
	; wave barrier
	s_and_saveexec_b64 s[4:5], vcc
	s_cbranch_execz .LBB115_1008
; %bb.999:
	s_and_b64 vcc, exec, s[0:1]
	s_cbranch_vccnz .LBB115_1001
; %bb.1000:
	scratch_load_dwordx2 v[108:109], v19, off
	ds_read_b64 v[110:111], v1
	s_waitcnt vmcnt(0) lgkmcnt(0)
	v_mul_f64 v[108:109], v[108:109], v[110:111]
	s_cbranch_execz .LBB115_1002
	s_branch .LBB115_1003
.LBB115_1001:
                                        ; implicit-def: $vgpr108_vgpr109
.LBB115_1002:
	ds_read_b64 v[108:109], v1
.LBB115_1003:
	s_and_saveexec_b64 s[0:1], s[2:3]
	s_cbranch_execz .LBB115_1007
; %bb.1004:
	s_mov_b32 s2, 0
	v_add_u32_e32 v1, 0x1a8, v18
	v_add3_u32 v18, v18, s2, 8
	s_mov_b64 s[2:3], 0
.LBB115_1005:                           ; =>This Inner Loop Header: Depth=1
	scratch_load_dwordx2 v[110:111], v18, off
	ds_read_b64 v[112:113], v1
	v_add_u32_e32 v0, 1, v0
	v_cmp_lt_u32_e32 vcc, 49, v0
	v_add_u32_e32 v1, 8, v1
	v_add_u32_e32 v18, 8, v18
	s_or_b64 s[2:3], vcc, s[2:3]
	s_waitcnt vmcnt(0) lgkmcnt(0)
	v_fmac_f64_e32 v[108:109], v[110:111], v[112:113]
	s_andn2_b64 exec, exec, s[2:3]
	s_cbranch_execnz .LBB115_1005
; %bb.1006:
	s_or_b64 exec, exec, s[2:3]
.LBB115_1007:
	s_or_b64 exec, exec, s[0:1]
	v_mov_b32_e32 v0, 0
	ds_read_b64 v[0:1], v0 offset:408
	s_waitcnt lgkmcnt(0)
	v_mul_f64 v[0:1], v[108:109], v[0:1]
	scratch_store_dwordx2 off, v[0:1], off offset:408
.LBB115_1008:
	s_or_b64 exec, exec, s[4:5]
.LBB115_1009:
	scratch_load_dwordx2 v[0:1], off, off
	s_waitcnt vmcnt(0)
	flat_store_dwordx2 v[2:3], v[0:1]
	scratch_load_dwordx2 v[0:1], off, off offset:8
	s_waitcnt vmcnt(0)
	flat_store_dwordx2 v[4:5], v[0:1]
	scratch_load_dwordx2 v[0:1], off, off offset:16
	;; [unrolled: 3-line block ×51, first 2 shown]
	s_waitcnt vmcnt(0)
	flat_store_dwordx2 v[106:107], v[0:1]
.LBB115_1010:
	s_endpgm
	.section	.rodata,"a",@progbits
	.p2align	6, 0x0
	.amdhsa_kernel _ZN9rocsolver6v33100L18trti2_kernel_smallILi52EdPKPdEEv13rocblas_fill_17rocblas_diagonal_T1_iil
		.amdhsa_group_segment_fixed_size 832
		.amdhsa_private_segment_fixed_size 432
		.amdhsa_kernarg_size 32
		.amdhsa_user_sgpr_count 2
		.amdhsa_user_sgpr_dispatch_ptr 0
		.amdhsa_user_sgpr_queue_ptr 0
		.amdhsa_user_sgpr_kernarg_segment_ptr 1
		.amdhsa_user_sgpr_dispatch_id 0
		.amdhsa_user_sgpr_kernarg_preload_length 0
		.amdhsa_user_sgpr_kernarg_preload_offset 0
		.amdhsa_user_sgpr_private_segment_size 0
		.amdhsa_uses_dynamic_stack 0
		.amdhsa_enable_private_segment 1
		.amdhsa_system_sgpr_workgroup_id_x 1
		.amdhsa_system_sgpr_workgroup_id_y 0
		.amdhsa_system_sgpr_workgroup_id_z 0
		.amdhsa_system_sgpr_workgroup_info 0
		.amdhsa_system_vgpr_workitem_id 0
		.amdhsa_next_free_vgpr 118
		.amdhsa_next_free_sgpr 61
		.amdhsa_accum_offset 120
		.amdhsa_reserve_vcc 1
		.amdhsa_float_round_mode_32 0
		.amdhsa_float_round_mode_16_64 0
		.amdhsa_float_denorm_mode_32 3
		.amdhsa_float_denorm_mode_16_64 3
		.amdhsa_dx10_clamp 1
		.amdhsa_ieee_mode 1
		.amdhsa_fp16_overflow 0
		.amdhsa_tg_split 0
		.amdhsa_exception_fp_ieee_invalid_op 0
		.amdhsa_exception_fp_denorm_src 0
		.amdhsa_exception_fp_ieee_div_zero 0
		.amdhsa_exception_fp_ieee_overflow 0
		.amdhsa_exception_fp_ieee_underflow 0
		.amdhsa_exception_fp_ieee_inexact 0
		.amdhsa_exception_int_div_zero 0
	.end_amdhsa_kernel
	.section	.text._ZN9rocsolver6v33100L18trti2_kernel_smallILi52EdPKPdEEv13rocblas_fill_17rocblas_diagonal_T1_iil,"axG",@progbits,_ZN9rocsolver6v33100L18trti2_kernel_smallILi52EdPKPdEEv13rocblas_fill_17rocblas_diagonal_T1_iil,comdat
.Lfunc_end115:
	.size	_ZN9rocsolver6v33100L18trti2_kernel_smallILi52EdPKPdEEv13rocblas_fill_17rocblas_diagonal_T1_iil, .Lfunc_end115-_ZN9rocsolver6v33100L18trti2_kernel_smallILi52EdPKPdEEv13rocblas_fill_17rocblas_diagonal_T1_iil
                                        ; -- End function
	.set _ZN9rocsolver6v33100L18trti2_kernel_smallILi52EdPKPdEEv13rocblas_fill_17rocblas_diagonal_T1_iil.num_vgpr, 118
	.set _ZN9rocsolver6v33100L18trti2_kernel_smallILi52EdPKPdEEv13rocblas_fill_17rocblas_diagonal_T1_iil.num_agpr, 0
	.set _ZN9rocsolver6v33100L18trti2_kernel_smallILi52EdPKPdEEv13rocblas_fill_17rocblas_diagonal_T1_iil.numbered_sgpr, 61
	.set _ZN9rocsolver6v33100L18trti2_kernel_smallILi52EdPKPdEEv13rocblas_fill_17rocblas_diagonal_T1_iil.num_named_barrier, 0
	.set _ZN9rocsolver6v33100L18trti2_kernel_smallILi52EdPKPdEEv13rocblas_fill_17rocblas_diagonal_T1_iil.private_seg_size, 432
	.set _ZN9rocsolver6v33100L18trti2_kernel_smallILi52EdPKPdEEv13rocblas_fill_17rocblas_diagonal_T1_iil.uses_vcc, 1
	.set _ZN9rocsolver6v33100L18trti2_kernel_smallILi52EdPKPdEEv13rocblas_fill_17rocblas_diagonal_T1_iil.uses_flat_scratch, 0
	.set _ZN9rocsolver6v33100L18trti2_kernel_smallILi52EdPKPdEEv13rocblas_fill_17rocblas_diagonal_T1_iil.has_dyn_sized_stack, 0
	.set _ZN9rocsolver6v33100L18trti2_kernel_smallILi52EdPKPdEEv13rocblas_fill_17rocblas_diagonal_T1_iil.has_recursion, 0
	.set _ZN9rocsolver6v33100L18trti2_kernel_smallILi52EdPKPdEEv13rocblas_fill_17rocblas_diagonal_T1_iil.has_indirect_call, 0
	.section	.AMDGPU.csdata,"",@progbits
; Kernel info:
; codeLenInByte = 25304
; TotalNumSgprs: 67
; NumVgprs: 118
; NumAgprs: 0
; TotalNumVgprs: 118
; ScratchSize: 432
; MemoryBound: 0
; FloatMode: 240
; IeeeMode: 1
; LDSByteSize: 832 bytes/workgroup (compile time only)
; SGPRBlocks: 8
; VGPRBlocks: 14
; NumSGPRsForWavesPerEU: 67
; NumVGPRsForWavesPerEU: 118
; AccumOffset: 120
; Occupancy: 4
; WaveLimiterHint : 1
; COMPUTE_PGM_RSRC2:SCRATCH_EN: 1
; COMPUTE_PGM_RSRC2:USER_SGPR: 2
; COMPUTE_PGM_RSRC2:TRAP_HANDLER: 0
; COMPUTE_PGM_RSRC2:TGID_X_EN: 1
; COMPUTE_PGM_RSRC2:TGID_Y_EN: 0
; COMPUTE_PGM_RSRC2:TGID_Z_EN: 0
; COMPUTE_PGM_RSRC2:TIDIG_COMP_CNT: 0
; COMPUTE_PGM_RSRC3_GFX90A:ACCUM_OFFSET: 29
; COMPUTE_PGM_RSRC3_GFX90A:TG_SPLIT: 0
	.section	.text._ZN9rocsolver6v33100L18trti2_kernel_smallILi53EdPKPdEEv13rocblas_fill_17rocblas_diagonal_T1_iil,"axG",@progbits,_ZN9rocsolver6v33100L18trti2_kernel_smallILi53EdPKPdEEv13rocblas_fill_17rocblas_diagonal_T1_iil,comdat
	.globl	_ZN9rocsolver6v33100L18trti2_kernel_smallILi53EdPKPdEEv13rocblas_fill_17rocblas_diagonal_T1_iil ; -- Begin function _ZN9rocsolver6v33100L18trti2_kernel_smallILi53EdPKPdEEv13rocblas_fill_17rocblas_diagonal_T1_iil
	.p2align	8
	.type	_ZN9rocsolver6v33100L18trti2_kernel_smallILi53EdPKPdEEv13rocblas_fill_17rocblas_diagonal_T1_iil,@function
_ZN9rocsolver6v33100L18trti2_kernel_smallILi53EdPKPdEEv13rocblas_fill_17rocblas_diagonal_T1_iil: ; @_ZN9rocsolver6v33100L18trti2_kernel_smallILi53EdPKPdEEv13rocblas_fill_17rocblas_diagonal_T1_iil
; %bb.0:
	v_cmp_gt_u32_e32 vcc, 53, v0
	s_and_saveexec_b64 s[4:5], vcc
	s_cbranch_execz .LBB116_1030
; %bb.1:
	s_load_dwordx2 s[8:9], s[0:1], 0x10
	s_load_dwordx4 s[4:7], s[0:1], 0x0
	s_ashr_i32 s3, s2, 31
	s_lshl_b64 s[0:1], s[2:3], 3
	v_lshlrev_b32_e32 v18, 3, v0
	s_waitcnt lgkmcnt(0)
	s_ashr_i32 s3, s8, 31
	s_add_u32 s0, s6, s0
	s_addc_u32 s1, s7, s1
	s_load_dwordx2 s[0:1], s[0:1], 0x0
	s_mov_b32 s2, s8
	s_lshl_b64 s[2:3], s[2:3], 3
	v_mov_b32_e32 v19, 0
	s_waitcnt lgkmcnt(0)
	s_add_u32 s0, s0, s2
	s_addc_u32 s1, s1, s3
	v_lshl_add_u64 v[2:3], s[0:1], 0, v[18:19]
	flat_load_dwordx2 v[6:7], v[2:3]
	s_mov_b32 s2, s9
	s_ashr_i32 s3, s9, 31
	v_lshl_add_u64 v[4:5], s[2:3], 3, v[2:3]
	s_add_i32 s2, s9, s9
	v_add_u32_e32 v10, s2, v0
	v_ashrrev_i32_e32 v11, 31, v10
	s_cmpk_lg_i32 s5, 0x84
	s_cselect_b64 s[6:7], -1, 0
	s_cmpk_eq_i32 s5, 0x84
	s_waitcnt vmcnt(0) lgkmcnt(0)
	scratch_store_dwordx2 off, v[6:7], off
	flat_load_dwordx2 v[8:9], v[4:5]
	v_lshl_add_u64 v[6:7], v[10:11], 3, s[0:1]
	v_add_u32_e32 v10, s9, v10
	v_ashrrev_i32_e32 v11, 31, v10
	v_add_u32_e32 v14, s9, v10
	v_ashrrev_i32_e32 v15, 31, v14
	s_waitcnt vmcnt(0) lgkmcnt(0)
	scratch_store_dwordx2 off, v[8:9], off offset:8
	flat_load_dwordx2 v[12:13], v[6:7]
	v_lshl_add_u64 v[8:9], v[10:11], 3, s[0:1]
	v_lshl_add_u64 v[10:11], v[14:15], 3, s[0:1]
	v_add_u32_e32 v14, s9, v14
	v_ashrrev_i32_e32 v15, 31, v14
	v_add_u32_e32 v20, s9, v14
	v_ashrrev_i32_e32 v21, 31, v20
	s_waitcnt vmcnt(0) lgkmcnt(0)
	scratch_store_dwordx2 off, v[12:13], off offset:16
	flat_load_dwordx2 v[12:13], v[8:9]
	s_waitcnt vmcnt(0) lgkmcnt(0)
	scratch_store_dwordx2 off, v[12:13], off offset:24
	flat_load_dwordx2 v[16:17], v[10:11]
	v_lshl_add_u64 v[12:13], v[14:15], 3, s[0:1]
	v_lshl_add_u64 v[14:15], v[20:21], 3, s[0:1]
	v_add_u32_e32 v20, s9, v20
	v_ashrrev_i32_e32 v21, 31, v20
	v_add_u32_e32 v24, s9, v20
	v_ashrrev_i32_e32 v25, 31, v24
	s_waitcnt vmcnt(0) lgkmcnt(0)
	scratch_store_dwordx2 off, v[16:17], off offset:32
	flat_load_dwordx2 v[16:17], v[12:13]
	;; [unrolled: 12-line block ×23, first 2 shown]
	s_waitcnt vmcnt(0) lgkmcnt(0)
	scratch_store_dwordx2 off, v[102:103], off offset:376
	flat_load_dwordx2 v[106:107], v[100:101]
	v_lshl_add_u64 v[102:103], v[104:105], 3, s[0:1]
	v_lshl_add_u64 v[104:105], v[108:109], 3, s[0:1]
	v_add_u32_e32 v108, s9, v108
	v_ashrrev_i32_e32 v109, 31, v108
	s_waitcnt vmcnt(0) lgkmcnt(0)
	scratch_store_dwordx2 off, v[106:107], off offset:384
	flat_load_dwordx2 v[106:107], v[102:103]
	s_waitcnt vmcnt(0) lgkmcnt(0)
	scratch_store_dwordx2 off, v[106:107], off offset:392
	flat_load_dwordx2 v[110:111], v[104:105]
	v_lshl_add_u64 v[106:107], v[108:109], 3, s[0:1]
	v_add_u32_e32 v108, s9, v108
	v_ashrrev_i32_e32 v109, 31, v108
	v_lshl_add_u64 v[108:109], v[108:109], 3, s[0:1]
	s_waitcnt vmcnt(0) lgkmcnt(0)
	scratch_store_dwordx2 off, v[110:111], off offset:400
	flat_load_dwordx2 v[110:111], v[106:107]
	s_waitcnt vmcnt(0) lgkmcnt(0)
	scratch_store_dwordx2 off, v[110:111], off offset:408
	flat_load_dwordx2 v[110:111], v[108:109]
	s_waitcnt vmcnt(0) lgkmcnt(0)
	scratch_store_dwordx2 off, v[110:111], off offset:416
	v_mov_b64_e32 v[110:111], -1.0
	s_cbranch_scc1 .LBB116_3
; %bb.2:
	scratch_load_dwordx2 v[110:111], v18, off
	s_waitcnt vmcnt(0)
	v_div_scale_f64 v[112:113], s[0:1], v[110:111], v[110:111], 1.0
	v_rcp_f64_e32 v[114:115], v[112:113]
	v_div_scale_f64 v[116:117], vcc, 1.0, v[110:111], 1.0
	v_fma_f64 v[118:119], -v[112:113], v[114:115], 1.0
	v_fmac_f64_e32 v[114:115], v[114:115], v[118:119]
	v_fma_f64 v[118:119], -v[112:113], v[114:115], 1.0
	v_fmac_f64_e32 v[114:115], v[114:115], v[118:119]
	v_mul_f64 v[118:119], v[116:117], v[114:115]
	v_fma_f64 v[112:113], -v[112:113], v[118:119], v[116:117]
	v_div_fmas_f64 v[112:113], v[112:113], v[114:115], v[118:119]
	v_div_fixup_f64 v[110:111], v[112:113], v[110:111], 1.0
	scratch_store_dwordx2 v18, v[110:111], off
	v_xor_b32_e32 v111, 0x80000000, v111
.LBB116_3:
	s_cmpk_eq_i32 s4, 0x79
	v_add_u32_e32 v1, 0x1b0, v18
	v_mov_b32_e32 v19, v18
	s_mov_b64 s[0:1], -1
	ds_write_b64 v18, v[110:111]
	s_cbranch_scc1 .LBB116_517
; %bb.4:
	scratch_load_dwordx2 v[110:111], off, off offset:408
	s_movk_i32 s8, 0x48
	s_movk_i32 s9, 0x50
	;; [unrolled: 1-line block ×42, first 2 shown]
	v_cmp_eq_u32_e64 s[0:1], 52, v0
	s_waitcnt vmcnt(0)
	ds_write_b64 v1, v[110:111]
	s_waitcnt lgkmcnt(0)
	; wave barrier
	s_and_saveexec_b64 s[2:3], s[0:1]
	s_cbranch_execz .LBB116_10
; %bb.5:
	s_and_b64 vcc, exec, s[6:7]
	s_cbranch_vccz .LBB116_7
; %bb.6:
	scratch_load_dwordx2 v[110:111], v19, off
	ds_read_b64 v[112:113], v1
	s_waitcnt vmcnt(0) lgkmcnt(0)
	v_mul_f64 v[110:111], v[110:111], v[112:113]
	s_cbranch_execz .LBB116_8
	s_branch .LBB116_9
.LBB116_7:
                                        ; implicit-def: $vgpr110_vgpr111
.LBB116_8:
	ds_read_b64 v[110:111], v1
.LBB116_9:
	v_mov_b32_e32 v112, 0
	ds_read_b64 v[112:113], v112 offset:408
	s_waitcnt lgkmcnt(0)
	v_mul_f64 v[110:111], v[110:111], v[112:113]
	scratch_store_dwordx2 off, v[110:111], off offset:408
.LBB116_10:
	s_or_b64 exec, exec, s[2:3]
	scratch_load_dwordx2 v[110:111], off, off offset:400
	s_or_b32 s10, 0, 8
	s_mov_b32 s11, 16
	s_mov_b32 s12, 24
	;; [unrolled: 1-line block ×9, first 2 shown]
	v_cmp_lt_u32_e64 s[2:3], 50, v0
	s_waitcnt vmcnt(0)
	ds_write_b64 v1, v[110:111]
	s_waitcnt lgkmcnt(0)
	; wave barrier
	s_and_saveexec_b64 s[4:5], s[2:3]
	s_cbranch_execz .LBB116_16
; %bb.11:
	s_andn2_b64 vcc, exec, s[6:7]
	s_cbranch_vccnz .LBB116_13
; %bb.12:
	scratch_load_dwordx2 v[110:111], v19, off
	ds_read_b64 v[112:113], v1
	s_waitcnt vmcnt(0) lgkmcnt(0)
	v_mul_f64 v[110:111], v[110:111], v[112:113]
	s_cbranch_execz .LBB116_14
	s_branch .LBB116_15
.LBB116_13:
                                        ; implicit-def: $vgpr110_vgpr111
.LBB116_14:
	ds_read_b64 v[110:111], v1
.LBB116_15:
	scratch_load_dwordx2 v[116:117], off, off offset:408
	v_mov_b32_e32 v112, 0
	ds_read2_b64 v[112:115], v112 offset0:50 offset1:105
	s_waitcnt vmcnt(0) lgkmcnt(0)
	v_fma_f64 v[114:115], v[116:117], v[114:115], v[110:111]
	v_cndmask_b32_e64 v111, v111, v115, s[0:1]
	v_cndmask_b32_e64 v110, v110, v114, s[0:1]
	v_mul_f64 v[110:111], v[110:111], v[112:113]
	scratch_store_dwordx2 off, v[110:111], off offset:400
.LBB116_16:
	s_or_b64 exec, exec, s[4:5]
	scratch_load_dwordx2 v[110:111], off, off offset:392
	v_cmp_lt_u32_e64 s[0:1], 49, v0
	s_waitcnt vmcnt(0)
	ds_write_b64 v1, v[110:111]
	s_waitcnt lgkmcnt(0)
	; wave barrier
	s_and_saveexec_b64 s[4:5], s[0:1]
	s_cbranch_execz .LBB116_26
; %bb.17:
	s_andn2_b64 vcc, exec, s[6:7]
	s_cbranch_vccnz .LBB116_19
; %bb.18:
	scratch_load_dwordx2 v[110:111], v19, off
	ds_read_b64 v[112:113], v1
	s_waitcnt vmcnt(0) lgkmcnt(0)
	v_mul_f64 v[110:111], v[110:111], v[112:113]
	s_cbranch_execz .LBB116_20
	s_branch .LBB116_21
.LBB116_19:
                                        ; implicit-def: $vgpr110_vgpr111
.LBB116_20:
	ds_read_b64 v[110:111], v1
.LBB116_21:
	s_and_saveexec_b64 s[8:9], s[2:3]
	s_cbranch_execz .LBB116_25
; %bb.22:
	v_subrev_u32_e32 v112, 50, v0
	s_movk_i32 s61, 0x340
	s_mov_b64 s[2:3], 0
.LBB116_23:                             ; =>This Inner Loop Header: Depth=1
	scratch_load_dwordx2 v[114:115], off, s60
	v_mov_b32_e32 v113, s61
	ds_read_b64 v[116:117], v113
	v_add_u32_e32 v112, -1, v112
	s_add_i32 s61, s61, 8
	s_add_i32 s60, s60, 8
	v_cmp_eq_u32_e32 vcc, 0, v112
	s_or_b64 s[2:3], vcc, s[2:3]
	s_waitcnt vmcnt(0) lgkmcnt(0)
	v_fmac_f64_e32 v[110:111], v[114:115], v[116:117]
	s_andn2_b64 exec, exec, s[2:3]
	s_cbranch_execnz .LBB116_23
; %bb.24:
	s_or_b64 exec, exec, s[2:3]
.LBB116_25:
	s_or_b64 exec, exec, s[8:9]
	v_mov_b32_e32 v112, 0
	ds_read_b64 v[112:113], v112 offset:392
	s_waitcnt lgkmcnt(0)
	v_mul_f64 v[110:111], v[110:111], v[112:113]
	scratch_store_dwordx2 off, v[110:111], off offset:392
.LBB116_26:
	s_or_b64 exec, exec, s[4:5]
	scratch_load_dwordx2 v[110:111], off, off offset:384
	v_cmp_lt_u32_e64 s[2:3], 48, v0
	s_waitcnt vmcnt(0)
	ds_write_b64 v1, v[110:111]
	s_waitcnt lgkmcnt(0)
	; wave barrier
	s_and_saveexec_b64 s[4:5], s[2:3]
	s_cbranch_execz .LBB116_36
; %bb.27:
	s_andn2_b64 vcc, exec, s[6:7]
	s_cbranch_vccnz .LBB116_29
; %bb.28:
	scratch_load_dwordx2 v[110:111], v19, off
	ds_read_b64 v[112:113], v1
	s_waitcnt vmcnt(0) lgkmcnt(0)
	v_mul_f64 v[110:111], v[110:111], v[112:113]
	s_cbranch_execz .LBB116_30
	s_branch .LBB116_31
.LBB116_29:
                                        ; implicit-def: $vgpr110_vgpr111
.LBB116_30:
	ds_read_b64 v[110:111], v1
.LBB116_31:
	s_and_saveexec_b64 s[8:9], s[0:1]
	s_cbranch_execz .LBB116_35
; %bb.32:
	v_subrev_u32_e32 v112, 49, v0
	s_movk_i32 s60, 0x338
	s_mov_b64 s[0:1], 0
.LBB116_33:                             ; =>This Inner Loop Header: Depth=1
	scratch_load_dwordx2 v[114:115], off, s59
	v_mov_b32_e32 v113, s60
	ds_read_b64 v[116:117], v113
	v_add_u32_e32 v112, -1, v112
	s_add_i32 s60, s60, 8
	s_add_i32 s59, s59, 8
	v_cmp_eq_u32_e32 vcc, 0, v112
	s_or_b64 s[0:1], vcc, s[0:1]
	s_waitcnt vmcnt(0) lgkmcnt(0)
	v_fmac_f64_e32 v[110:111], v[114:115], v[116:117]
	s_andn2_b64 exec, exec, s[0:1]
	s_cbranch_execnz .LBB116_33
; %bb.34:
	s_or_b64 exec, exec, s[0:1]
.LBB116_35:
	s_or_b64 exec, exec, s[8:9]
	v_mov_b32_e32 v112, 0
	ds_read_b64 v[112:113], v112 offset:384
	s_waitcnt lgkmcnt(0)
	v_mul_f64 v[110:111], v[110:111], v[112:113]
	scratch_store_dwordx2 off, v[110:111], off offset:384
.LBB116_36:
	;; [unrolled: 53-line block ×8, first 2 shown]
	s_or_b64 exec, exec, s[4:5]
	scratch_load_dwordx2 v[110:111], off, off offset:328
	v_cmp_lt_u32_e64 s[0:1], 41, v0
	s_waitcnt vmcnt(0)
	ds_write_b64 v1, v[110:111]
	s_waitcnt lgkmcnt(0)
	; wave barrier
	s_and_saveexec_b64 s[4:5], s[0:1]
	s_cbranch_execz .LBB116_106
; %bb.97:
	s_andn2_b64 vcc, exec, s[6:7]
	s_cbranch_vccnz .LBB116_99
; %bb.98:
	scratch_load_dwordx2 v[110:111], v19, off
	ds_read_b64 v[112:113], v1
	s_waitcnt vmcnt(0) lgkmcnt(0)
	v_mul_f64 v[110:111], v[110:111], v[112:113]
	s_cbranch_execz .LBB116_100
	s_branch .LBB116_101
.LBB116_99:
                                        ; implicit-def: $vgpr110_vgpr111
.LBB116_100:
	ds_read_b64 v[110:111], v1
.LBB116_101:
	s_and_saveexec_b64 s[8:9], s[2:3]
	s_cbranch_execz .LBB116_105
; %bb.102:
	v_subrev_u32_e32 v112, 42, v0
	s_movk_i32 s53, 0x300
	s_mov_b64 s[2:3], 0
.LBB116_103:                            ; =>This Inner Loop Header: Depth=1
	scratch_load_dwordx2 v[114:115], off, s52
	v_mov_b32_e32 v113, s53
	ds_read_b64 v[116:117], v113
	v_add_u32_e32 v112, -1, v112
	s_add_i32 s53, s53, 8
	s_add_i32 s52, s52, 8
	v_cmp_eq_u32_e32 vcc, 0, v112
	s_or_b64 s[2:3], vcc, s[2:3]
	s_waitcnt vmcnt(0) lgkmcnt(0)
	v_fmac_f64_e32 v[110:111], v[114:115], v[116:117]
	s_andn2_b64 exec, exec, s[2:3]
	s_cbranch_execnz .LBB116_103
; %bb.104:
	s_or_b64 exec, exec, s[2:3]
.LBB116_105:
	s_or_b64 exec, exec, s[8:9]
	v_mov_b32_e32 v112, 0
	ds_read_b64 v[112:113], v112 offset:328
	s_waitcnt lgkmcnt(0)
	v_mul_f64 v[110:111], v[110:111], v[112:113]
	scratch_store_dwordx2 off, v[110:111], off offset:328
.LBB116_106:
	s_or_b64 exec, exec, s[4:5]
	scratch_load_dwordx2 v[110:111], off, off offset:320
	v_cmp_lt_u32_e64 s[2:3], 40, v0
	s_waitcnt vmcnt(0)
	ds_write_b64 v1, v[110:111]
	s_waitcnt lgkmcnt(0)
	; wave barrier
	s_and_saveexec_b64 s[4:5], s[2:3]
	s_cbranch_execz .LBB116_116
; %bb.107:
	s_andn2_b64 vcc, exec, s[6:7]
	s_cbranch_vccnz .LBB116_109
; %bb.108:
	scratch_load_dwordx2 v[110:111], v19, off
	ds_read_b64 v[112:113], v1
	s_waitcnt vmcnt(0) lgkmcnt(0)
	v_mul_f64 v[110:111], v[110:111], v[112:113]
	s_cbranch_execz .LBB116_110
	s_branch .LBB116_111
.LBB116_109:
                                        ; implicit-def: $vgpr110_vgpr111
.LBB116_110:
	ds_read_b64 v[110:111], v1
.LBB116_111:
	s_and_saveexec_b64 s[8:9], s[0:1]
	s_cbranch_execz .LBB116_115
; %bb.112:
	v_subrev_u32_e32 v112, 41, v0
	s_movk_i32 s52, 0x2f8
	s_mov_b64 s[0:1], 0
.LBB116_113:                            ; =>This Inner Loop Header: Depth=1
	scratch_load_dwordx2 v[114:115], off, s51
	v_mov_b32_e32 v113, s52
	ds_read_b64 v[116:117], v113
	v_add_u32_e32 v112, -1, v112
	s_add_i32 s52, s52, 8
	s_add_i32 s51, s51, 8
	v_cmp_eq_u32_e32 vcc, 0, v112
	s_or_b64 s[0:1], vcc, s[0:1]
	s_waitcnt vmcnt(0) lgkmcnt(0)
	v_fmac_f64_e32 v[110:111], v[114:115], v[116:117]
	s_andn2_b64 exec, exec, s[0:1]
	s_cbranch_execnz .LBB116_113
; %bb.114:
	s_or_b64 exec, exec, s[0:1]
.LBB116_115:
	s_or_b64 exec, exec, s[8:9]
	v_mov_b32_e32 v112, 0
	ds_read_b64 v[112:113], v112 offset:320
	s_waitcnt lgkmcnt(0)
	v_mul_f64 v[110:111], v[110:111], v[112:113]
	scratch_store_dwordx2 off, v[110:111], off offset:320
.LBB116_116:
	;; [unrolled: 53-line block ×26, first 2 shown]
	s_or_b64 exec, exec, s[4:5]
	scratch_load_dwordx2 v[110:111], off, off offset:120
	v_cmp_lt_u32_e64 s[0:1], 15, v0
	s_waitcnt vmcnt(0)
	ds_write_b64 v1, v[110:111]
	s_waitcnt lgkmcnt(0)
	; wave barrier
	s_and_saveexec_b64 s[4:5], s[0:1]
	s_cbranch_execz .LBB116_366
; %bb.357:
	s_andn2_b64 vcc, exec, s[6:7]
	s_cbranch_vccnz .LBB116_359
; %bb.358:
	scratch_load_dwordx2 v[110:111], v19, off
	ds_read_b64 v[112:113], v1
	s_waitcnt vmcnt(0) lgkmcnt(0)
	v_mul_f64 v[110:111], v[110:111], v[112:113]
	s_cbranch_execz .LBB116_360
	s_branch .LBB116_361
.LBB116_359:
                                        ; implicit-def: $vgpr110_vgpr111
.LBB116_360:
	ds_read_b64 v[110:111], v1
.LBB116_361:
	s_and_saveexec_b64 s[8:9], s[2:3]
	s_cbranch_execz .LBB116_365
; %bb.362:
	v_add_u32_e32 v112, -16, v0
	s_movk_i32 s26, 0x230
	s_mov_b64 s[2:3], 0
.LBB116_363:                            ; =>This Inner Loop Header: Depth=1
	scratch_load_dwordx2 v[114:115], off, s25
	v_mov_b32_e32 v113, s26
	ds_read_b64 v[116:117], v113
	v_add_u32_e32 v112, -1, v112
	s_add_i32 s26, s26, 8
	s_add_i32 s25, s25, 8
	v_cmp_eq_u32_e32 vcc, 0, v112
	s_or_b64 s[2:3], vcc, s[2:3]
	s_waitcnt vmcnt(0) lgkmcnt(0)
	v_fmac_f64_e32 v[110:111], v[114:115], v[116:117]
	s_andn2_b64 exec, exec, s[2:3]
	s_cbranch_execnz .LBB116_363
; %bb.364:
	s_or_b64 exec, exec, s[2:3]
.LBB116_365:
	s_or_b64 exec, exec, s[8:9]
	v_mov_b32_e32 v112, 0
	ds_read_b64 v[112:113], v112 offset:120
	s_waitcnt lgkmcnt(0)
	v_mul_f64 v[110:111], v[110:111], v[112:113]
	scratch_store_dwordx2 off, v[110:111], off offset:120
.LBB116_366:
	s_or_b64 exec, exec, s[4:5]
	scratch_load_dwordx2 v[110:111], off, off offset:112
	v_cmp_lt_u32_e64 s[2:3], 14, v0
	s_waitcnt vmcnt(0)
	ds_write_b64 v1, v[110:111]
	s_waitcnt lgkmcnt(0)
	; wave barrier
	s_and_saveexec_b64 s[4:5], s[2:3]
	s_cbranch_execz .LBB116_376
; %bb.367:
	s_andn2_b64 vcc, exec, s[6:7]
	s_cbranch_vccnz .LBB116_369
; %bb.368:
	scratch_load_dwordx2 v[110:111], v19, off
	ds_read_b64 v[112:113], v1
	s_waitcnt vmcnt(0) lgkmcnt(0)
	v_mul_f64 v[110:111], v[110:111], v[112:113]
	s_cbranch_execz .LBB116_370
	s_branch .LBB116_371
.LBB116_369:
                                        ; implicit-def: $vgpr110_vgpr111
.LBB116_370:
	ds_read_b64 v[110:111], v1
.LBB116_371:
	s_and_saveexec_b64 s[8:9], s[0:1]
	s_cbranch_execz .LBB116_375
; %bb.372:
	v_add_u32_e32 v112, -15, v0
	s_movk_i32 s25, 0x228
	s_mov_b64 s[0:1], 0
.LBB116_373:                            ; =>This Inner Loop Header: Depth=1
	scratch_load_dwordx2 v[114:115], off, s24
	v_mov_b32_e32 v113, s25
	ds_read_b64 v[116:117], v113
	v_add_u32_e32 v112, -1, v112
	s_add_i32 s25, s25, 8
	s_add_i32 s24, s24, 8
	v_cmp_eq_u32_e32 vcc, 0, v112
	s_or_b64 s[0:1], vcc, s[0:1]
	s_waitcnt vmcnt(0) lgkmcnt(0)
	v_fmac_f64_e32 v[110:111], v[114:115], v[116:117]
	s_andn2_b64 exec, exec, s[0:1]
	s_cbranch_execnz .LBB116_373
; %bb.374:
	s_or_b64 exec, exec, s[0:1]
.LBB116_375:
	s_or_b64 exec, exec, s[8:9]
	v_mov_b32_e32 v112, 0
	ds_read_b64 v[112:113], v112 offset:112
	s_waitcnt lgkmcnt(0)
	v_mul_f64 v[110:111], v[110:111], v[112:113]
	scratch_store_dwordx2 off, v[110:111], off offset:112
.LBB116_376:
	;; [unrolled: 53-line block ×15, first 2 shown]
	s_or_b64 exec, exec, s[4:5]
	scratch_load_dwordx2 v[110:111], off, off
	v_cmp_ne_u32_e32 vcc, 0, v0
	s_waitcnt vmcnt(0)
	ds_write_b64 v1, v[110:111]
	s_waitcnt lgkmcnt(0)
	; wave barrier
	s_and_saveexec_b64 s[2:3], vcc
	s_cbranch_execz .LBB116_516
; %bb.507:
	s_andn2_b64 vcc, exec, s[6:7]
	s_cbranch_vccnz .LBB116_509
; %bb.508:
	scratch_load_dwordx2 v[110:111], v19, off
	ds_read_b64 v[112:113], v1
	s_waitcnt vmcnt(0) lgkmcnt(0)
	v_mul_f64 v[110:111], v[110:111], v[112:113]
	s_cbranch_execz .LBB116_510
	s_branch .LBB116_511
.LBB116_509:
                                        ; implicit-def: $vgpr110_vgpr111
.LBB116_510:
	ds_read_b64 v[110:111], v1
.LBB116_511:
	s_and_saveexec_b64 s[4:5], s[0:1]
	s_cbranch_execz .LBB116_515
; %bb.512:
	v_add_u32_e32 v112, -1, v0
	s_movk_i32 s8, 0x1b8
	s_mov_b64 s[0:1], 0
.LBB116_513:                            ; =>This Inner Loop Header: Depth=1
	scratch_load_dwordx2 v[114:115], off, s10
	v_mov_b32_e32 v113, s8
	ds_read_b64 v[116:117], v113
	v_add_u32_e32 v112, -1, v112
	s_add_i32 s8, s8, 8
	s_add_i32 s10, s10, 8
	v_cmp_eq_u32_e32 vcc, 0, v112
	s_or_b64 s[0:1], vcc, s[0:1]
	s_waitcnt vmcnt(0) lgkmcnt(0)
	v_fmac_f64_e32 v[110:111], v[114:115], v[116:117]
	s_andn2_b64 exec, exec, s[0:1]
	s_cbranch_execnz .LBB116_513
; %bb.514:
	s_or_b64 exec, exec, s[0:1]
.LBB116_515:
	s_or_b64 exec, exec, s[4:5]
	v_mov_b32_e32 v112, 0
	ds_read_b64 v[112:113], v112
	s_waitcnt lgkmcnt(0)
	v_mul_f64 v[110:111], v[110:111], v[112:113]
	scratch_store_dwordx2 off, v[110:111], off
.LBB116_516:
	s_or_b64 exec, exec, s[2:3]
	s_mov_b64 s[0:1], 0
.LBB116_517:
	s_and_b64 vcc, exec, s[0:1]
	s_cbranch_vccz .LBB116_1029
; %bb.518:
	scratch_load_dwordx2 v[110:111], off, off offset:8
	v_cmp_eq_u32_e64 s[2:3], 0, v0
	s_waitcnt vmcnt(0)
	ds_write_b64 v1, v[110:111]
	s_waitcnt lgkmcnt(0)
	; wave barrier
	s_and_saveexec_b64 s[0:1], s[2:3]
	s_cbranch_execz .LBB116_524
; %bb.519:
	s_and_b64 vcc, exec, s[6:7]
	s_cbranch_vccz .LBB116_521
; %bb.520:
	scratch_load_dwordx2 v[110:111], v19, off
	ds_read_b64 v[112:113], v1
	s_waitcnt vmcnt(0) lgkmcnt(0)
	v_mul_f64 v[110:111], v[110:111], v[112:113]
	s_cbranch_execz .LBB116_522
	s_branch .LBB116_523
.LBB116_521:
                                        ; implicit-def: $vgpr110_vgpr111
.LBB116_522:
	ds_read_b64 v[110:111], v1
.LBB116_523:
	v_mov_b32_e32 v112, 0
	ds_read_b64 v[112:113], v112 offset:8
	s_waitcnt lgkmcnt(0)
	v_mul_f64 v[110:111], v[110:111], v[112:113]
	scratch_store_dwordx2 off, v[110:111], off offset:8
.LBB116_524:
	s_or_b64 exec, exec, s[0:1]
	scratch_load_dwordx2 v[110:111], off, off offset:16
	v_cndmask_b32_e64 v112, 0, 1, s[6:7]
	v_cmp_gt_u32_e32 vcc, 2, v0
	v_cmp_ne_u32_e64 s[0:1], 1, v112
	s_waitcnt vmcnt(0)
	ds_write_b64 v1, v[110:111]
	s_waitcnt lgkmcnt(0)
	; wave barrier
	s_and_saveexec_b64 s[4:5], vcc
	s_cbranch_execz .LBB116_530
; %bb.525:
	s_and_b64 vcc, exec, s[0:1]
	s_cbranch_vccnz .LBB116_527
; %bb.526:
	scratch_load_dwordx2 v[110:111], v19, off
	ds_read_b64 v[112:113], v1
	s_waitcnt vmcnt(0) lgkmcnt(0)
	v_mul_f64 v[110:111], v[110:111], v[112:113]
	s_cbranch_execz .LBB116_528
	s_branch .LBB116_529
.LBB116_527:
                                        ; implicit-def: $vgpr110_vgpr111
.LBB116_528:
	ds_read_b64 v[110:111], v1
.LBB116_529:
	scratch_load_dwordx2 v[116:117], off, off offset:8
	v_mov_b32_e32 v112, 0
	ds_read2_b64 v[112:115], v112 offset0:2 offset1:55
	s_waitcnt vmcnt(0) lgkmcnt(0)
	v_fma_f64 v[114:115], v[116:117], v[114:115], v[110:111]
	v_cndmask_b32_e64 v111, v111, v115, s[2:3]
	v_cndmask_b32_e64 v110, v110, v114, s[2:3]
	v_mul_f64 v[110:111], v[110:111], v[112:113]
	scratch_store_dwordx2 off, v[110:111], off offset:16
.LBB116_530:
	s_or_b64 exec, exec, s[4:5]
	scratch_load_dwordx2 v[110:111], off, off offset:24
	v_cmp_gt_u32_e32 vcc, 3, v0
	s_waitcnt vmcnt(0)
	ds_write_b64 v1, v[110:111]
	s_waitcnt lgkmcnt(0)
	; wave barrier
	s_and_saveexec_b64 s[4:5], vcc
	s_cbranch_execz .LBB116_538
; %bb.531:
	s_and_b64 vcc, exec, s[0:1]
	s_cbranch_vccnz .LBB116_533
; %bb.532:
	scratch_load_dwordx2 v[110:111], v19, off
	ds_read_b64 v[112:113], v1
	s_waitcnt vmcnt(0) lgkmcnt(0)
	v_mul_f64 v[110:111], v[110:111], v[112:113]
	s_cbranch_execz .LBB116_534
	s_branch .LBB116_535
.LBB116_533:
                                        ; implicit-def: $vgpr110_vgpr111
.LBB116_534:
	ds_read_b64 v[110:111], v1
.LBB116_535:
	v_cmp_ne_u32_e32 vcc, 2, v0
	s_and_saveexec_b64 s[6:7], vcc
	s_cbranch_execz .LBB116_537
; %bb.536:
	scratch_load_dwordx2 v[112:113], v19, off offset:8
	scratch_load_dwordx2 v[114:115], off, off offset:16
	ds_read_b64 v[116:117], v1 offset:8
	v_mov_b32_e32 v118, 0
	ds_read_b64 v[118:119], v118 offset:448
	s_waitcnt vmcnt(1) lgkmcnt(1)
	v_fmac_f64_e32 v[110:111], v[112:113], v[116:117]
	s_waitcnt vmcnt(0) lgkmcnt(0)
	v_fma_f64 v[112:113], v[114:115], v[118:119], v[110:111]
	v_cndmask_b32_e64 v111, v111, v113, s[2:3]
	v_cndmask_b32_e64 v110, v110, v112, s[2:3]
.LBB116_537:
	s_or_b64 exec, exec, s[6:7]
	v_mov_b32_e32 v112, 0
	ds_read_b64 v[112:113], v112 offset:24
	s_waitcnt lgkmcnt(0)
	v_mul_f64 v[110:111], v[110:111], v[112:113]
	scratch_store_dwordx2 off, v[110:111], off offset:24
.LBB116_538:
	s_or_b64 exec, exec, s[4:5]
	scratch_load_dwordx2 v[110:111], off, off offset:32
	v_cmp_gt_u32_e32 vcc, 4, v0
	s_waitcnt vmcnt(0)
	ds_write_b64 v1, v[110:111]
	s_waitcnt lgkmcnt(0)
	; wave barrier
	s_and_saveexec_b64 s[2:3], vcc
	s_cbranch_execz .LBB116_548
; %bb.539:
	s_and_b64 vcc, exec, s[0:1]
	s_cbranch_vccnz .LBB116_541
; %bb.540:
	scratch_load_dwordx2 v[110:111], v19, off
	ds_read_b64 v[112:113], v1
	s_waitcnt vmcnt(0) lgkmcnt(0)
	v_mul_f64 v[110:111], v[110:111], v[112:113]
	s_cbranch_execz .LBB116_542
	s_branch .LBB116_543
.LBB116_541:
                                        ; implicit-def: $vgpr110_vgpr111
.LBB116_542:
	ds_read_b64 v[110:111], v1
.LBB116_543:
	v_cmp_ne_u32_e32 vcc, 3, v0
	s_and_saveexec_b64 s[4:5], vcc
	s_cbranch_execz .LBB116_547
; %bb.544:
	s_mov_b32 s6, 0
	v_add_u32_e32 v112, 0x1b8, v18
	v_add3_u32 v113, v18, s6, 8
	s_mov_b64 s[6:7], 0
	v_mov_b32_e32 v114, v0
.LBB116_545:                            ; =>This Inner Loop Header: Depth=1
	scratch_load_dwordx2 v[116:117], v113, off
	ds_read_b64 v[118:119], v112
	v_add_u32_e32 v114, 1, v114
	v_cmp_lt_u32_e32 vcc, 2, v114
	v_add_u32_e32 v112, 8, v112
	v_add_u32_e32 v113, 8, v113
	s_or_b64 s[6:7], vcc, s[6:7]
	s_waitcnt vmcnt(0) lgkmcnt(0)
	v_fmac_f64_e32 v[110:111], v[116:117], v[118:119]
	s_andn2_b64 exec, exec, s[6:7]
	s_cbranch_execnz .LBB116_545
; %bb.546:
	s_or_b64 exec, exec, s[6:7]
.LBB116_547:
	s_or_b64 exec, exec, s[4:5]
	v_mov_b32_e32 v112, 0
	ds_read_b64 v[112:113], v112 offset:32
	s_waitcnt lgkmcnt(0)
	v_mul_f64 v[110:111], v[110:111], v[112:113]
	scratch_store_dwordx2 off, v[110:111], off offset:32
.LBB116_548:
	s_or_b64 exec, exec, s[2:3]
	scratch_load_dwordx2 v[110:111], off, off offset:40
	v_cmp_gt_u32_e32 vcc, 5, v0
	s_waitcnt vmcnt(0)
	ds_write_b64 v1, v[110:111]
	s_waitcnt lgkmcnt(0)
	; wave barrier
	s_and_saveexec_b64 s[2:3], vcc
	s_cbranch_execz .LBB116_558
; %bb.549:
	s_and_b64 vcc, exec, s[0:1]
	s_cbranch_vccnz .LBB116_551
; %bb.550:
	scratch_load_dwordx2 v[110:111], v19, off
	ds_read_b64 v[112:113], v1
	s_waitcnt vmcnt(0) lgkmcnt(0)
	v_mul_f64 v[110:111], v[110:111], v[112:113]
	s_cbranch_execz .LBB116_552
	s_branch .LBB116_553
.LBB116_551:
                                        ; implicit-def: $vgpr110_vgpr111
.LBB116_552:
	ds_read_b64 v[110:111], v1
.LBB116_553:
	v_cmp_ne_u32_e32 vcc, 4, v0
	s_and_saveexec_b64 s[4:5], vcc
	s_cbranch_execz .LBB116_557
; %bb.554:
	s_mov_b32 s6, 0
	v_add_u32_e32 v112, 0x1b8, v18
	v_add3_u32 v113, v18, s6, 8
	s_mov_b64 s[6:7], 0
	v_mov_b32_e32 v114, v0
.LBB116_555:                            ; =>This Inner Loop Header: Depth=1
	scratch_load_dwordx2 v[116:117], v113, off
	ds_read_b64 v[118:119], v112
	v_add_u32_e32 v114, 1, v114
	v_cmp_lt_u32_e32 vcc, 3, v114
	v_add_u32_e32 v112, 8, v112
	v_add_u32_e32 v113, 8, v113
	s_or_b64 s[6:7], vcc, s[6:7]
	s_waitcnt vmcnt(0) lgkmcnt(0)
	v_fmac_f64_e32 v[110:111], v[116:117], v[118:119]
	s_andn2_b64 exec, exec, s[6:7]
	s_cbranch_execnz .LBB116_555
; %bb.556:
	s_or_b64 exec, exec, s[6:7]
.LBB116_557:
	s_or_b64 exec, exec, s[4:5]
	v_mov_b32_e32 v112, 0
	ds_read_b64 v[112:113], v112 offset:40
	s_waitcnt lgkmcnt(0)
	v_mul_f64 v[110:111], v[110:111], v[112:113]
	scratch_store_dwordx2 off, v[110:111], off offset:40
.LBB116_558:
	;; [unrolled: 55-line block ×46, first 2 shown]
	s_or_b64 exec, exec, s[2:3]
	scratch_load_dwordx2 v[110:111], off, off offset:400
	v_cmp_gt_u32_e32 vcc, 50, v0
	s_waitcnt vmcnt(0)
	ds_write_b64 v1, v[110:111]
	s_waitcnt lgkmcnt(0)
	; wave barrier
	s_and_saveexec_b64 s[2:3], vcc
	s_cbranch_execz .LBB116_1008
; %bb.999:
	s_and_b64 vcc, exec, s[0:1]
	s_cbranch_vccnz .LBB116_1001
; %bb.1000:
	scratch_load_dwordx2 v[110:111], v19, off
	ds_read_b64 v[112:113], v1
	s_waitcnt vmcnt(0) lgkmcnt(0)
	v_mul_f64 v[110:111], v[110:111], v[112:113]
	s_cbranch_execz .LBB116_1002
	s_branch .LBB116_1003
.LBB116_1001:
                                        ; implicit-def: $vgpr110_vgpr111
.LBB116_1002:
	ds_read_b64 v[110:111], v1
.LBB116_1003:
	v_cmp_ne_u32_e32 vcc, 49, v0
	s_and_saveexec_b64 s[4:5], vcc
	s_cbranch_execz .LBB116_1007
; %bb.1004:
	s_mov_b32 s6, 0
	v_add_u32_e32 v112, 0x1b8, v18
	v_add3_u32 v113, v18, s6, 8
	s_mov_b64 s[6:7], 0
	v_mov_b32_e32 v114, v0
.LBB116_1005:                           ; =>This Inner Loop Header: Depth=1
	scratch_load_dwordx2 v[116:117], v113, off
	ds_read_b64 v[118:119], v112
	v_add_u32_e32 v114, 1, v114
	v_cmp_lt_u32_e32 vcc, 48, v114
	v_add_u32_e32 v112, 8, v112
	v_add_u32_e32 v113, 8, v113
	s_or_b64 s[6:7], vcc, s[6:7]
	s_waitcnt vmcnt(0) lgkmcnt(0)
	v_fmac_f64_e32 v[110:111], v[116:117], v[118:119]
	s_andn2_b64 exec, exec, s[6:7]
	s_cbranch_execnz .LBB116_1005
; %bb.1006:
	s_or_b64 exec, exec, s[6:7]
.LBB116_1007:
	s_or_b64 exec, exec, s[4:5]
	v_mov_b32_e32 v112, 0
	ds_read_b64 v[112:113], v112 offset:400
	s_waitcnt lgkmcnt(0)
	v_mul_f64 v[110:111], v[110:111], v[112:113]
	scratch_store_dwordx2 off, v[110:111], off offset:400
.LBB116_1008:
	s_or_b64 exec, exec, s[2:3]
	scratch_load_dwordx2 v[110:111], off, off offset:408
	v_cmp_gt_u32_e64 s[2:3], 51, v0
	s_waitcnt vmcnt(0)
	ds_write_b64 v1, v[110:111]
	s_waitcnt lgkmcnt(0)
	; wave barrier
	s_and_saveexec_b64 s[4:5], s[2:3]
	s_cbranch_execz .LBB116_1018
; %bb.1009:
	s_and_b64 vcc, exec, s[0:1]
	s_cbranch_vccnz .LBB116_1011
; %bb.1010:
	scratch_load_dwordx2 v[110:111], v19, off
	ds_read_b64 v[112:113], v1
	s_waitcnt vmcnt(0) lgkmcnt(0)
	v_mul_f64 v[110:111], v[110:111], v[112:113]
	s_cbranch_execz .LBB116_1012
	s_branch .LBB116_1013
.LBB116_1011:
                                        ; implicit-def: $vgpr110_vgpr111
.LBB116_1012:
	ds_read_b64 v[110:111], v1
.LBB116_1013:
	v_cmp_ne_u32_e32 vcc, 50, v0
	s_and_saveexec_b64 s[6:7], vcc
	s_cbranch_execz .LBB116_1017
; %bb.1014:
	s_mov_b32 s8, 0
	v_add_u32_e32 v112, 0x1b8, v18
	v_add3_u32 v113, v18, s8, 8
	s_mov_b64 s[8:9], 0
	v_mov_b32_e32 v114, v0
.LBB116_1015:                           ; =>This Inner Loop Header: Depth=1
	scratch_load_dwordx2 v[116:117], v113, off
	ds_read_b64 v[118:119], v112
	v_add_u32_e32 v114, 1, v114
	v_cmp_lt_u32_e32 vcc, 49, v114
	v_add_u32_e32 v112, 8, v112
	v_add_u32_e32 v113, 8, v113
	s_or_b64 s[8:9], vcc, s[8:9]
	s_waitcnt vmcnt(0) lgkmcnt(0)
	v_fmac_f64_e32 v[110:111], v[116:117], v[118:119]
	s_andn2_b64 exec, exec, s[8:9]
	s_cbranch_execnz .LBB116_1015
; %bb.1016:
	s_or_b64 exec, exec, s[8:9]
.LBB116_1017:
	s_or_b64 exec, exec, s[6:7]
	v_mov_b32_e32 v112, 0
	ds_read_b64 v[112:113], v112 offset:408
	s_waitcnt lgkmcnt(0)
	v_mul_f64 v[110:111], v[110:111], v[112:113]
	scratch_store_dwordx2 off, v[110:111], off offset:408
.LBB116_1018:
	s_or_b64 exec, exec, s[4:5]
	scratch_load_dwordx2 v[110:111], off, off offset:416
	v_cmp_ne_u32_e32 vcc, 52, v0
	s_waitcnt vmcnt(0)
	ds_write_b64 v1, v[110:111]
	s_waitcnt lgkmcnt(0)
	; wave barrier
	s_and_saveexec_b64 s[4:5], vcc
	s_cbranch_execz .LBB116_1028
; %bb.1019:
	s_and_b64 vcc, exec, s[0:1]
	s_cbranch_vccnz .LBB116_1021
; %bb.1020:
	scratch_load_dwordx2 v[110:111], v19, off
	ds_read_b64 v[112:113], v1
	s_waitcnt vmcnt(0) lgkmcnt(0)
	v_mul_f64 v[110:111], v[110:111], v[112:113]
	s_cbranch_execz .LBB116_1022
	s_branch .LBB116_1023
.LBB116_1021:
                                        ; implicit-def: $vgpr110_vgpr111
.LBB116_1022:
	ds_read_b64 v[110:111], v1
.LBB116_1023:
	s_and_saveexec_b64 s[0:1], s[2:3]
	s_cbranch_execz .LBB116_1027
; %bb.1024:
	s_mov_b32 s2, 0
	v_add_u32_e32 v1, 0x1b8, v18
	v_add3_u32 v18, v18, s2, 8
	s_mov_b64 s[2:3], 0
.LBB116_1025:                           ; =>This Inner Loop Header: Depth=1
	scratch_load_dwordx2 v[112:113], v18, off
	ds_read_b64 v[114:115], v1
	v_add_u32_e32 v0, 1, v0
	v_cmp_lt_u32_e32 vcc, 50, v0
	v_add_u32_e32 v1, 8, v1
	v_add_u32_e32 v18, 8, v18
	s_or_b64 s[2:3], vcc, s[2:3]
	s_waitcnt vmcnt(0) lgkmcnt(0)
	v_fmac_f64_e32 v[110:111], v[112:113], v[114:115]
	s_andn2_b64 exec, exec, s[2:3]
	s_cbranch_execnz .LBB116_1025
; %bb.1026:
	s_or_b64 exec, exec, s[2:3]
.LBB116_1027:
	s_or_b64 exec, exec, s[0:1]
	v_mov_b32_e32 v0, 0
	ds_read_b64 v[0:1], v0 offset:416
	s_waitcnt lgkmcnt(0)
	v_mul_f64 v[0:1], v[110:111], v[0:1]
	scratch_store_dwordx2 off, v[0:1], off offset:416
.LBB116_1028:
	s_or_b64 exec, exec, s[4:5]
.LBB116_1029:
	scratch_load_dwordx2 v[0:1], off, off
	s_waitcnt vmcnt(0)
	flat_store_dwordx2 v[2:3], v[0:1]
	scratch_load_dwordx2 v[0:1], off, off offset:8
	s_waitcnt vmcnt(0)
	flat_store_dwordx2 v[4:5], v[0:1]
	scratch_load_dwordx2 v[0:1], off, off offset:16
	;; [unrolled: 3-line block ×52, first 2 shown]
	s_waitcnt vmcnt(0)
	flat_store_dwordx2 v[108:109], v[0:1]
.LBB116_1030:
	s_endpgm
	.section	.rodata,"a",@progbits
	.p2align	6, 0x0
	.amdhsa_kernel _ZN9rocsolver6v33100L18trti2_kernel_smallILi53EdPKPdEEv13rocblas_fill_17rocblas_diagonal_T1_iil
		.amdhsa_group_segment_fixed_size 856
		.amdhsa_private_segment_fixed_size 432
		.amdhsa_kernarg_size 32
		.amdhsa_user_sgpr_count 2
		.amdhsa_user_sgpr_dispatch_ptr 0
		.amdhsa_user_sgpr_queue_ptr 0
		.amdhsa_user_sgpr_kernarg_segment_ptr 1
		.amdhsa_user_sgpr_dispatch_id 0
		.amdhsa_user_sgpr_kernarg_preload_length 0
		.amdhsa_user_sgpr_kernarg_preload_offset 0
		.amdhsa_user_sgpr_private_segment_size 0
		.amdhsa_uses_dynamic_stack 0
		.amdhsa_enable_private_segment 1
		.amdhsa_system_sgpr_workgroup_id_x 1
		.amdhsa_system_sgpr_workgroup_id_y 0
		.amdhsa_system_sgpr_workgroup_id_z 0
		.amdhsa_system_sgpr_workgroup_info 0
		.amdhsa_system_vgpr_workitem_id 0
		.amdhsa_next_free_vgpr 120
		.amdhsa_next_free_sgpr 62
		.amdhsa_accum_offset 120
		.amdhsa_reserve_vcc 1
		.amdhsa_float_round_mode_32 0
		.amdhsa_float_round_mode_16_64 0
		.amdhsa_float_denorm_mode_32 3
		.amdhsa_float_denorm_mode_16_64 3
		.amdhsa_dx10_clamp 1
		.amdhsa_ieee_mode 1
		.amdhsa_fp16_overflow 0
		.amdhsa_tg_split 0
		.amdhsa_exception_fp_ieee_invalid_op 0
		.amdhsa_exception_fp_denorm_src 0
		.amdhsa_exception_fp_ieee_div_zero 0
		.amdhsa_exception_fp_ieee_overflow 0
		.amdhsa_exception_fp_ieee_underflow 0
		.amdhsa_exception_fp_ieee_inexact 0
		.amdhsa_exception_int_div_zero 0
	.end_amdhsa_kernel
	.section	.text._ZN9rocsolver6v33100L18trti2_kernel_smallILi53EdPKPdEEv13rocblas_fill_17rocblas_diagonal_T1_iil,"axG",@progbits,_ZN9rocsolver6v33100L18trti2_kernel_smallILi53EdPKPdEEv13rocblas_fill_17rocblas_diagonal_T1_iil,comdat
.Lfunc_end116:
	.size	_ZN9rocsolver6v33100L18trti2_kernel_smallILi53EdPKPdEEv13rocblas_fill_17rocblas_diagonal_T1_iil, .Lfunc_end116-_ZN9rocsolver6v33100L18trti2_kernel_smallILi53EdPKPdEEv13rocblas_fill_17rocblas_diagonal_T1_iil
                                        ; -- End function
	.set _ZN9rocsolver6v33100L18trti2_kernel_smallILi53EdPKPdEEv13rocblas_fill_17rocblas_diagonal_T1_iil.num_vgpr, 120
	.set _ZN9rocsolver6v33100L18trti2_kernel_smallILi53EdPKPdEEv13rocblas_fill_17rocblas_diagonal_T1_iil.num_agpr, 0
	.set _ZN9rocsolver6v33100L18trti2_kernel_smallILi53EdPKPdEEv13rocblas_fill_17rocblas_diagonal_T1_iil.numbered_sgpr, 62
	.set _ZN9rocsolver6v33100L18trti2_kernel_smallILi53EdPKPdEEv13rocblas_fill_17rocblas_diagonal_T1_iil.num_named_barrier, 0
	.set _ZN9rocsolver6v33100L18trti2_kernel_smallILi53EdPKPdEEv13rocblas_fill_17rocblas_diagonal_T1_iil.private_seg_size, 432
	.set _ZN9rocsolver6v33100L18trti2_kernel_smallILi53EdPKPdEEv13rocblas_fill_17rocblas_diagonal_T1_iil.uses_vcc, 1
	.set _ZN9rocsolver6v33100L18trti2_kernel_smallILi53EdPKPdEEv13rocblas_fill_17rocblas_diagonal_T1_iil.uses_flat_scratch, 0
	.set _ZN9rocsolver6v33100L18trti2_kernel_smallILi53EdPKPdEEv13rocblas_fill_17rocblas_diagonal_T1_iil.has_dyn_sized_stack, 0
	.set _ZN9rocsolver6v33100L18trti2_kernel_smallILi53EdPKPdEEv13rocblas_fill_17rocblas_diagonal_T1_iil.has_recursion, 0
	.set _ZN9rocsolver6v33100L18trti2_kernel_smallILi53EdPKPdEEv13rocblas_fill_17rocblas_diagonal_T1_iil.has_indirect_call, 0
	.section	.AMDGPU.csdata,"",@progbits
; Kernel info:
; codeLenInByte = 25800
; TotalNumSgprs: 68
; NumVgprs: 120
; NumAgprs: 0
; TotalNumVgprs: 120
; ScratchSize: 432
; MemoryBound: 0
; FloatMode: 240
; IeeeMode: 1
; LDSByteSize: 856 bytes/workgroup (compile time only)
; SGPRBlocks: 8
; VGPRBlocks: 14
; NumSGPRsForWavesPerEU: 68
; NumVGPRsForWavesPerEU: 120
; AccumOffset: 120
; Occupancy: 4
; WaveLimiterHint : 1
; COMPUTE_PGM_RSRC2:SCRATCH_EN: 1
; COMPUTE_PGM_RSRC2:USER_SGPR: 2
; COMPUTE_PGM_RSRC2:TRAP_HANDLER: 0
; COMPUTE_PGM_RSRC2:TGID_X_EN: 1
; COMPUTE_PGM_RSRC2:TGID_Y_EN: 0
; COMPUTE_PGM_RSRC2:TGID_Z_EN: 0
; COMPUTE_PGM_RSRC2:TIDIG_COMP_CNT: 0
; COMPUTE_PGM_RSRC3_GFX90A:ACCUM_OFFSET: 29
; COMPUTE_PGM_RSRC3_GFX90A:TG_SPLIT: 0
	.section	.text._ZN9rocsolver6v33100L18trti2_kernel_smallILi54EdPKPdEEv13rocblas_fill_17rocblas_diagonal_T1_iil,"axG",@progbits,_ZN9rocsolver6v33100L18trti2_kernel_smallILi54EdPKPdEEv13rocblas_fill_17rocblas_diagonal_T1_iil,comdat
	.globl	_ZN9rocsolver6v33100L18trti2_kernel_smallILi54EdPKPdEEv13rocblas_fill_17rocblas_diagonal_T1_iil ; -- Begin function _ZN9rocsolver6v33100L18trti2_kernel_smallILi54EdPKPdEEv13rocblas_fill_17rocblas_diagonal_T1_iil
	.p2align	8
	.type	_ZN9rocsolver6v33100L18trti2_kernel_smallILi54EdPKPdEEv13rocblas_fill_17rocblas_diagonal_T1_iil,@function
_ZN9rocsolver6v33100L18trti2_kernel_smallILi54EdPKPdEEv13rocblas_fill_17rocblas_diagonal_T1_iil: ; @_ZN9rocsolver6v33100L18trti2_kernel_smallILi54EdPKPdEEv13rocblas_fill_17rocblas_diagonal_T1_iil
; %bb.0:
	v_cmp_gt_u32_e32 vcc, 54, v0
	s_and_saveexec_b64 s[4:5], vcc
	s_cbranch_execz .LBB117_1050
; %bb.1:
	s_load_dwordx2 s[8:9], s[0:1], 0x10
	s_load_dwordx4 s[4:7], s[0:1], 0x0
	s_ashr_i32 s3, s2, 31
	s_lshl_b64 s[0:1], s[2:3], 3
	v_lshlrev_b32_e32 v18, 3, v0
	s_waitcnt lgkmcnt(0)
	s_ashr_i32 s3, s8, 31
	s_add_u32 s0, s6, s0
	s_addc_u32 s1, s7, s1
	s_load_dwordx2 s[0:1], s[0:1], 0x0
	s_mov_b32 s2, s8
	s_lshl_b64 s[2:3], s[2:3], 3
	v_mov_b32_e32 v19, 0
	s_waitcnt lgkmcnt(0)
	s_add_u32 s0, s0, s2
	s_addc_u32 s1, s1, s3
	v_lshl_add_u64 v[2:3], s[0:1], 0, v[18:19]
	flat_load_dwordx2 v[6:7], v[2:3]
	s_mov_b32 s2, s9
	s_ashr_i32 s3, s9, 31
	v_lshl_add_u64 v[4:5], s[2:3], 3, v[2:3]
	s_add_i32 s2, s9, s9
	v_add_u32_e32 v10, s2, v0
	v_ashrrev_i32_e32 v11, 31, v10
	s_cmpk_lg_i32 s5, 0x84
	s_cselect_b64 s[6:7], -1, 0
	s_cmpk_eq_i32 s5, 0x84
	s_waitcnt vmcnt(0) lgkmcnt(0)
	scratch_store_dwordx2 off, v[6:7], off
	flat_load_dwordx2 v[8:9], v[4:5]
	v_lshl_add_u64 v[6:7], v[10:11], 3, s[0:1]
	v_add_u32_e32 v10, s9, v10
	v_ashrrev_i32_e32 v11, 31, v10
	v_add_u32_e32 v14, s9, v10
	v_ashrrev_i32_e32 v15, 31, v14
	s_waitcnt vmcnt(0) lgkmcnt(0)
	scratch_store_dwordx2 off, v[8:9], off offset:8
	flat_load_dwordx2 v[12:13], v[6:7]
	v_lshl_add_u64 v[8:9], v[10:11], 3, s[0:1]
	v_lshl_add_u64 v[10:11], v[14:15], 3, s[0:1]
	v_add_u32_e32 v14, s9, v14
	v_ashrrev_i32_e32 v15, 31, v14
	v_add_u32_e32 v20, s9, v14
	v_ashrrev_i32_e32 v21, 31, v20
	s_waitcnt vmcnt(0) lgkmcnt(0)
	scratch_store_dwordx2 off, v[12:13], off offset:16
	flat_load_dwordx2 v[12:13], v[8:9]
	s_waitcnt vmcnt(0) lgkmcnt(0)
	scratch_store_dwordx2 off, v[12:13], off offset:24
	flat_load_dwordx2 v[16:17], v[10:11]
	v_lshl_add_u64 v[12:13], v[14:15], 3, s[0:1]
	v_lshl_add_u64 v[14:15], v[20:21], 3, s[0:1]
	v_add_u32_e32 v20, s9, v20
	v_ashrrev_i32_e32 v21, 31, v20
	v_add_u32_e32 v24, s9, v20
	v_ashrrev_i32_e32 v25, 31, v24
	s_waitcnt vmcnt(0) lgkmcnt(0)
	scratch_store_dwordx2 off, v[16:17], off offset:32
	flat_load_dwordx2 v[16:17], v[12:13]
	;; [unrolled: 12-line block ×24, first 2 shown]
	s_waitcnt vmcnt(0) lgkmcnt(0)
	scratch_store_dwordx2 off, v[106:107], off offset:392
	flat_load_dwordx2 v[110:111], v[104:105]
	v_lshl_add_u64 v[106:107], v[108:109], 3, s[0:1]
	v_lshl_add_u64 v[108:109], v[112:113], 3, s[0:1]
	s_waitcnt vmcnt(0) lgkmcnt(0)
	scratch_store_dwordx2 off, v[110:111], off offset:400
	flat_load_dwordx2 v[110:111], v[106:107]
	s_waitcnt vmcnt(0) lgkmcnt(0)
	scratch_store_dwordx2 off, v[110:111], off offset:408
	flat_load_dwordx2 v[114:115], v[108:109]
	v_add_u32_e32 v110, s9, v112
	v_ashrrev_i32_e32 v111, 31, v110
	v_lshl_add_u64 v[110:111], v[110:111], 3, s[0:1]
	s_waitcnt vmcnt(0) lgkmcnt(0)
	scratch_store_dwordx2 off, v[114:115], off offset:416
	flat_load_dwordx2 v[112:113], v[110:111]
	s_waitcnt vmcnt(0) lgkmcnt(0)
	scratch_store_dwordx2 off, v[112:113], off offset:424
	v_mov_b64_e32 v[112:113], -1.0
	s_cbranch_scc1 .LBB117_3
; %bb.2:
	scratch_load_dwordx2 v[112:113], v18, off
	s_waitcnt vmcnt(0)
	v_div_scale_f64 v[114:115], s[0:1], v[112:113], v[112:113], 1.0
	v_rcp_f64_e32 v[116:117], v[114:115]
	v_div_scale_f64 v[118:119], vcc, 1.0, v[112:113], 1.0
	v_fma_f64 v[120:121], -v[114:115], v[116:117], 1.0
	v_fmac_f64_e32 v[116:117], v[116:117], v[120:121]
	v_fma_f64 v[120:121], -v[114:115], v[116:117], 1.0
	v_fmac_f64_e32 v[116:117], v[116:117], v[120:121]
	v_mul_f64 v[120:121], v[118:119], v[116:117]
	v_fma_f64 v[114:115], -v[114:115], v[120:121], v[118:119]
	v_div_fmas_f64 v[114:115], v[114:115], v[116:117], v[120:121]
	v_div_fixup_f64 v[112:113], v[114:115], v[112:113], 1.0
	scratch_store_dwordx2 v18, v[112:113], off
	v_xor_b32_e32 v113, 0x80000000, v113
.LBB117_3:
	s_cmpk_eq_i32 s4, 0x79
	v_add_u32_e32 v1, 0x1b0, v18
	v_mov_b32_e32 v19, v18
	s_mov_b64 s[0:1], -1
	ds_write_b64 v18, v[112:113]
	s_cbranch_scc1 .LBB117_527
; %bb.4:
	scratch_load_dwordx2 v[112:113], off, off offset:416
	s_movk_i32 s8, 0x48
	s_movk_i32 s9, 0x50
	;; [unrolled: 1-line block ×43, first 2 shown]
	v_cmp_eq_u32_e64 s[0:1], 53, v0
	s_waitcnt vmcnt(0)
	ds_write_b64 v1, v[112:113]
	s_waitcnt lgkmcnt(0)
	; wave barrier
	s_and_saveexec_b64 s[2:3], s[0:1]
	s_cbranch_execz .LBB117_10
; %bb.5:
	s_and_b64 vcc, exec, s[6:7]
	s_cbranch_vccz .LBB117_7
; %bb.6:
	scratch_load_dwordx2 v[112:113], v19, off
	ds_read_b64 v[114:115], v1
	s_waitcnt vmcnt(0) lgkmcnt(0)
	v_mul_f64 v[112:113], v[112:113], v[114:115]
	s_cbranch_execz .LBB117_8
	s_branch .LBB117_9
.LBB117_7:
                                        ; implicit-def: $vgpr112_vgpr113
.LBB117_8:
	ds_read_b64 v[112:113], v1
.LBB117_9:
	v_mov_b32_e32 v114, 0
	ds_read_b64 v[114:115], v114 offset:416
	s_waitcnt lgkmcnt(0)
	v_mul_f64 v[112:113], v[112:113], v[114:115]
	scratch_store_dwordx2 off, v[112:113], off offset:416
.LBB117_10:
	s_or_b64 exec, exec, s[2:3]
	scratch_load_dwordx2 v[112:113], off, off offset:408
	s_or_b32 s10, 0, 8
	s_mov_b32 s11, 16
	s_mov_b32 s12, 24
	;; [unrolled: 1-line block ×9, first 2 shown]
	v_cmp_lt_u32_e64 s[2:3], 51, v0
	s_waitcnt vmcnt(0)
	ds_write_b64 v1, v[112:113]
	s_waitcnt lgkmcnt(0)
	; wave barrier
	s_and_saveexec_b64 s[4:5], s[2:3]
	s_cbranch_execz .LBB117_16
; %bb.11:
	s_andn2_b64 vcc, exec, s[6:7]
	s_cbranch_vccnz .LBB117_13
; %bb.12:
	scratch_load_dwordx2 v[112:113], v19, off
	ds_read_b64 v[114:115], v1
	s_waitcnt vmcnt(0) lgkmcnt(0)
	v_mul_f64 v[112:113], v[112:113], v[114:115]
	s_cbranch_execz .LBB117_14
	s_branch .LBB117_15
.LBB117_13:
                                        ; implicit-def: $vgpr112_vgpr113
.LBB117_14:
	ds_read_b64 v[112:113], v1
.LBB117_15:
	scratch_load_dwordx2 v[118:119], off, off offset:416
	v_mov_b32_e32 v114, 0
	ds_read2_b64 v[114:117], v114 offset0:51 offset1:106
	s_waitcnt vmcnt(0) lgkmcnt(0)
	v_fma_f64 v[116:117], v[118:119], v[116:117], v[112:113]
	v_cndmask_b32_e64 v113, v113, v117, s[0:1]
	v_cndmask_b32_e64 v112, v112, v116, s[0:1]
	v_mul_f64 v[112:113], v[112:113], v[114:115]
	scratch_store_dwordx2 off, v[112:113], off offset:408
.LBB117_16:
	s_or_b64 exec, exec, s[4:5]
	scratch_load_dwordx2 v[112:113], off, off offset:400
	v_cmp_lt_u32_e64 s[0:1], 50, v0
	s_waitcnt vmcnt(0)
	ds_write_b64 v1, v[112:113]
	s_waitcnt lgkmcnt(0)
	; wave barrier
	s_and_saveexec_b64 s[4:5], s[0:1]
	s_cbranch_execz .LBB117_26
; %bb.17:
	s_andn2_b64 vcc, exec, s[6:7]
	s_cbranch_vccnz .LBB117_19
; %bb.18:
	scratch_load_dwordx2 v[112:113], v19, off
	ds_read_b64 v[114:115], v1
	s_waitcnt vmcnt(0) lgkmcnt(0)
	v_mul_f64 v[112:113], v[112:113], v[114:115]
	s_cbranch_execz .LBB117_20
	s_branch .LBB117_21
.LBB117_19:
                                        ; implicit-def: $vgpr112_vgpr113
.LBB117_20:
	ds_read_b64 v[112:113], v1
.LBB117_21:
	s_and_saveexec_b64 s[8:9], s[2:3]
	s_cbranch_execz .LBB117_25
; %bb.22:
	v_subrev_u32_e32 v114, 51, v0
	s_movk_i32 s62, 0x348
	s_mov_b64 s[2:3], 0
.LBB117_23:                             ; =>This Inner Loop Header: Depth=1
	scratch_load_dwordx2 v[116:117], off, s61
	v_mov_b32_e32 v115, s62
	ds_read_b64 v[118:119], v115
	v_add_u32_e32 v114, -1, v114
	s_add_i32 s62, s62, 8
	s_add_i32 s61, s61, 8
	v_cmp_eq_u32_e32 vcc, 0, v114
	s_or_b64 s[2:3], vcc, s[2:3]
	s_waitcnt vmcnt(0) lgkmcnt(0)
	v_fmac_f64_e32 v[112:113], v[116:117], v[118:119]
	s_andn2_b64 exec, exec, s[2:3]
	s_cbranch_execnz .LBB117_23
; %bb.24:
	s_or_b64 exec, exec, s[2:3]
.LBB117_25:
	s_or_b64 exec, exec, s[8:9]
	v_mov_b32_e32 v114, 0
	ds_read_b64 v[114:115], v114 offset:400
	s_waitcnt lgkmcnt(0)
	v_mul_f64 v[112:113], v[112:113], v[114:115]
	scratch_store_dwordx2 off, v[112:113], off offset:400
.LBB117_26:
	s_or_b64 exec, exec, s[4:5]
	scratch_load_dwordx2 v[112:113], off, off offset:392
	v_cmp_lt_u32_e64 s[2:3], 49, v0
	s_waitcnt vmcnt(0)
	ds_write_b64 v1, v[112:113]
	s_waitcnt lgkmcnt(0)
	; wave barrier
	s_and_saveexec_b64 s[4:5], s[2:3]
	s_cbranch_execz .LBB117_36
; %bb.27:
	s_andn2_b64 vcc, exec, s[6:7]
	s_cbranch_vccnz .LBB117_29
; %bb.28:
	scratch_load_dwordx2 v[112:113], v19, off
	ds_read_b64 v[114:115], v1
	s_waitcnt vmcnt(0) lgkmcnt(0)
	v_mul_f64 v[112:113], v[112:113], v[114:115]
	s_cbranch_execz .LBB117_30
	s_branch .LBB117_31
.LBB117_29:
                                        ; implicit-def: $vgpr112_vgpr113
.LBB117_30:
	ds_read_b64 v[112:113], v1
.LBB117_31:
	s_and_saveexec_b64 s[8:9], s[0:1]
	s_cbranch_execz .LBB117_35
; %bb.32:
	v_subrev_u32_e32 v114, 50, v0
	s_movk_i32 s61, 0x340
	s_mov_b64 s[0:1], 0
.LBB117_33:                             ; =>This Inner Loop Header: Depth=1
	scratch_load_dwordx2 v[116:117], off, s60
	v_mov_b32_e32 v115, s61
	ds_read_b64 v[118:119], v115
	v_add_u32_e32 v114, -1, v114
	s_add_i32 s61, s61, 8
	s_add_i32 s60, s60, 8
	v_cmp_eq_u32_e32 vcc, 0, v114
	s_or_b64 s[0:1], vcc, s[0:1]
	s_waitcnt vmcnt(0) lgkmcnt(0)
	v_fmac_f64_e32 v[112:113], v[116:117], v[118:119]
	s_andn2_b64 exec, exec, s[0:1]
	s_cbranch_execnz .LBB117_33
; %bb.34:
	s_or_b64 exec, exec, s[0:1]
.LBB117_35:
	s_or_b64 exec, exec, s[8:9]
	v_mov_b32_e32 v114, 0
	ds_read_b64 v[114:115], v114 offset:392
	s_waitcnt lgkmcnt(0)
	v_mul_f64 v[112:113], v[112:113], v[114:115]
	scratch_store_dwordx2 off, v[112:113], off offset:392
.LBB117_36:
	;; [unrolled: 53-line block ×8, first 2 shown]
	s_or_b64 exec, exec, s[4:5]
	scratch_load_dwordx2 v[112:113], off, off offset:336
	v_cmp_lt_u32_e64 s[0:1], 42, v0
	s_waitcnt vmcnt(0)
	ds_write_b64 v1, v[112:113]
	s_waitcnt lgkmcnt(0)
	; wave barrier
	s_and_saveexec_b64 s[4:5], s[0:1]
	s_cbranch_execz .LBB117_106
; %bb.97:
	s_andn2_b64 vcc, exec, s[6:7]
	s_cbranch_vccnz .LBB117_99
; %bb.98:
	scratch_load_dwordx2 v[112:113], v19, off
	ds_read_b64 v[114:115], v1
	s_waitcnt vmcnt(0) lgkmcnt(0)
	v_mul_f64 v[112:113], v[112:113], v[114:115]
	s_cbranch_execz .LBB117_100
	s_branch .LBB117_101
.LBB117_99:
                                        ; implicit-def: $vgpr112_vgpr113
.LBB117_100:
	ds_read_b64 v[112:113], v1
.LBB117_101:
	s_and_saveexec_b64 s[8:9], s[2:3]
	s_cbranch_execz .LBB117_105
; %bb.102:
	v_subrev_u32_e32 v114, 43, v0
	s_movk_i32 s54, 0x308
	s_mov_b64 s[2:3], 0
.LBB117_103:                            ; =>This Inner Loop Header: Depth=1
	scratch_load_dwordx2 v[116:117], off, s53
	v_mov_b32_e32 v115, s54
	ds_read_b64 v[118:119], v115
	v_add_u32_e32 v114, -1, v114
	s_add_i32 s54, s54, 8
	s_add_i32 s53, s53, 8
	v_cmp_eq_u32_e32 vcc, 0, v114
	s_or_b64 s[2:3], vcc, s[2:3]
	s_waitcnt vmcnt(0) lgkmcnt(0)
	v_fmac_f64_e32 v[112:113], v[116:117], v[118:119]
	s_andn2_b64 exec, exec, s[2:3]
	s_cbranch_execnz .LBB117_103
; %bb.104:
	s_or_b64 exec, exec, s[2:3]
.LBB117_105:
	s_or_b64 exec, exec, s[8:9]
	v_mov_b32_e32 v114, 0
	ds_read_b64 v[114:115], v114 offset:336
	s_waitcnt lgkmcnt(0)
	v_mul_f64 v[112:113], v[112:113], v[114:115]
	scratch_store_dwordx2 off, v[112:113], off offset:336
.LBB117_106:
	s_or_b64 exec, exec, s[4:5]
	scratch_load_dwordx2 v[112:113], off, off offset:328
	v_cmp_lt_u32_e64 s[2:3], 41, v0
	s_waitcnt vmcnt(0)
	ds_write_b64 v1, v[112:113]
	s_waitcnt lgkmcnt(0)
	; wave barrier
	s_and_saveexec_b64 s[4:5], s[2:3]
	s_cbranch_execz .LBB117_116
; %bb.107:
	s_andn2_b64 vcc, exec, s[6:7]
	s_cbranch_vccnz .LBB117_109
; %bb.108:
	scratch_load_dwordx2 v[112:113], v19, off
	ds_read_b64 v[114:115], v1
	s_waitcnt vmcnt(0) lgkmcnt(0)
	v_mul_f64 v[112:113], v[112:113], v[114:115]
	s_cbranch_execz .LBB117_110
	s_branch .LBB117_111
.LBB117_109:
                                        ; implicit-def: $vgpr112_vgpr113
.LBB117_110:
	ds_read_b64 v[112:113], v1
.LBB117_111:
	s_and_saveexec_b64 s[8:9], s[0:1]
	s_cbranch_execz .LBB117_115
; %bb.112:
	v_subrev_u32_e32 v114, 42, v0
	s_movk_i32 s53, 0x300
	s_mov_b64 s[0:1], 0
.LBB117_113:                            ; =>This Inner Loop Header: Depth=1
	scratch_load_dwordx2 v[116:117], off, s52
	v_mov_b32_e32 v115, s53
	ds_read_b64 v[118:119], v115
	v_add_u32_e32 v114, -1, v114
	s_add_i32 s53, s53, 8
	s_add_i32 s52, s52, 8
	v_cmp_eq_u32_e32 vcc, 0, v114
	s_or_b64 s[0:1], vcc, s[0:1]
	s_waitcnt vmcnt(0) lgkmcnt(0)
	v_fmac_f64_e32 v[112:113], v[116:117], v[118:119]
	s_andn2_b64 exec, exec, s[0:1]
	s_cbranch_execnz .LBB117_113
; %bb.114:
	s_or_b64 exec, exec, s[0:1]
.LBB117_115:
	s_or_b64 exec, exec, s[8:9]
	v_mov_b32_e32 v114, 0
	ds_read_b64 v[114:115], v114 offset:328
	s_waitcnt lgkmcnt(0)
	v_mul_f64 v[112:113], v[112:113], v[114:115]
	scratch_store_dwordx2 off, v[112:113], off offset:328
.LBB117_116:
	;; [unrolled: 53-line block ×27, first 2 shown]
	s_or_b64 exec, exec, s[4:5]
	scratch_load_dwordx2 v[112:113], off, off offset:120
	v_cmp_lt_u32_e64 s[2:3], 15, v0
	s_waitcnt vmcnt(0)
	ds_write_b64 v1, v[112:113]
	s_waitcnt lgkmcnt(0)
	; wave barrier
	s_and_saveexec_b64 s[4:5], s[2:3]
	s_cbranch_execz .LBB117_376
; %bb.367:
	s_andn2_b64 vcc, exec, s[6:7]
	s_cbranch_vccnz .LBB117_369
; %bb.368:
	scratch_load_dwordx2 v[112:113], v19, off
	ds_read_b64 v[114:115], v1
	s_waitcnt vmcnt(0) lgkmcnt(0)
	v_mul_f64 v[112:113], v[112:113], v[114:115]
	s_cbranch_execz .LBB117_370
	s_branch .LBB117_371
.LBB117_369:
                                        ; implicit-def: $vgpr112_vgpr113
.LBB117_370:
	ds_read_b64 v[112:113], v1
.LBB117_371:
	s_and_saveexec_b64 s[8:9], s[0:1]
	s_cbranch_execz .LBB117_375
; %bb.372:
	v_add_u32_e32 v114, -16, v0
	s_movk_i32 s26, 0x230
	s_mov_b64 s[0:1], 0
.LBB117_373:                            ; =>This Inner Loop Header: Depth=1
	scratch_load_dwordx2 v[116:117], off, s25
	v_mov_b32_e32 v115, s26
	ds_read_b64 v[118:119], v115
	v_add_u32_e32 v114, -1, v114
	s_add_i32 s26, s26, 8
	s_add_i32 s25, s25, 8
	v_cmp_eq_u32_e32 vcc, 0, v114
	s_or_b64 s[0:1], vcc, s[0:1]
	s_waitcnt vmcnt(0) lgkmcnt(0)
	v_fmac_f64_e32 v[112:113], v[116:117], v[118:119]
	s_andn2_b64 exec, exec, s[0:1]
	s_cbranch_execnz .LBB117_373
; %bb.374:
	s_or_b64 exec, exec, s[0:1]
.LBB117_375:
	s_or_b64 exec, exec, s[8:9]
	v_mov_b32_e32 v114, 0
	ds_read_b64 v[114:115], v114 offset:120
	s_waitcnt lgkmcnt(0)
	v_mul_f64 v[112:113], v[112:113], v[114:115]
	scratch_store_dwordx2 off, v[112:113], off offset:120
.LBB117_376:
	s_or_b64 exec, exec, s[4:5]
	scratch_load_dwordx2 v[112:113], off, off offset:112
	v_cmp_lt_u32_e64 s[0:1], 14, v0
	s_waitcnt vmcnt(0)
	ds_write_b64 v1, v[112:113]
	s_waitcnt lgkmcnt(0)
	; wave barrier
	s_and_saveexec_b64 s[4:5], s[0:1]
	s_cbranch_execz .LBB117_386
; %bb.377:
	s_andn2_b64 vcc, exec, s[6:7]
	s_cbranch_vccnz .LBB117_379
; %bb.378:
	scratch_load_dwordx2 v[112:113], v19, off
	ds_read_b64 v[114:115], v1
	s_waitcnt vmcnt(0) lgkmcnt(0)
	v_mul_f64 v[112:113], v[112:113], v[114:115]
	s_cbranch_execz .LBB117_380
	s_branch .LBB117_381
.LBB117_379:
                                        ; implicit-def: $vgpr112_vgpr113
.LBB117_380:
	ds_read_b64 v[112:113], v1
.LBB117_381:
	s_and_saveexec_b64 s[8:9], s[2:3]
	s_cbranch_execz .LBB117_385
; %bb.382:
	v_add_u32_e32 v114, -15, v0
	s_movk_i32 s25, 0x228
	s_mov_b64 s[2:3], 0
.LBB117_383:                            ; =>This Inner Loop Header: Depth=1
	scratch_load_dwordx2 v[116:117], off, s24
	v_mov_b32_e32 v115, s25
	ds_read_b64 v[118:119], v115
	v_add_u32_e32 v114, -1, v114
	s_add_i32 s25, s25, 8
	s_add_i32 s24, s24, 8
	v_cmp_eq_u32_e32 vcc, 0, v114
	s_or_b64 s[2:3], vcc, s[2:3]
	s_waitcnt vmcnt(0) lgkmcnt(0)
	v_fmac_f64_e32 v[112:113], v[116:117], v[118:119]
	s_andn2_b64 exec, exec, s[2:3]
	s_cbranch_execnz .LBB117_383
; %bb.384:
	s_or_b64 exec, exec, s[2:3]
.LBB117_385:
	s_or_b64 exec, exec, s[8:9]
	v_mov_b32_e32 v114, 0
	ds_read_b64 v[114:115], v114 offset:112
	s_waitcnt lgkmcnt(0)
	v_mul_f64 v[112:113], v[112:113], v[114:115]
	scratch_store_dwordx2 off, v[112:113], off offset:112
.LBB117_386:
	;; [unrolled: 53-line block ×15, first 2 shown]
	s_or_b64 exec, exec, s[4:5]
	scratch_load_dwordx2 v[112:113], off, off
	v_cmp_ne_u32_e32 vcc, 0, v0
	s_waitcnt vmcnt(0)
	ds_write_b64 v1, v[112:113]
	s_waitcnt lgkmcnt(0)
	; wave barrier
	s_and_saveexec_b64 s[0:1], vcc
	s_cbranch_execz .LBB117_526
; %bb.517:
	s_andn2_b64 vcc, exec, s[6:7]
	s_cbranch_vccnz .LBB117_519
; %bb.518:
	scratch_load_dwordx2 v[112:113], v19, off
	ds_read_b64 v[114:115], v1
	s_waitcnt vmcnt(0) lgkmcnt(0)
	v_mul_f64 v[112:113], v[112:113], v[114:115]
	s_cbranch_execz .LBB117_520
	s_branch .LBB117_521
.LBB117_519:
                                        ; implicit-def: $vgpr112_vgpr113
.LBB117_520:
	ds_read_b64 v[112:113], v1
.LBB117_521:
	s_and_saveexec_b64 s[4:5], s[2:3]
	s_cbranch_execz .LBB117_525
; %bb.522:
	v_add_u32_e32 v114, -1, v0
	s_movk_i32 s8, 0x1b8
	s_mov_b64 s[2:3], 0
.LBB117_523:                            ; =>This Inner Loop Header: Depth=1
	scratch_load_dwordx2 v[116:117], off, s10
	v_mov_b32_e32 v115, s8
	ds_read_b64 v[118:119], v115
	v_add_u32_e32 v114, -1, v114
	s_add_i32 s8, s8, 8
	s_add_i32 s10, s10, 8
	v_cmp_eq_u32_e32 vcc, 0, v114
	s_or_b64 s[2:3], vcc, s[2:3]
	s_waitcnt vmcnt(0) lgkmcnt(0)
	v_fmac_f64_e32 v[112:113], v[116:117], v[118:119]
	s_andn2_b64 exec, exec, s[2:3]
	s_cbranch_execnz .LBB117_523
; %bb.524:
	s_or_b64 exec, exec, s[2:3]
.LBB117_525:
	s_or_b64 exec, exec, s[4:5]
	v_mov_b32_e32 v114, 0
	ds_read_b64 v[114:115], v114
	s_waitcnt lgkmcnt(0)
	v_mul_f64 v[112:113], v[112:113], v[114:115]
	scratch_store_dwordx2 off, v[112:113], off
.LBB117_526:
	s_or_b64 exec, exec, s[0:1]
	s_mov_b64 s[0:1], 0
.LBB117_527:
	s_and_b64 vcc, exec, s[0:1]
	s_cbranch_vccz .LBB117_1049
; %bb.528:
	scratch_load_dwordx2 v[112:113], off, off offset:8
	v_cmp_eq_u32_e64 s[2:3], 0, v0
	s_waitcnt vmcnt(0)
	ds_write_b64 v1, v[112:113]
	s_waitcnt lgkmcnt(0)
	; wave barrier
	s_and_saveexec_b64 s[0:1], s[2:3]
	s_cbranch_execz .LBB117_534
; %bb.529:
	s_and_b64 vcc, exec, s[6:7]
	s_cbranch_vccz .LBB117_531
; %bb.530:
	scratch_load_dwordx2 v[112:113], v19, off
	ds_read_b64 v[114:115], v1
	s_waitcnt vmcnt(0) lgkmcnt(0)
	v_mul_f64 v[112:113], v[112:113], v[114:115]
	s_cbranch_execz .LBB117_532
	s_branch .LBB117_533
.LBB117_531:
                                        ; implicit-def: $vgpr112_vgpr113
.LBB117_532:
	ds_read_b64 v[112:113], v1
.LBB117_533:
	v_mov_b32_e32 v114, 0
	ds_read_b64 v[114:115], v114 offset:8
	s_waitcnt lgkmcnt(0)
	v_mul_f64 v[112:113], v[112:113], v[114:115]
	scratch_store_dwordx2 off, v[112:113], off offset:8
.LBB117_534:
	s_or_b64 exec, exec, s[0:1]
	scratch_load_dwordx2 v[112:113], off, off offset:16
	v_cndmask_b32_e64 v114, 0, 1, s[6:7]
	v_cmp_gt_u32_e32 vcc, 2, v0
	v_cmp_ne_u32_e64 s[0:1], 1, v114
	s_waitcnt vmcnt(0)
	ds_write_b64 v1, v[112:113]
	s_waitcnt lgkmcnt(0)
	; wave barrier
	s_and_saveexec_b64 s[4:5], vcc
	s_cbranch_execz .LBB117_540
; %bb.535:
	s_and_b64 vcc, exec, s[0:1]
	s_cbranch_vccnz .LBB117_537
; %bb.536:
	scratch_load_dwordx2 v[112:113], v19, off
	ds_read_b64 v[114:115], v1
	s_waitcnt vmcnt(0) lgkmcnt(0)
	v_mul_f64 v[112:113], v[112:113], v[114:115]
	s_cbranch_execz .LBB117_538
	s_branch .LBB117_539
.LBB117_537:
                                        ; implicit-def: $vgpr112_vgpr113
.LBB117_538:
	ds_read_b64 v[112:113], v1
.LBB117_539:
	scratch_load_dwordx2 v[118:119], off, off offset:8
	v_mov_b32_e32 v114, 0
	ds_read2_b64 v[114:117], v114 offset0:2 offset1:55
	s_waitcnt vmcnt(0) lgkmcnt(0)
	v_fma_f64 v[116:117], v[118:119], v[116:117], v[112:113]
	v_cndmask_b32_e64 v113, v113, v117, s[2:3]
	v_cndmask_b32_e64 v112, v112, v116, s[2:3]
	v_mul_f64 v[112:113], v[112:113], v[114:115]
	scratch_store_dwordx2 off, v[112:113], off offset:16
.LBB117_540:
	s_or_b64 exec, exec, s[4:5]
	scratch_load_dwordx2 v[112:113], off, off offset:24
	v_cmp_gt_u32_e32 vcc, 3, v0
	s_waitcnt vmcnt(0)
	ds_write_b64 v1, v[112:113]
	s_waitcnt lgkmcnt(0)
	; wave barrier
	s_and_saveexec_b64 s[4:5], vcc
	s_cbranch_execz .LBB117_548
; %bb.541:
	s_and_b64 vcc, exec, s[0:1]
	s_cbranch_vccnz .LBB117_543
; %bb.542:
	scratch_load_dwordx2 v[112:113], v19, off
	ds_read_b64 v[114:115], v1
	s_waitcnt vmcnt(0) lgkmcnt(0)
	v_mul_f64 v[112:113], v[112:113], v[114:115]
	s_cbranch_execz .LBB117_544
	s_branch .LBB117_545
.LBB117_543:
                                        ; implicit-def: $vgpr112_vgpr113
.LBB117_544:
	ds_read_b64 v[112:113], v1
.LBB117_545:
	v_cmp_ne_u32_e32 vcc, 2, v0
	s_and_saveexec_b64 s[6:7], vcc
	s_cbranch_execz .LBB117_547
; %bb.546:
	scratch_load_dwordx2 v[114:115], v19, off offset:8
	scratch_load_dwordx2 v[116:117], off, off offset:16
	ds_read_b64 v[118:119], v1 offset:8
	v_mov_b32_e32 v120, 0
	ds_read_b64 v[120:121], v120 offset:448
	s_waitcnt vmcnt(1) lgkmcnt(1)
	v_fmac_f64_e32 v[112:113], v[114:115], v[118:119]
	s_waitcnt vmcnt(0) lgkmcnt(0)
	v_fma_f64 v[114:115], v[116:117], v[120:121], v[112:113]
	v_cndmask_b32_e64 v113, v113, v115, s[2:3]
	v_cndmask_b32_e64 v112, v112, v114, s[2:3]
.LBB117_547:
	s_or_b64 exec, exec, s[6:7]
	v_mov_b32_e32 v114, 0
	ds_read_b64 v[114:115], v114 offset:24
	s_waitcnt lgkmcnt(0)
	v_mul_f64 v[112:113], v[112:113], v[114:115]
	scratch_store_dwordx2 off, v[112:113], off offset:24
.LBB117_548:
	s_or_b64 exec, exec, s[4:5]
	scratch_load_dwordx2 v[112:113], off, off offset:32
	v_cmp_gt_u32_e32 vcc, 4, v0
	s_waitcnt vmcnt(0)
	ds_write_b64 v1, v[112:113]
	s_waitcnt lgkmcnt(0)
	; wave barrier
	s_and_saveexec_b64 s[2:3], vcc
	s_cbranch_execz .LBB117_558
; %bb.549:
	s_and_b64 vcc, exec, s[0:1]
	s_cbranch_vccnz .LBB117_551
; %bb.550:
	scratch_load_dwordx2 v[112:113], v19, off
	ds_read_b64 v[114:115], v1
	s_waitcnt vmcnt(0) lgkmcnt(0)
	v_mul_f64 v[112:113], v[112:113], v[114:115]
	s_cbranch_execz .LBB117_552
	s_branch .LBB117_553
.LBB117_551:
                                        ; implicit-def: $vgpr112_vgpr113
.LBB117_552:
	ds_read_b64 v[112:113], v1
.LBB117_553:
	v_cmp_ne_u32_e32 vcc, 3, v0
	s_and_saveexec_b64 s[4:5], vcc
	s_cbranch_execz .LBB117_557
; %bb.554:
	s_mov_b32 s6, 0
	v_add_u32_e32 v114, 0x1b8, v18
	v_add3_u32 v115, v18, s6, 8
	s_mov_b64 s[6:7], 0
	v_mov_b32_e32 v116, v0
.LBB117_555:                            ; =>This Inner Loop Header: Depth=1
	scratch_load_dwordx2 v[118:119], v115, off
	ds_read_b64 v[120:121], v114
	v_add_u32_e32 v116, 1, v116
	v_cmp_lt_u32_e32 vcc, 2, v116
	v_add_u32_e32 v114, 8, v114
	v_add_u32_e32 v115, 8, v115
	s_or_b64 s[6:7], vcc, s[6:7]
	s_waitcnt vmcnt(0) lgkmcnt(0)
	v_fmac_f64_e32 v[112:113], v[118:119], v[120:121]
	s_andn2_b64 exec, exec, s[6:7]
	s_cbranch_execnz .LBB117_555
; %bb.556:
	s_or_b64 exec, exec, s[6:7]
.LBB117_557:
	s_or_b64 exec, exec, s[4:5]
	v_mov_b32_e32 v114, 0
	ds_read_b64 v[114:115], v114 offset:32
	s_waitcnt lgkmcnt(0)
	v_mul_f64 v[112:113], v[112:113], v[114:115]
	scratch_store_dwordx2 off, v[112:113], off offset:32
.LBB117_558:
	s_or_b64 exec, exec, s[2:3]
	scratch_load_dwordx2 v[112:113], off, off offset:40
	v_cmp_gt_u32_e32 vcc, 5, v0
	s_waitcnt vmcnt(0)
	ds_write_b64 v1, v[112:113]
	s_waitcnt lgkmcnt(0)
	; wave barrier
	s_and_saveexec_b64 s[2:3], vcc
	s_cbranch_execz .LBB117_568
; %bb.559:
	s_and_b64 vcc, exec, s[0:1]
	s_cbranch_vccnz .LBB117_561
; %bb.560:
	scratch_load_dwordx2 v[112:113], v19, off
	ds_read_b64 v[114:115], v1
	s_waitcnt vmcnt(0) lgkmcnt(0)
	v_mul_f64 v[112:113], v[112:113], v[114:115]
	s_cbranch_execz .LBB117_562
	s_branch .LBB117_563
.LBB117_561:
                                        ; implicit-def: $vgpr112_vgpr113
.LBB117_562:
	ds_read_b64 v[112:113], v1
.LBB117_563:
	v_cmp_ne_u32_e32 vcc, 4, v0
	s_and_saveexec_b64 s[4:5], vcc
	s_cbranch_execz .LBB117_567
; %bb.564:
	s_mov_b32 s6, 0
	v_add_u32_e32 v114, 0x1b8, v18
	v_add3_u32 v115, v18, s6, 8
	s_mov_b64 s[6:7], 0
	v_mov_b32_e32 v116, v0
.LBB117_565:                            ; =>This Inner Loop Header: Depth=1
	scratch_load_dwordx2 v[118:119], v115, off
	ds_read_b64 v[120:121], v114
	v_add_u32_e32 v116, 1, v116
	v_cmp_lt_u32_e32 vcc, 3, v116
	v_add_u32_e32 v114, 8, v114
	v_add_u32_e32 v115, 8, v115
	s_or_b64 s[6:7], vcc, s[6:7]
	s_waitcnt vmcnt(0) lgkmcnt(0)
	v_fmac_f64_e32 v[112:113], v[118:119], v[120:121]
	s_andn2_b64 exec, exec, s[6:7]
	s_cbranch_execnz .LBB117_565
; %bb.566:
	s_or_b64 exec, exec, s[6:7]
.LBB117_567:
	s_or_b64 exec, exec, s[4:5]
	v_mov_b32_e32 v114, 0
	ds_read_b64 v[114:115], v114 offset:40
	s_waitcnt lgkmcnt(0)
	v_mul_f64 v[112:113], v[112:113], v[114:115]
	scratch_store_dwordx2 off, v[112:113], off offset:40
.LBB117_568:
	;; [unrolled: 55-line block ×45, first 2 shown]
	s_or_b64 exec, exec, s[2:3]
	scratch_load_dwordx2 v[112:113], off, off offset:392
	v_cmp_gt_u32_e32 vcc, 49, v0
	s_waitcnt vmcnt(0)
	ds_write_b64 v1, v[112:113]
	s_waitcnt lgkmcnt(0)
	; wave barrier
	s_and_saveexec_b64 s[2:3], vcc
	s_cbranch_execz .LBB117_1008
; %bb.999:
	s_and_b64 vcc, exec, s[0:1]
	s_cbranch_vccnz .LBB117_1001
; %bb.1000:
	scratch_load_dwordx2 v[112:113], v19, off
	ds_read_b64 v[114:115], v1
	s_waitcnt vmcnt(0) lgkmcnt(0)
	v_mul_f64 v[112:113], v[112:113], v[114:115]
	s_cbranch_execz .LBB117_1002
	s_branch .LBB117_1003
.LBB117_1001:
                                        ; implicit-def: $vgpr112_vgpr113
.LBB117_1002:
	ds_read_b64 v[112:113], v1
.LBB117_1003:
	v_cmp_ne_u32_e32 vcc, 48, v0
	s_and_saveexec_b64 s[4:5], vcc
	s_cbranch_execz .LBB117_1007
; %bb.1004:
	s_mov_b32 s6, 0
	v_add_u32_e32 v114, 0x1b8, v18
	v_add3_u32 v115, v18, s6, 8
	s_mov_b64 s[6:7], 0
	v_mov_b32_e32 v116, v0
.LBB117_1005:                           ; =>This Inner Loop Header: Depth=1
	scratch_load_dwordx2 v[118:119], v115, off
	ds_read_b64 v[120:121], v114
	v_add_u32_e32 v116, 1, v116
	v_cmp_lt_u32_e32 vcc, 47, v116
	v_add_u32_e32 v114, 8, v114
	v_add_u32_e32 v115, 8, v115
	s_or_b64 s[6:7], vcc, s[6:7]
	s_waitcnt vmcnt(0) lgkmcnt(0)
	v_fmac_f64_e32 v[112:113], v[118:119], v[120:121]
	s_andn2_b64 exec, exec, s[6:7]
	s_cbranch_execnz .LBB117_1005
; %bb.1006:
	s_or_b64 exec, exec, s[6:7]
.LBB117_1007:
	s_or_b64 exec, exec, s[4:5]
	v_mov_b32_e32 v114, 0
	ds_read_b64 v[114:115], v114 offset:392
	s_waitcnt lgkmcnt(0)
	v_mul_f64 v[112:113], v[112:113], v[114:115]
	scratch_store_dwordx2 off, v[112:113], off offset:392
.LBB117_1008:
	s_or_b64 exec, exec, s[2:3]
	scratch_load_dwordx2 v[112:113], off, off offset:400
	v_cmp_gt_u32_e32 vcc, 50, v0
	s_waitcnt vmcnt(0)
	ds_write_b64 v1, v[112:113]
	s_waitcnt lgkmcnt(0)
	; wave barrier
	s_and_saveexec_b64 s[2:3], vcc
	s_cbranch_execz .LBB117_1018
; %bb.1009:
	s_and_b64 vcc, exec, s[0:1]
	s_cbranch_vccnz .LBB117_1011
; %bb.1010:
	scratch_load_dwordx2 v[112:113], v19, off
	ds_read_b64 v[114:115], v1
	s_waitcnt vmcnt(0) lgkmcnt(0)
	v_mul_f64 v[112:113], v[112:113], v[114:115]
	s_cbranch_execz .LBB117_1012
	s_branch .LBB117_1013
.LBB117_1011:
                                        ; implicit-def: $vgpr112_vgpr113
.LBB117_1012:
	ds_read_b64 v[112:113], v1
.LBB117_1013:
	v_cmp_ne_u32_e32 vcc, 49, v0
	s_and_saveexec_b64 s[4:5], vcc
	s_cbranch_execz .LBB117_1017
; %bb.1014:
	s_mov_b32 s6, 0
	v_add_u32_e32 v114, 0x1b8, v18
	v_add3_u32 v115, v18, s6, 8
	s_mov_b64 s[6:7], 0
	v_mov_b32_e32 v116, v0
.LBB117_1015:                           ; =>This Inner Loop Header: Depth=1
	scratch_load_dwordx2 v[118:119], v115, off
	ds_read_b64 v[120:121], v114
	v_add_u32_e32 v116, 1, v116
	v_cmp_lt_u32_e32 vcc, 48, v116
	v_add_u32_e32 v114, 8, v114
	v_add_u32_e32 v115, 8, v115
	s_or_b64 s[6:7], vcc, s[6:7]
	s_waitcnt vmcnt(0) lgkmcnt(0)
	v_fmac_f64_e32 v[112:113], v[118:119], v[120:121]
	s_andn2_b64 exec, exec, s[6:7]
	s_cbranch_execnz .LBB117_1015
; %bb.1016:
	s_or_b64 exec, exec, s[6:7]
.LBB117_1017:
	s_or_b64 exec, exec, s[4:5]
	v_mov_b32_e32 v114, 0
	ds_read_b64 v[114:115], v114 offset:400
	s_waitcnt lgkmcnt(0)
	v_mul_f64 v[112:113], v[112:113], v[114:115]
	scratch_store_dwordx2 off, v[112:113], off offset:400
.LBB117_1018:
	;; [unrolled: 55-line block ×3, first 2 shown]
	s_or_b64 exec, exec, s[2:3]
	scratch_load_dwordx2 v[112:113], off, off offset:416
	v_cmp_gt_u32_e64 s[2:3], 52, v0
	s_waitcnt vmcnt(0)
	ds_write_b64 v1, v[112:113]
	s_waitcnt lgkmcnt(0)
	; wave barrier
	s_and_saveexec_b64 s[4:5], s[2:3]
	s_cbranch_execz .LBB117_1038
; %bb.1029:
	s_and_b64 vcc, exec, s[0:1]
	s_cbranch_vccnz .LBB117_1031
; %bb.1030:
	scratch_load_dwordx2 v[112:113], v19, off
	ds_read_b64 v[114:115], v1
	s_waitcnt vmcnt(0) lgkmcnt(0)
	v_mul_f64 v[112:113], v[112:113], v[114:115]
	s_cbranch_execz .LBB117_1032
	s_branch .LBB117_1033
.LBB117_1031:
                                        ; implicit-def: $vgpr112_vgpr113
.LBB117_1032:
	ds_read_b64 v[112:113], v1
.LBB117_1033:
	v_cmp_ne_u32_e32 vcc, 51, v0
	s_and_saveexec_b64 s[6:7], vcc
	s_cbranch_execz .LBB117_1037
; %bb.1034:
	s_mov_b32 s8, 0
	v_add_u32_e32 v114, 0x1b8, v18
	v_add3_u32 v115, v18, s8, 8
	s_mov_b64 s[8:9], 0
	v_mov_b32_e32 v116, v0
.LBB117_1035:                           ; =>This Inner Loop Header: Depth=1
	scratch_load_dwordx2 v[118:119], v115, off
	ds_read_b64 v[120:121], v114
	v_add_u32_e32 v116, 1, v116
	v_cmp_lt_u32_e32 vcc, 50, v116
	v_add_u32_e32 v114, 8, v114
	v_add_u32_e32 v115, 8, v115
	s_or_b64 s[8:9], vcc, s[8:9]
	s_waitcnt vmcnt(0) lgkmcnt(0)
	v_fmac_f64_e32 v[112:113], v[118:119], v[120:121]
	s_andn2_b64 exec, exec, s[8:9]
	s_cbranch_execnz .LBB117_1035
; %bb.1036:
	s_or_b64 exec, exec, s[8:9]
.LBB117_1037:
	s_or_b64 exec, exec, s[6:7]
	v_mov_b32_e32 v114, 0
	ds_read_b64 v[114:115], v114 offset:416
	s_waitcnt lgkmcnt(0)
	v_mul_f64 v[112:113], v[112:113], v[114:115]
	scratch_store_dwordx2 off, v[112:113], off offset:416
.LBB117_1038:
	s_or_b64 exec, exec, s[4:5]
	scratch_load_dwordx2 v[112:113], off, off offset:424
	v_cmp_ne_u32_e32 vcc, 53, v0
	s_waitcnt vmcnt(0)
	ds_write_b64 v1, v[112:113]
	s_waitcnt lgkmcnt(0)
	; wave barrier
	s_and_saveexec_b64 s[4:5], vcc
	s_cbranch_execz .LBB117_1048
; %bb.1039:
	s_and_b64 vcc, exec, s[0:1]
	s_cbranch_vccnz .LBB117_1041
; %bb.1040:
	scratch_load_dwordx2 v[112:113], v19, off
	ds_read_b64 v[114:115], v1
	s_waitcnt vmcnt(0) lgkmcnt(0)
	v_mul_f64 v[112:113], v[112:113], v[114:115]
	s_cbranch_execz .LBB117_1042
	s_branch .LBB117_1043
.LBB117_1041:
                                        ; implicit-def: $vgpr112_vgpr113
.LBB117_1042:
	ds_read_b64 v[112:113], v1
.LBB117_1043:
	s_and_saveexec_b64 s[0:1], s[2:3]
	s_cbranch_execz .LBB117_1047
; %bb.1044:
	s_mov_b32 s2, 0
	v_add_u32_e32 v1, 0x1b8, v18
	v_add3_u32 v18, v18, s2, 8
	s_mov_b64 s[2:3], 0
.LBB117_1045:                           ; =>This Inner Loop Header: Depth=1
	scratch_load_dwordx2 v[114:115], v18, off
	ds_read_b64 v[116:117], v1
	v_add_u32_e32 v0, 1, v0
	v_cmp_lt_u32_e32 vcc, 51, v0
	v_add_u32_e32 v1, 8, v1
	v_add_u32_e32 v18, 8, v18
	s_or_b64 s[2:3], vcc, s[2:3]
	s_waitcnt vmcnt(0) lgkmcnt(0)
	v_fmac_f64_e32 v[112:113], v[114:115], v[116:117]
	s_andn2_b64 exec, exec, s[2:3]
	s_cbranch_execnz .LBB117_1045
; %bb.1046:
	s_or_b64 exec, exec, s[2:3]
.LBB117_1047:
	s_or_b64 exec, exec, s[0:1]
	v_mov_b32_e32 v0, 0
	ds_read_b64 v[0:1], v0 offset:424
	s_waitcnt lgkmcnt(0)
	v_mul_f64 v[0:1], v[112:113], v[0:1]
	scratch_store_dwordx2 off, v[0:1], off offset:424
.LBB117_1048:
	s_or_b64 exec, exec, s[4:5]
.LBB117_1049:
	scratch_load_dwordx2 v[0:1], off, off
	s_waitcnt vmcnt(0)
	flat_store_dwordx2 v[2:3], v[0:1]
	scratch_load_dwordx2 v[0:1], off, off offset:8
	s_waitcnt vmcnt(0)
	flat_store_dwordx2 v[4:5], v[0:1]
	scratch_load_dwordx2 v[0:1], off, off offset:16
	;; [unrolled: 3-line block ×53, first 2 shown]
	s_waitcnt vmcnt(0)
	flat_store_dwordx2 v[110:111], v[0:1]
.LBB117_1050:
	s_endpgm
	.section	.rodata,"a",@progbits
	.p2align	6, 0x0
	.amdhsa_kernel _ZN9rocsolver6v33100L18trti2_kernel_smallILi54EdPKPdEEv13rocblas_fill_17rocblas_diagonal_T1_iil
		.amdhsa_group_segment_fixed_size 864
		.amdhsa_private_segment_fixed_size 448
		.amdhsa_kernarg_size 32
		.amdhsa_user_sgpr_count 2
		.amdhsa_user_sgpr_dispatch_ptr 0
		.amdhsa_user_sgpr_queue_ptr 0
		.amdhsa_user_sgpr_kernarg_segment_ptr 1
		.amdhsa_user_sgpr_dispatch_id 0
		.amdhsa_user_sgpr_kernarg_preload_length 0
		.amdhsa_user_sgpr_kernarg_preload_offset 0
		.amdhsa_user_sgpr_private_segment_size 0
		.amdhsa_uses_dynamic_stack 0
		.amdhsa_enable_private_segment 1
		.amdhsa_system_sgpr_workgroup_id_x 1
		.amdhsa_system_sgpr_workgroup_id_y 0
		.amdhsa_system_sgpr_workgroup_id_z 0
		.amdhsa_system_sgpr_workgroup_info 0
		.amdhsa_system_vgpr_workitem_id 0
		.amdhsa_next_free_vgpr 122
		.amdhsa_next_free_sgpr 63
		.amdhsa_accum_offset 124
		.amdhsa_reserve_vcc 1
		.amdhsa_float_round_mode_32 0
		.amdhsa_float_round_mode_16_64 0
		.amdhsa_float_denorm_mode_32 3
		.amdhsa_float_denorm_mode_16_64 3
		.amdhsa_dx10_clamp 1
		.amdhsa_ieee_mode 1
		.amdhsa_fp16_overflow 0
		.amdhsa_tg_split 0
		.amdhsa_exception_fp_ieee_invalid_op 0
		.amdhsa_exception_fp_denorm_src 0
		.amdhsa_exception_fp_ieee_div_zero 0
		.amdhsa_exception_fp_ieee_overflow 0
		.amdhsa_exception_fp_ieee_underflow 0
		.amdhsa_exception_fp_ieee_inexact 0
		.amdhsa_exception_int_div_zero 0
	.end_amdhsa_kernel
	.section	.text._ZN9rocsolver6v33100L18trti2_kernel_smallILi54EdPKPdEEv13rocblas_fill_17rocblas_diagonal_T1_iil,"axG",@progbits,_ZN9rocsolver6v33100L18trti2_kernel_smallILi54EdPKPdEEv13rocblas_fill_17rocblas_diagonal_T1_iil,comdat
.Lfunc_end117:
	.size	_ZN9rocsolver6v33100L18trti2_kernel_smallILi54EdPKPdEEv13rocblas_fill_17rocblas_diagonal_T1_iil, .Lfunc_end117-_ZN9rocsolver6v33100L18trti2_kernel_smallILi54EdPKPdEEv13rocblas_fill_17rocblas_diagonal_T1_iil
                                        ; -- End function
	.set _ZN9rocsolver6v33100L18trti2_kernel_smallILi54EdPKPdEEv13rocblas_fill_17rocblas_diagonal_T1_iil.num_vgpr, 122
	.set _ZN9rocsolver6v33100L18trti2_kernel_smallILi54EdPKPdEEv13rocblas_fill_17rocblas_diagonal_T1_iil.num_agpr, 0
	.set _ZN9rocsolver6v33100L18trti2_kernel_smallILi54EdPKPdEEv13rocblas_fill_17rocblas_diagonal_T1_iil.numbered_sgpr, 63
	.set _ZN9rocsolver6v33100L18trti2_kernel_smallILi54EdPKPdEEv13rocblas_fill_17rocblas_diagonal_T1_iil.num_named_barrier, 0
	.set _ZN9rocsolver6v33100L18trti2_kernel_smallILi54EdPKPdEEv13rocblas_fill_17rocblas_diagonal_T1_iil.private_seg_size, 448
	.set _ZN9rocsolver6v33100L18trti2_kernel_smallILi54EdPKPdEEv13rocblas_fill_17rocblas_diagonal_T1_iil.uses_vcc, 1
	.set _ZN9rocsolver6v33100L18trti2_kernel_smallILi54EdPKPdEEv13rocblas_fill_17rocblas_diagonal_T1_iil.uses_flat_scratch, 0
	.set _ZN9rocsolver6v33100L18trti2_kernel_smallILi54EdPKPdEEv13rocblas_fill_17rocblas_diagonal_T1_iil.has_dyn_sized_stack, 0
	.set _ZN9rocsolver6v33100L18trti2_kernel_smallILi54EdPKPdEEv13rocblas_fill_17rocblas_diagonal_T1_iil.has_recursion, 0
	.set _ZN9rocsolver6v33100L18trti2_kernel_smallILi54EdPKPdEEv13rocblas_fill_17rocblas_diagonal_T1_iil.has_indirect_call, 0
	.section	.AMDGPU.csdata,"",@progbits
; Kernel info:
; codeLenInByte = 26296
; TotalNumSgprs: 69
; NumVgprs: 122
; NumAgprs: 0
; TotalNumVgprs: 122
; ScratchSize: 448
; MemoryBound: 0
; FloatMode: 240
; IeeeMode: 1
; LDSByteSize: 864 bytes/workgroup (compile time only)
; SGPRBlocks: 8
; VGPRBlocks: 15
; NumSGPRsForWavesPerEU: 69
; NumVGPRsForWavesPerEU: 122
; AccumOffset: 124
; Occupancy: 4
; WaveLimiterHint : 1
; COMPUTE_PGM_RSRC2:SCRATCH_EN: 1
; COMPUTE_PGM_RSRC2:USER_SGPR: 2
; COMPUTE_PGM_RSRC2:TRAP_HANDLER: 0
; COMPUTE_PGM_RSRC2:TGID_X_EN: 1
; COMPUTE_PGM_RSRC2:TGID_Y_EN: 0
; COMPUTE_PGM_RSRC2:TGID_Z_EN: 0
; COMPUTE_PGM_RSRC2:TIDIG_COMP_CNT: 0
; COMPUTE_PGM_RSRC3_GFX90A:ACCUM_OFFSET: 30
; COMPUTE_PGM_RSRC3_GFX90A:TG_SPLIT: 0
	.section	.text._ZN9rocsolver6v33100L18trti2_kernel_smallILi55EdPKPdEEv13rocblas_fill_17rocblas_diagonal_T1_iil,"axG",@progbits,_ZN9rocsolver6v33100L18trti2_kernel_smallILi55EdPKPdEEv13rocblas_fill_17rocblas_diagonal_T1_iil,comdat
	.globl	_ZN9rocsolver6v33100L18trti2_kernel_smallILi55EdPKPdEEv13rocblas_fill_17rocblas_diagonal_T1_iil ; -- Begin function _ZN9rocsolver6v33100L18trti2_kernel_smallILi55EdPKPdEEv13rocblas_fill_17rocblas_diagonal_T1_iil
	.p2align	8
	.type	_ZN9rocsolver6v33100L18trti2_kernel_smallILi55EdPKPdEEv13rocblas_fill_17rocblas_diagonal_T1_iil,@function
_ZN9rocsolver6v33100L18trti2_kernel_smallILi55EdPKPdEEv13rocblas_fill_17rocblas_diagonal_T1_iil: ; @_ZN9rocsolver6v33100L18trti2_kernel_smallILi55EdPKPdEEv13rocblas_fill_17rocblas_diagonal_T1_iil
; %bb.0:
	v_cmp_gt_u32_e32 vcc, 55, v0
	s_and_saveexec_b64 s[4:5], vcc
	s_cbranch_execz .LBB118_1070
; %bb.1:
	s_load_dwordx2 s[8:9], s[0:1], 0x10
	s_load_dwordx4 s[4:7], s[0:1], 0x0
	s_ashr_i32 s3, s2, 31
	s_lshl_b64 s[0:1], s[2:3], 3
	v_lshlrev_b32_e32 v18, 3, v0
	s_waitcnt lgkmcnt(0)
	s_ashr_i32 s3, s8, 31
	s_add_u32 s0, s6, s0
	s_addc_u32 s1, s7, s1
	s_load_dwordx2 s[0:1], s[0:1], 0x0
	s_mov_b32 s2, s8
	s_lshl_b64 s[2:3], s[2:3], 3
	v_mov_b32_e32 v19, 0
	s_waitcnt lgkmcnt(0)
	s_add_u32 s0, s0, s2
	s_addc_u32 s1, s1, s3
	v_lshl_add_u64 v[2:3], s[0:1], 0, v[18:19]
	flat_load_dwordx2 v[6:7], v[2:3]
	s_mov_b32 s2, s9
	s_ashr_i32 s3, s9, 31
	v_lshl_add_u64 v[4:5], s[2:3], 3, v[2:3]
	s_add_i32 s2, s9, s9
	v_add_u32_e32 v10, s2, v0
	v_ashrrev_i32_e32 v11, 31, v10
	s_cmpk_lg_i32 s5, 0x84
	s_cselect_b64 s[6:7], -1, 0
	s_cmpk_eq_i32 s5, 0x84
	s_waitcnt vmcnt(0) lgkmcnt(0)
	scratch_store_dwordx2 off, v[6:7], off
	flat_load_dwordx2 v[8:9], v[4:5]
	v_lshl_add_u64 v[6:7], v[10:11], 3, s[0:1]
	v_add_u32_e32 v10, s9, v10
	v_ashrrev_i32_e32 v11, 31, v10
	v_add_u32_e32 v14, s9, v10
	v_ashrrev_i32_e32 v15, 31, v14
	s_waitcnt vmcnt(0) lgkmcnt(0)
	scratch_store_dwordx2 off, v[8:9], off offset:8
	flat_load_dwordx2 v[12:13], v[6:7]
	v_lshl_add_u64 v[8:9], v[10:11], 3, s[0:1]
	v_lshl_add_u64 v[10:11], v[14:15], 3, s[0:1]
	v_add_u32_e32 v14, s9, v14
	v_ashrrev_i32_e32 v15, 31, v14
	v_add_u32_e32 v20, s9, v14
	v_ashrrev_i32_e32 v21, 31, v20
	s_waitcnt vmcnt(0) lgkmcnt(0)
	scratch_store_dwordx2 off, v[12:13], off offset:16
	flat_load_dwordx2 v[12:13], v[8:9]
	s_waitcnt vmcnt(0) lgkmcnt(0)
	scratch_store_dwordx2 off, v[12:13], off offset:24
	flat_load_dwordx2 v[16:17], v[10:11]
	v_lshl_add_u64 v[12:13], v[14:15], 3, s[0:1]
	v_lshl_add_u64 v[14:15], v[20:21], 3, s[0:1]
	v_add_u32_e32 v20, s9, v20
	v_ashrrev_i32_e32 v21, 31, v20
	v_add_u32_e32 v24, s9, v20
	v_ashrrev_i32_e32 v25, 31, v24
	s_waitcnt vmcnt(0) lgkmcnt(0)
	scratch_store_dwordx2 off, v[16:17], off offset:32
	flat_load_dwordx2 v[16:17], v[12:13]
	;; [unrolled: 12-line block ×24, first 2 shown]
	s_waitcnt vmcnt(0) lgkmcnt(0)
	scratch_store_dwordx2 off, v[106:107], off offset:392
	flat_load_dwordx2 v[110:111], v[104:105]
	v_lshl_add_u64 v[106:107], v[108:109], 3, s[0:1]
	v_lshl_add_u64 v[108:109], v[112:113], 3, s[0:1]
	v_add_u32_e32 v112, s9, v112
	v_ashrrev_i32_e32 v113, 31, v112
	s_waitcnt vmcnt(0) lgkmcnt(0)
	scratch_store_dwordx2 off, v[110:111], off offset:400
	flat_load_dwordx2 v[110:111], v[106:107]
	s_waitcnt vmcnt(0) lgkmcnt(0)
	scratch_store_dwordx2 off, v[110:111], off offset:408
	flat_load_dwordx2 v[114:115], v[108:109]
	v_lshl_add_u64 v[110:111], v[112:113], 3, s[0:1]
	v_add_u32_e32 v112, s9, v112
	v_ashrrev_i32_e32 v113, 31, v112
	v_lshl_add_u64 v[112:113], v[112:113], 3, s[0:1]
	s_waitcnt vmcnt(0) lgkmcnt(0)
	scratch_store_dwordx2 off, v[114:115], off offset:416
	flat_load_dwordx2 v[114:115], v[110:111]
	s_waitcnt vmcnt(0) lgkmcnt(0)
	scratch_store_dwordx2 off, v[114:115], off offset:424
	flat_load_dwordx2 v[114:115], v[112:113]
	s_waitcnt vmcnt(0) lgkmcnt(0)
	scratch_store_dwordx2 off, v[114:115], off offset:432
	v_mov_b64_e32 v[114:115], -1.0
	s_cbranch_scc1 .LBB118_3
; %bb.2:
	scratch_load_dwordx2 v[114:115], v18, off
	s_waitcnt vmcnt(0)
	v_div_scale_f64 v[116:117], s[0:1], v[114:115], v[114:115], 1.0
	v_rcp_f64_e32 v[118:119], v[116:117]
	v_div_scale_f64 v[120:121], vcc, 1.0, v[114:115], 1.0
	v_fma_f64 v[122:123], -v[116:117], v[118:119], 1.0
	v_fmac_f64_e32 v[118:119], v[118:119], v[122:123]
	v_fma_f64 v[122:123], -v[116:117], v[118:119], 1.0
	v_fmac_f64_e32 v[118:119], v[118:119], v[122:123]
	v_mul_f64 v[122:123], v[120:121], v[118:119]
	v_fma_f64 v[116:117], -v[116:117], v[122:123], v[120:121]
	v_div_fmas_f64 v[116:117], v[116:117], v[118:119], v[122:123]
	v_div_fixup_f64 v[114:115], v[116:117], v[114:115], 1.0
	scratch_store_dwordx2 v18, v[114:115], off
	v_xor_b32_e32 v115, 0x80000000, v115
.LBB118_3:
	s_cmpk_eq_i32 s4, 0x79
	v_add_u32_e32 v1, 0x1c0, v18
	v_mov_b32_e32 v19, v18
	s_mov_b64 s[0:1], -1
	ds_write_b64 v18, v[114:115]
	s_cbranch_scc1 .LBB118_537
; %bb.4:
	scratch_load_dwordx2 v[114:115], off, off offset:424
	s_movk_i32 s8, 0x48
	s_movk_i32 s9, 0x50
	;; [unrolled: 1-line block ×44, first 2 shown]
	v_cmp_eq_u32_e64 s[0:1], 54, v0
	s_waitcnt vmcnt(0)
	ds_write_b64 v1, v[114:115]
	s_waitcnt lgkmcnt(0)
	; wave barrier
	s_and_saveexec_b64 s[2:3], s[0:1]
	s_cbranch_execz .LBB118_10
; %bb.5:
	s_and_b64 vcc, exec, s[6:7]
	s_cbranch_vccz .LBB118_7
; %bb.6:
	scratch_load_dwordx2 v[114:115], v19, off
	ds_read_b64 v[116:117], v1
	s_waitcnt vmcnt(0) lgkmcnt(0)
	v_mul_f64 v[114:115], v[114:115], v[116:117]
	s_cbranch_execz .LBB118_8
	s_branch .LBB118_9
.LBB118_7:
                                        ; implicit-def: $vgpr114_vgpr115
.LBB118_8:
	ds_read_b64 v[114:115], v1
.LBB118_9:
	v_mov_b32_e32 v116, 0
	ds_read_b64 v[116:117], v116 offset:424
	s_waitcnt lgkmcnt(0)
	v_mul_f64 v[114:115], v[114:115], v[116:117]
	scratch_store_dwordx2 off, v[114:115], off offset:424
.LBB118_10:
	s_or_b64 exec, exec, s[2:3]
	scratch_load_dwordx2 v[114:115], off, off offset:416
	s_or_b32 s10, 0, 8
	s_mov_b32 s11, 16
	s_mov_b32 s12, 24
	;; [unrolled: 1-line block ×9, first 2 shown]
	v_cmp_lt_u32_e64 s[2:3], 52, v0
	s_waitcnt vmcnt(0)
	ds_write_b64 v1, v[114:115]
	s_waitcnt lgkmcnt(0)
	; wave barrier
	s_and_saveexec_b64 s[4:5], s[2:3]
	s_cbranch_execz .LBB118_16
; %bb.11:
	s_andn2_b64 vcc, exec, s[6:7]
	s_cbranch_vccnz .LBB118_13
; %bb.12:
	scratch_load_dwordx2 v[114:115], v19, off
	ds_read_b64 v[116:117], v1
	s_waitcnt vmcnt(0) lgkmcnt(0)
	v_mul_f64 v[114:115], v[114:115], v[116:117]
	s_cbranch_execz .LBB118_14
	s_branch .LBB118_15
.LBB118_13:
                                        ; implicit-def: $vgpr114_vgpr115
.LBB118_14:
	ds_read_b64 v[114:115], v1
.LBB118_15:
	scratch_load_dwordx2 v[120:121], off, off offset:424
	v_mov_b32_e32 v116, 0
	ds_read2_b64 v[116:119], v116 offset0:52 offset1:109
	s_waitcnt vmcnt(0) lgkmcnt(0)
	v_fma_f64 v[118:119], v[120:121], v[118:119], v[114:115]
	v_cndmask_b32_e64 v115, v115, v119, s[0:1]
	v_cndmask_b32_e64 v114, v114, v118, s[0:1]
	v_mul_f64 v[114:115], v[114:115], v[116:117]
	scratch_store_dwordx2 off, v[114:115], off offset:416
.LBB118_16:
	s_or_b64 exec, exec, s[4:5]
	scratch_load_dwordx2 v[114:115], off, off offset:408
	v_cmp_lt_u32_e64 s[0:1], 51, v0
	s_waitcnt vmcnt(0)
	ds_write_b64 v1, v[114:115]
	s_waitcnt lgkmcnt(0)
	; wave barrier
	s_and_saveexec_b64 s[4:5], s[0:1]
	s_cbranch_execz .LBB118_26
; %bb.17:
	s_andn2_b64 vcc, exec, s[6:7]
	s_cbranch_vccnz .LBB118_19
; %bb.18:
	scratch_load_dwordx2 v[114:115], v19, off
	ds_read_b64 v[116:117], v1
	s_waitcnt vmcnt(0) lgkmcnt(0)
	v_mul_f64 v[114:115], v[114:115], v[116:117]
	s_cbranch_execz .LBB118_20
	s_branch .LBB118_21
.LBB118_19:
                                        ; implicit-def: $vgpr114_vgpr115
.LBB118_20:
	ds_read_b64 v[114:115], v1
.LBB118_21:
	s_and_saveexec_b64 s[8:9], s[2:3]
	s_cbranch_execz .LBB118_25
; %bb.22:
	v_subrev_u32_e32 v116, 52, v0
	s_movk_i32 s63, 0x360
	s_mov_b64 s[2:3], 0
.LBB118_23:                             ; =>This Inner Loop Header: Depth=1
	scratch_load_dwordx2 v[118:119], off, s62
	v_mov_b32_e32 v117, s63
	ds_read_b64 v[120:121], v117
	v_add_u32_e32 v116, -1, v116
	s_add_i32 s63, s63, 8
	s_add_i32 s62, s62, 8
	v_cmp_eq_u32_e32 vcc, 0, v116
	s_or_b64 s[2:3], vcc, s[2:3]
	s_waitcnt vmcnt(0) lgkmcnt(0)
	v_fmac_f64_e32 v[114:115], v[118:119], v[120:121]
	s_andn2_b64 exec, exec, s[2:3]
	s_cbranch_execnz .LBB118_23
; %bb.24:
	s_or_b64 exec, exec, s[2:3]
.LBB118_25:
	s_or_b64 exec, exec, s[8:9]
	v_mov_b32_e32 v116, 0
	ds_read_b64 v[116:117], v116 offset:408
	s_waitcnt lgkmcnt(0)
	v_mul_f64 v[114:115], v[114:115], v[116:117]
	scratch_store_dwordx2 off, v[114:115], off offset:408
.LBB118_26:
	s_or_b64 exec, exec, s[4:5]
	scratch_load_dwordx2 v[114:115], off, off offset:400
	v_cmp_lt_u32_e64 s[2:3], 50, v0
	s_waitcnt vmcnt(0)
	ds_write_b64 v1, v[114:115]
	s_waitcnt lgkmcnt(0)
	; wave barrier
	s_and_saveexec_b64 s[4:5], s[2:3]
	s_cbranch_execz .LBB118_36
; %bb.27:
	s_andn2_b64 vcc, exec, s[6:7]
	s_cbranch_vccnz .LBB118_29
; %bb.28:
	scratch_load_dwordx2 v[114:115], v19, off
	ds_read_b64 v[116:117], v1
	s_waitcnt vmcnt(0) lgkmcnt(0)
	v_mul_f64 v[114:115], v[114:115], v[116:117]
	s_cbranch_execz .LBB118_30
	s_branch .LBB118_31
.LBB118_29:
                                        ; implicit-def: $vgpr114_vgpr115
.LBB118_30:
	ds_read_b64 v[114:115], v1
.LBB118_31:
	s_and_saveexec_b64 s[8:9], s[0:1]
	s_cbranch_execz .LBB118_35
; %bb.32:
	v_subrev_u32_e32 v116, 51, v0
	s_movk_i32 s62, 0x358
	s_mov_b64 s[0:1], 0
.LBB118_33:                             ; =>This Inner Loop Header: Depth=1
	scratch_load_dwordx2 v[118:119], off, s61
	v_mov_b32_e32 v117, s62
	ds_read_b64 v[120:121], v117
	v_add_u32_e32 v116, -1, v116
	s_add_i32 s62, s62, 8
	s_add_i32 s61, s61, 8
	v_cmp_eq_u32_e32 vcc, 0, v116
	s_or_b64 s[0:1], vcc, s[0:1]
	s_waitcnt vmcnt(0) lgkmcnt(0)
	v_fmac_f64_e32 v[114:115], v[118:119], v[120:121]
	s_andn2_b64 exec, exec, s[0:1]
	s_cbranch_execnz .LBB118_33
; %bb.34:
	s_or_b64 exec, exec, s[0:1]
.LBB118_35:
	s_or_b64 exec, exec, s[8:9]
	v_mov_b32_e32 v116, 0
	ds_read_b64 v[116:117], v116 offset:400
	s_waitcnt lgkmcnt(0)
	v_mul_f64 v[114:115], v[114:115], v[116:117]
	scratch_store_dwordx2 off, v[114:115], off offset:400
.LBB118_36:
	;; [unrolled: 53-line block ×8, first 2 shown]
	s_or_b64 exec, exec, s[4:5]
	scratch_load_dwordx2 v[114:115], off, off offset:344
	v_cmp_lt_u32_e64 s[0:1], 43, v0
	s_waitcnt vmcnt(0)
	ds_write_b64 v1, v[114:115]
	s_waitcnt lgkmcnt(0)
	; wave barrier
	s_and_saveexec_b64 s[4:5], s[0:1]
	s_cbranch_execz .LBB118_106
; %bb.97:
	s_andn2_b64 vcc, exec, s[6:7]
	s_cbranch_vccnz .LBB118_99
; %bb.98:
	scratch_load_dwordx2 v[114:115], v19, off
	ds_read_b64 v[116:117], v1
	s_waitcnt vmcnt(0) lgkmcnt(0)
	v_mul_f64 v[114:115], v[114:115], v[116:117]
	s_cbranch_execz .LBB118_100
	s_branch .LBB118_101
.LBB118_99:
                                        ; implicit-def: $vgpr114_vgpr115
.LBB118_100:
	ds_read_b64 v[114:115], v1
.LBB118_101:
	s_and_saveexec_b64 s[8:9], s[2:3]
	s_cbranch_execz .LBB118_105
; %bb.102:
	v_subrev_u32_e32 v116, 44, v0
	s_movk_i32 s55, 0x320
	s_mov_b64 s[2:3], 0
.LBB118_103:                            ; =>This Inner Loop Header: Depth=1
	scratch_load_dwordx2 v[118:119], off, s54
	v_mov_b32_e32 v117, s55
	ds_read_b64 v[120:121], v117
	v_add_u32_e32 v116, -1, v116
	s_add_i32 s55, s55, 8
	s_add_i32 s54, s54, 8
	v_cmp_eq_u32_e32 vcc, 0, v116
	s_or_b64 s[2:3], vcc, s[2:3]
	s_waitcnt vmcnt(0) lgkmcnt(0)
	v_fmac_f64_e32 v[114:115], v[118:119], v[120:121]
	s_andn2_b64 exec, exec, s[2:3]
	s_cbranch_execnz .LBB118_103
; %bb.104:
	s_or_b64 exec, exec, s[2:3]
.LBB118_105:
	s_or_b64 exec, exec, s[8:9]
	v_mov_b32_e32 v116, 0
	ds_read_b64 v[116:117], v116 offset:344
	s_waitcnt lgkmcnt(0)
	v_mul_f64 v[114:115], v[114:115], v[116:117]
	scratch_store_dwordx2 off, v[114:115], off offset:344
.LBB118_106:
	s_or_b64 exec, exec, s[4:5]
	scratch_load_dwordx2 v[114:115], off, off offset:336
	v_cmp_lt_u32_e64 s[2:3], 42, v0
	s_waitcnt vmcnt(0)
	ds_write_b64 v1, v[114:115]
	s_waitcnt lgkmcnt(0)
	; wave barrier
	s_and_saveexec_b64 s[4:5], s[2:3]
	s_cbranch_execz .LBB118_116
; %bb.107:
	s_andn2_b64 vcc, exec, s[6:7]
	s_cbranch_vccnz .LBB118_109
; %bb.108:
	scratch_load_dwordx2 v[114:115], v19, off
	ds_read_b64 v[116:117], v1
	s_waitcnt vmcnt(0) lgkmcnt(0)
	v_mul_f64 v[114:115], v[114:115], v[116:117]
	s_cbranch_execz .LBB118_110
	s_branch .LBB118_111
.LBB118_109:
                                        ; implicit-def: $vgpr114_vgpr115
.LBB118_110:
	ds_read_b64 v[114:115], v1
.LBB118_111:
	s_and_saveexec_b64 s[8:9], s[0:1]
	s_cbranch_execz .LBB118_115
; %bb.112:
	v_subrev_u32_e32 v116, 43, v0
	s_movk_i32 s54, 0x318
	s_mov_b64 s[0:1], 0
.LBB118_113:                            ; =>This Inner Loop Header: Depth=1
	scratch_load_dwordx2 v[118:119], off, s53
	v_mov_b32_e32 v117, s54
	ds_read_b64 v[120:121], v117
	v_add_u32_e32 v116, -1, v116
	s_add_i32 s54, s54, 8
	s_add_i32 s53, s53, 8
	v_cmp_eq_u32_e32 vcc, 0, v116
	s_or_b64 s[0:1], vcc, s[0:1]
	s_waitcnt vmcnt(0) lgkmcnt(0)
	v_fmac_f64_e32 v[114:115], v[118:119], v[120:121]
	s_andn2_b64 exec, exec, s[0:1]
	s_cbranch_execnz .LBB118_113
; %bb.114:
	s_or_b64 exec, exec, s[0:1]
.LBB118_115:
	s_or_b64 exec, exec, s[8:9]
	v_mov_b32_e32 v116, 0
	ds_read_b64 v[116:117], v116 offset:336
	s_waitcnt lgkmcnt(0)
	v_mul_f64 v[114:115], v[114:115], v[116:117]
	scratch_store_dwordx2 off, v[114:115], off offset:336
.LBB118_116:
	;; [unrolled: 53-line block ×28, first 2 shown]
	s_or_b64 exec, exec, s[4:5]
	scratch_load_dwordx2 v[114:115], off, off offset:120
	v_cmp_lt_u32_e64 s[0:1], 15, v0
	s_waitcnt vmcnt(0)
	ds_write_b64 v1, v[114:115]
	s_waitcnt lgkmcnt(0)
	; wave barrier
	s_and_saveexec_b64 s[4:5], s[0:1]
	s_cbranch_execz .LBB118_386
; %bb.377:
	s_andn2_b64 vcc, exec, s[6:7]
	s_cbranch_vccnz .LBB118_379
; %bb.378:
	scratch_load_dwordx2 v[114:115], v19, off
	ds_read_b64 v[116:117], v1
	s_waitcnt vmcnt(0) lgkmcnt(0)
	v_mul_f64 v[114:115], v[114:115], v[116:117]
	s_cbranch_execz .LBB118_380
	s_branch .LBB118_381
.LBB118_379:
                                        ; implicit-def: $vgpr114_vgpr115
.LBB118_380:
	ds_read_b64 v[114:115], v1
.LBB118_381:
	s_and_saveexec_b64 s[8:9], s[2:3]
	s_cbranch_execz .LBB118_385
; %bb.382:
	v_add_u32_e32 v116, -16, v0
	s_movk_i32 s26, 0x240
	s_mov_b64 s[2:3], 0
.LBB118_383:                            ; =>This Inner Loop Header: Depth=1
	scratch_load_dwordx2 v[118:119], off, s25
	v_mov_b32_e32 v117, s26
	ds_read_b64 v[120:121], v117
	v_add_u32_e32 v116, -1, v116
	s_add_i32 s26, s26, 8
	s_add_i32 s25, s25, 8
	v_cmp_eq_u32_e32 vcc, 0, v116
	s_or_b64 s[2:3], vcc, s[2:3]
	s_waitcnt vmcnt(0) lgkmcnt(0)
	v_fmac_f64_e32 v[114:115], v[118:119], v[120:121]
	s_andn2_b64 exec, exec, s[2:3]
	s_cbranch_execnz .LBB118_383
; %bb.384:
	s_or_b64 exec, exec, s[2:3]
.LBB118_385:
	s_or_b64 exec, exec, s[8:9]
	v_mov_b32_e32 v116, 0
	ds_read_b64 v[116:117], v116 offset:120
	s_waitcnt lgkmcnt(0)
	v_mul_f64 v[114:115], v[114:115], v[116:117]
	scratch_store_dwordx2 off, v[114:115], off offset:120
.LBB118_386:
	s_or_b64 exec, exec, s[4:5]
	scratch_load_dwordx2 v[114:115], off, off offset:112
	v_cmp_lt_u32_e64 s[2:3], 14, v0
	s_waitcnt vmcnt(0)
	ds_write_b64 v1, v[114:115]
	s_waitcnt lgkmcnt(0)
	; wave barrier
	s_and_saveexec_b64 s[4:5], s[2:3]
	s_cbranch_execz .LBB118_396
; %bb.387:
	s_andn2_b64 vcc, exec, s[6:7]
	s_cbranch_vccnz .LBB118_389
; %bb.388:
	scratch_load_dwordx2 v[114:115], v19, off
	ds_read_b64 v[116:117], v1
	s_waitcnt vmcnt(0) lgkmcnt(0)
	v_mul_f64 v[114:115], v[114:115], v[116:117]
	s_cbranch_execz .LBB118_390
	s_branch .LBB118_391
.LBB118_389:
                                        ; implicit-def: $vgpr114_vgpr115
.LBB118_390:
	ds_read_b64 v[114:115], v1
.LBB118_391:
	s_and_saveexec_b64 s[8:9], s[0:1]
	s_cbranch_execz .LBB118_395
; %bb.392:
	v_add_u32_e32 v116, -15, v0
	s_movk_i32 s25, 0x238
	s_mov_b64 s[0:1], 0
.LBB118_393:                            ; =>This Inner Loop Header: Depth=1
	scratch_load_dwordx2 v[118:119], off, s24
	v_mov_b32_e32 v117, s25
	ds_read_b64 v[120:121], v117
	v_add_u32_e32 v116, -1, v116
	s_add_i32 s25, s25, 8
	s_add_i32 s24, s24, 8
	v_cmp_eq_u32_e32 vcc, 0, v116
	s_or_b64 s[0:1], vcc, s[0:1]
	s_waitcnt vmcnt(0) lgkmcnt(0)
	v_fmac_f64_e32 v[114:115], v[118:119], v[120:121]
	s_andn2_b64 exec, exec, s[0:1]
	s_cbranch_execnz .LBB118_393
; %bb.394:
	s_or_b64 exec, exec, s[0:1]
.LBB118_395:
	s_or_b64 exec, exec, s[8:9]
	v_mov_b32_e32 v116, 0
	ds_read_b64 v[116:117], v116 offset:112
	s_waitcnt lgkmcnt(0)
	v_mul_f64 v[114:115], v[114:115], v[116:117]
	scratch_store_dwordx2 off, v[114:115], off offset:112
.LBB118_396:
	;; [unrolled: 53-line block ×15, first 2 shown]
	s_or_b64 exec, exec, s[4:5]
	scratch_load_dwordx2 v[114:115], off, off
	v_cmp_ne_u32_e32 vcc, 0, v0
	s_waitcnt vmcnt(0)
	ds_write_b64 v1, v[114:115]
	s_waitcnt lgkmcnt(0)
	; wave barrier
	s_and_saveexec_b64 s[2:3], vcc
	s_cbranch_execz .LBB118_536
; %bb.527:
	s_andn2_b64 vcc, exec, s[6:7]
	s_cbranch_vccnz .LBB118_529
; %bb.528:
	scratch_load_dwordx2 v[114:115], v19, off
	ds_read_b64 v[116:117], v1
	s_waitcnt vmcnt(0) lgkmcnt(0)
	v_mul_f64 v[114:115], v[114:115], v[116:117]
	s_cbranch_execz .LBB118_530
	s_branch .LBB118_531
.LBB118_529:
                                        ; implicit-def: $vgpr114_vgpr115
.LBB118_530:
	ds_read_b64 v[114:115], v1
.LBB118_531:
	s_and_saveexec_b64 s[4:5], s[0:1]
	s_cbranch_execz .LBB118_535
; %bb.532:
	v_add_u32_e32 v116, -1, v0
	s_movk_i32 s8, 0x1c8
	s_mov_b64 s[0:1], 0
.LBB118_533:                            ; =>This Inner Loop Header: Depth=1
	scratch_load_dwordx2 v[118:119], off, s10
	v_mov_b32_e32 v117, s8
	ds_read_b64 v[120:121], v117
	v_add_u32_e32 v116, -1, v116
	s_add_i32 s8, s8, 8
	s_add_i32 s10, s10, 8
	v_cmp_eq_u32_e32 vcc, 0, v116
	s_or_b64 s[0:1], vcc, s[0:1]
	s_waitcnt vmcnt(0) lgkmcnt(0)
	v_fmac_f64_e32 v[114:115], v[118:119], v[120:121]
	s_andn2_b64 exec, exec, s[0:1]
	s_cbranch_execnz .LBB118_533
; %bb.534:
	s_or_b64 exec, exec, s[0:1]
.LBB118_535:
	s_or_b64 exec, exec, s[4:5]
	v_mov_b32_e32 v116, 0
	ds_read_b64 v[116:117], v116
	s_waitcnt lgkmcnt(0)
	v_mul_f64 v[114:115], v[114:115], v[116:117]
	scratch_store_dwordx2 off, v[114:115], off
.LBB118_536:
	s_or_b64 exec, exec, s[2:3]
	s_mov_b64 s[0:1], 0
.LBB118_537:
	s_and_b64 vcc, exec, s[0:1]
	s_cbranch_vccz .LBB118_1069
; %bb.538:
	scratch_load_dwordx2 v[114:115], off, off offset:8
	v_cmp_eq_u32_e64 s[2:3], 0, v0
	s_waitcnt vmcnt(0)
	ds_write_b64 v1, v[114:115]
	s_waitcnt lgkmcnt(0)
	; wave barrier
	s_and_saveexec_b64 s[0:1], s[2:3]
	s_cbranch_execz .LBB118_544
; %bb.539:
	s_and_b64 vcc, exec, s[6:7]
	s_cbranch_vccz .LBB118_541
; %bb.540:
	scratch_load_dwordx2 v[114:115], v19, off
	ds_read_b64 v[116:117], v1
	s_waitcnt vmcnt(0) lgkmcnt(0)
	v_mul_f64 v[114:115], v[114:115], v[116:117]
	s_cbranch_execz .LBB118_542
	s_branch .LBB118_543
.LBB118_541:
                                        ; implicit-def: $vgpr114_vgpr115
.LBB118_542:
	ds_read_b64 v[114:115], v1
.LBB118_543:
	v_mov_b32_e32 v116, 0
	ds_read_b64 v[116:117], v116 offset:8
	s_waitcnt lgkmcnt(0)
	v_mul_f64 v[114:115], v[114:115], v[116:117]
	scratch_store_dwordx2 off, v[114:115], off offset:8
.LBB118_544:
	s_or_b64 exec, exec, s[0:1]
	scratch_load_dwordx2 v[114:115], off, off offset:16
	v_cndmask_b32_e64 v116, 0, 1, s[6:7]
	v_cmp_gt_u32_e32 vcc, 2, v0
	v_cmp_ne_u32_e64 s[0:1], 1, v116
	s_waitcnt vmcnt(0)
	ds_write_b64 v1, v[114:115]
	s_waitcnt lgkmcnt(0)
	; wave barrier
	s_and_saveexec_b64 s[4:5], vcc
	s_cbranch_execz .LBB118_550
; %bb.545:
	s_and_b64 vcc, exec, s[0:1]
	s_cbranch_vccnz .LBB118_547
; %bb.546:
	scratch_load_dwordx2 v[114:115], v19, off
	ds_read_b64 v[116:117], v1
	s_waitcnt vmcnt(0) lgkmcnt(0)
	v_mul_f64 v[114:115], v[114:115], v[116:117]
	s_cbranch_execz .LBB118_548
	s_branch .LBB118_549
.LBB118_547:
                                        ; implicit-def: $vgpr114_vgpr115
.LBB118_548:
	ds_read_b64 v[114:115], v1
.LBB118_549:
	scratch_load_dwordx2 v[120:121], off, off offset:8
	v_mov_b32_e32 v116, 0
	ds_read2_b64 v[116:119], v116 offset0:2 offset1:57
	s_waitcnt vmcnt(0) lgkmcnt(0)
	v_fma_f64 v[118:119], v[120:121], v[118:119], v[114:115]
	v_cndmask_b32_e64 v115, v115, v119, s[2:3]
	v_cndmask_b32_e64 v114, v114, v118, s[2:3]
	v_mul_f64 v[114:115], v[114:115], v[116:117]
	scratch_store_dwordx2 off, v[114:115], off offset:16
.LBB118_550:
	s_or_b64 exec, exec, s[4:5]
	scratch_load_dwordx2 v[114:115], off, off offset:24
	v_cmp_gt_u32_e32 vcc, 3, v0
	s_waitcnt vmcnt(0)
	ds_write_b64 v1, v[114:115]
	s_waitcnt lgkmcnt(0)
	; wave barrier
	s_and_saveexec_b64 s[4:5], vcc
	s_cbranch_execz .LBB118_558
; %bb.551:
	s_and_b64 vcc, exec, s[0:1]
	s_cbranch_vccnz .LBB118_553
; %bb.552:
	scratch_load_dwordx2 v[114:115], v19, off
	ds_read_b64 v[116:117], v1
	s_waitcnt vmcnt(0) lgkmcnt(0)
	v_mul_f64 v[114:115], v[114:115], v[116:117]
	s_cbranch_execz .LBB118_554
	s_branch .LBB118_555
.LBB118_553:
                                        ; implicit-def: $vgpr114_vgpr115
.LBB118_554:
	ds_read_b64 v[114:115], v1
.LBB118_555:
	v_cmp_ne_u32_e32 vcc, 2, v0
	s_and_saveexec_b64 s[6:7], vcc
	s_cbranch_execz .LBB118_557
; %bb.556:
	scratch_load_dwordx2 v[116:117], v19, off offset:8
	scratch_load_dwordx2 v[118:119], off, off offset:16
	ds_read_b64 v[120:121], v1 offset:8
	v_mov_b32_e32 v122, 0
	ds_read_b64 v[122:123], v122 offset:464
	s_waitcnt vmcnt(1) lgkmcnt(1)
	v_fmac_f64_e32 v[114:115], v[116:117], v[120:121]
	s_waitcnt vmcnt(0) lgkmcnt(0)
	v_fma_f64 v[116:117], v[118:119], v[122:123], v[114:115]
	v_cndmask_b32_e64 v115, v115, v117, s[2:3]
	v_cndmask_b32_e64 v114, v114, v116, s[2:3]
.LBB118_557:
	s_or_b64 exec, exec, s[6:7]
	v_mov_b32_e32 v116, 0
	ds_read_b64 v[116:117], v116 offset:24
	s_waitcnt lgkmcnt(0)
	v_mul_f64 v[114:115], v[114:115], v[116:117]
	scratch_store_dwordx2 off, v[114:115], off offset:24
.LBB118_558:
	s_or_b64 exec, exec, s[4:5]
	scratch_load_dwordx2 v[114:115], off, off offset:32
	v_cmp_gt_u32_e32 vcc, 4, v0
	s_waitcnt vmcnt(0)
	ds_write_b64 v1, v[114:115]
	s_waitcnt lgkmcnt(0)
	; wave barrier
	s_and_saveexec_b64 s[2:3], vcc
	s_cbranch_execz .LBB118_568
; %bb.559:
	s_and_b64 vcc, exec, s[0:1]
	s_cbranch_vccnz .LBB118_561
; %bb.560:
	scratch_load_dwordx2 v[114:115], v19, off
	ds_read_b64 v[116:117], v1
	s_waitcnt vmcnt(0) lgkmcnt(0)
	v_mul_f64 v[114:115], v[114:115], v[116:117]
	s_cbranch_execz .LBB118_562
	s_branch .LBB118_563
.LBB118_561:
                                        ; implicit-def: $vgpr114_vgpr115
.LBB118_562:
	ds_read_b64 v[114:115], v1
.LBB118_563:
	v_cmp_ne_u32_e32 vcc, 3, v0
	s_and_saveexec_b64 s[4:5], vcc
	s_cbranch_execz .LBB118_567
; %bb.564:
	s_mov_b32 s6, 0
	v_add_u32_e32 v116, 0x1c8, v18
	v_add3_u32 v117, v18, s6, 8
	s_mov_b64 s[6:7], 0
	v_mov_b32_e32 v118, v0
.LBB118_565:                            ; =>This Inner Loop Header: Depth=1
	scratch_load_dwordx2 v[120:121], v117, off
	ds_read_b64 v[122:123], v116
	v_add_u32_e32 v118, 1, v118
	v_cmp_lt_u32_e32 vcc, 2, v118
	v_add_u32_e32 v116, 8, v116
	v_add_u32_e32 v117, 8, v117
	s_or_b64 s[6:7], vcc, s[6:7]
	s_waitcnt vmcnt(0) lgkmcnt(0)
	v_fmac_f64_e32 v[114:115], v[120:121], v[122:123]
	s_andn2_b64 exec, exec, s[6:7]
	s_cbranch_execnz .LBB118_565
; %bb.566:
	s_or_b64 exec, exec, s[6:7]
.LBB118_567:
	s_or_b64 exec, exec, s[4:5]
	v_mov_b32_e32 v116, 0
	ds_read_b64 v[116:117], v116 offset:32
	s_waitcnt lgkmcnt(0)
	v_mul_f64 v[114:115], v[114:115], v[116:117]
	scratch_store_dwordx2 off, v[114:115], off offset:32
.LBB118_568:
	s_or_b64 exec, exec, s[2:3]
	scratch_load_dwordx2 v[114:115], off, off offset:40
	v_cmp_gt_u32_e32 vcc, 5, v0
	s_waitcnt vmcnt(0)
	ds_write_b64 v1, v[114:115]
	s_waitcnt lgkmcnt(0)
	; wave barrier
	s_and_saveexec_b64 s[2:3], vcc
	s_cbranch_execz .LBB118_578
; %bb.569:
	s_and_b64 vcc, exec, s[0:1]
	s_cbranch_vccnz .LBB118_571
; %bb.570:
	scratch_load_dwordx2 v[114:115], v19, off
	ds_read_b64 v[116:117], v1
	s_waitcnt vmcnt(0) lgkmcnt(0)
	v_mul_f64 v[114:115], v[114:115], v[116:117]
	s_cbranch_execz .LBB118_572
	s_branch .LBB118_573
.LBB118_571:
                                        ; implicit-def: $vgpr114_vgpr115
.LBB118_572:
	ds_read_b64 v[114:115], v1
.LBB118_573:
	v_cmp_ne_u32_e32 vcc, 4, v0
	s_and_saveexec_b64 s[4:5], vcc
	s_cbranch_execz .LBB118_577
; %bb.574:
	s_mov_b32 s6, 0
	v_add_u32_e32 v116, 0x1c8, v18
	v_add3_u32 v117, v18, s6, 8
	s_mov_b64 s[6:7], 0
	v_mov_b32_e32 v118, v0
.LBB118_575:                            ; =>This Inner Loop Header: Depth=1
	scratch_load_dwordx2 v[120:121], v117, off
	ds_read_b64 v[122:123], v116
	v_add_u32_e32 v118, 1, v118
	v_cmp_lt_u32_e32 vcc, 3, v118
	v_add_u32_e32 v116, 8, v116
	v_add_u32_e32 v117, 8, v117
	s_or_b64 s[6:7], vcc, s[6:7]
	s_waitcnt vmcnt(0) lgkmcnt(0)
	v_fmac_f64_e32 v[114:115], v[120:121], v[122:123]
	s_andn2_b64 exec, exec, s[6:7]
	s_cbranch_execnz .LBB118_575
; %bb.576:
	s_or_b64 exec, exec, s[6:7]
.LBB118_577:
	s_or_b64 exec, exec, s[4:5]
	v_mov_b32_e32 v116, 0
	ds_read_b64 v[116:117], v116 offset:40
	s_waitcnt lgkmcnt(0)
	v_mul_f64 v[114:115], v[114:115], v[116:117]
	scratch_store_dwordx2 off, v[114:115], off offset:40
.LBB118_578:
	;; [unrolled: 55-line block ×44, first 2 shown]
	s_or_b64 exec, exec, s[2:3]
	scratch_load_dwordx2 v[114:115], off, off offset:384
	v_cmp_gt_u32_e32 vcc, 48, v0
	s_waitcnt vmcnt(0)
	ds_write_b64 v1, v[114:115]
	s_waitcnt lgkmcnt(0)
	; wave barrier
	s_and_saveexec_b64 s[2:3], vcc
	s_cbranch_execz .LBB118_1008
; %bb.999:
	s_and_b64 vcc, exec, s[0:1]
	s_cbranch_vccnz .LBB118_1001
; %bb.1000:
	scratch_load_dwordx2 v[114:115], v19, off
	ds_read_b64 v[116:117], v1
	s_waitcnt vmcnt(0) lgkmcnt(0)
	v_mul_f64 v[114:115], v[114:115], v[116:117]
	s_cbranch_execz .LBB118_1002
	s_branch .LBB118_1003
.LBB118_1001:
                                        ; implicit-def: $vgpr114_vgpr115
.LBB118_1002:
	ds_read_b64 v[114:115], v1
.LBB118_1003:
	v_cmp_ne_u32_e32 vcc, 47, v0
	s_and_saveexec_b64 s[4:5], vcc
	s_cbranch_execz .LBB118_1007
; %bb.1004:
	s_mov_b32 s6, 0
	v_add_u32_e32 v116, 0x1c8, v18
	v_add3_u32 v117, v18, s6, 8
	s_mov_b64 s[6:7], 0
	v_mov_b32_e32 v118, v0
.LBB118_1005:                           ; =>This Inner Loop Header: Depth=1
	scratch_load_dwordx2 v[120:121], v117, off
	ds_read_b64 v[122:123], v116
	v_add_u32_e32 v118, 1, v118
	v_cmp_lt_u32_e32 vcc, 46, v118
	v_add_u32_e32 v116, 8, v116
	v_add_u32_e32 v117, 8, v117
	s_or_b64 s[6:7], vcc, s[6:7]
	s_waitcnt vmcnt(0) lgkmcnt(0)
	v_fmac_f64_e32 v[114:115], v[120:121], v[122:123]
	s_andn2_b64 exec, exec, s[6:7]
	s_cbranch_execnz .LBB118_1005
; %bb.1006:
	s_or_b64 exec, exec, s[6:7]
.LBB118_1007:
	s_or_b64 exec, exec, s[4:5]
	v_mov_b32_e32 v116, 0
	ds_read_b64 v[116:117], v116 offset:384
	s_waitcnt lgkmcnt(0)
	v_mul_f64 v[114:115], v[114:115], v[116:117]
	scratch_store_dwordx2 off, v[114:115], off offset:384
.LBB118_1008:
	s_or_b64 exec, exec, s[2:3]
	scratch_load_dwordx2 v[114:115], off, off offset:392
	v_cmp_gt_u32_e32 vcc, 49, v0
	s_waitcnt vmcnt(0)
	ds_write_b64 v1, v[114:115]
	s_waitcnt lgkmcnt(0)
	; wave barrier
	s_and_saveexec_b64 s[2:3], vcc
	s_cbranch_execz .LBB118_1018
; %bb.1009:
	s_and_b64 vcc, exec, s[0:1]
	s_cbranch_vccnz .LBB118_1011
; %bb.1010:
	scratch_load_dwordx2 v[114:115], v19, off
	ds_read_b64 v[116:117], v1
	s_waitcnt vmcnt(0) lgkmcnt(0)
	v_mul_f64 v[114:115], v[114:115], v[116:117]
	s_cbranch_execz .LBB118_1012
	s_branch .LBB118_1013
.LBB118_1011:
                                        ; implicit-def: $vgpr114_vgpr115
.LBB118_1012:
	ds_read_b64 v[114:115], v1
.LBB118_1013:
	v_cmp_ne_u32_e32 vcc, 48, v0
	s_and_saveexec_b64 s[4:5], vcc
	s_cbranch_execz .LBB118_1017
; %bb.1014:
	s_mov_b32 s6, 0
	v_add_u32_e32 v116, 0x1c8, v18
	v_add3_u32 v117, v18, s6, 8
	s_mov_b64 s[6:7], 0
	v_mov_b32_e32 v118, v0
.LBB118_1015:                           ; =>This Inner Loop Header: Depth=1
	scratch_load_dwordx2 v[120:121], v117, off
	ds_read_b64 v[122:123], v116
	v_add_u32_e32 v118, 1, v118
	v_cmp_lt_u32_e32 vcc, 47, v118
	v_add_u32_e32 v116, 8, v116
	v_add_u32_e32 v117, 8, v117
	s_or_b64 s[6:7], vcc, s[6:7]
	s_waitcnt vmcnt(0) lgkmcnt(0)
	v_fmac_f64_e32 v[114:115], v[120:121], v[122:123]
	s_andn2_b64 exec, exec, s[6:7]
	s_cbranch_execnz .LBB118_1015
; %bb.1016:
	s_or_b64 exec, exec, s[6:7]
.LBB118_1017:
	s_or_b64 exec, exec, s[4:5]
	v_mov_b32_e32 v116, 0
	ds_read_b64 v[116:117], v116 offset:392
	s_waitcnt lgkmcnt(0)
	v_mul_f64 v[114:115], v[114:115], v[116:117]
	scratch_store_dwordx2 off, v[114:115], off offset:392
.LBB118_1018:
	;; [unrolled: 55-line block ×5, first 2 shown]
	s_or_b64 exec, exec, s[2:3]
	scratch_load_dwordx2 v[114:115], off, off offset:424
	v_cmp_gt_u32_e64 s[2:3], 53, v0
	s_waitcnt vmcnt(0)
	ds_write_b64 v1, v[114:115]
	s_waitcnt lgkmcnt(0)
	; wave barrier
	s_and_saveexec_b64 s[4:5], s[2:3]
	s_cbranch_execz .LBB118_1058
; %bb.1049:
	s_and_b64 vcc, exec, s[0:1]
	s_cbranch_vccnz .LBB118_1051
; %bb.1050:
	scratch_load_dwordx2 v[114:115], v19, off
	ds_read_b64 v[116:117], v1
	s_waitcnt vmcnt(0) lgkmcnt(0)
	v_mul_f64 v[114:115], v[114:115], v[116:117]
	s_cbranch_execz .LBB118_1052
	s_branch .LBB118_1053
.LBB118_1051:
                                        ; implicit-def: $vgpr114_vgpr115
.LBB118_1052:
	ds_read_b64 v[114:115], v1
.LBB118_1053:
	v_cmp_ne_u32_e32 vcc, 52, v0
	s_and_saveexec_b64 s[6:7], vcc
	s_cbranch_execz .LBB118_1057
; %bb.1054:
	s_mov_b32 s8, 0
	v_add_u32_e32 v116, 0x1c8, v18
	v_add3_u32 v117, v18, s8, 8
	s_mov_b64 s[8:9], 0
	v_mov_b32_e32 v118, v0
.LBB118_1055:                           ; =>This Inner Loop Header: Depth=1
	scratch_load_dwordx2 v[120:121], v117, off
	ds_read_b64 v[122:123], v116
	v_add_u32_e32 v118, 1, v118
	v_cmp_lt_u32_e32 vcc, 51, v118
	v_add_u32_e32 v116, 8, v116
	v_add_u32_e32 v117, 8, v117
	s_or_b64 s[8:9], vcc, s[8:9]
	s_waitcnt vmcnt(0) lgkmcnt(0)
	v_fmac_f64_e32 v[114:115], v[120:121], v[122:123]
	s_andn2_b64 exec, exec, s[8:9]
	s_cbranch_execnz .LBB118_1055
; %bb.1056:
	s_or_b64 exec, exec, s[8:9]
.LBB118_1057:
	s_or_b64 exec, exec, s[6:7]
	v_mov_b32_e32 v116, 0
	ds_read_b64 v[116:117], v116 offset:424
	s_waitcnt lgkmcnt(0)
	v_mul_f64 v[114:115], v[114:115], v[116:117]
	scratch_store_dwordx2 off, v[114:115], off offset:424
.LBB118_1058:
	s_or_b64 exec, exec, s[4:5]
	scratch_load_dwordx2 v[114:115], off, off offset:432
	v_cmp_ne_u32_e32 vcc, 54, v0
	s_waitcnt vmcnt(0)
	ds_write_b64 v1, v[114:115]
	s_waitcnt lgkmcnt(0)
	; wave barrier
	s_and_saveexec_b64 s[4:5], vcc
	s_cbranch_execz .LBB118_1068
; %bb.1059:
	s_and_b64 vcc, exec, s[0:1]
	s_cbranch_vccnz .LBB118_1061
; %bb.1060:
	scratch_load_dwordx2 v[114:115], v19, off
	ds_read_b64 v[116:117], v1
	s_waitcnt vmcnt(0) lgkmcnt(0)
	v_mul_f64 v[114:115], v[114:115], v[116:117]
	s_cbranch_execz .LBB118_1062
	s_branch .LBB118_1063
.LBB118_1061:
                                        ; implicit-def: $vgpr114_vgpr115
.LBB118_1062:
	ds_read_b64 v[114:115], v1
.LBB118_1063:
	s_and_saveexec_b64 s[0:1], s[2:3]
	s_cbranch_execz .LBB118_1067
; %bb.1064:
	s_mov_b32 s2, 0
	v_add_u32_e32 v1, 0x1c8, v18
	v_add3_u32 v18, v18, s2, 8
	s_mov_b64 s[2:3], 0
.LBB118_1065:                           ; =>This Inner Loop Header: Depth=1
	scratch_load_dwordx2 v[116:117], v18, off
	ds_read_b64 v[118:119], v1
	v_add_u32_e32 v0, 1, v0
	v_cmp_lt_u32_e32 vcc, 52, v0
	v_add_u32_e32 v1, 8, v1
	v_add_u32_e32 v18, 8, v18
	s_or_b64 s[2:3], vcc, s[2:3]
	s_waitcnt vmcnt(0) lgkmcnt(0)
	v_fmac_f64_e32 v[114:115], v[116:117], v[118:119]
	s_andn2_b64 exec, exec, s[2:3]
	s_cbranch_execnz .LBB118_1065
; %bb.1066:
	s_or_b64 exec, exec, s[2:3]
.LBB118_1067:
	s_or_b64 exec, exec, s[0:1]
	v_mov_b32_e32 v0, 0
	ds_read_b64 v[0:1], v0 offset:432
	s_waitcnt lgkmcnt(0)
	v_mul_f64 v[0:1], v[114:115], v[0:1]
	scratch_store_dwordx2 off, v[0:1], off offset:432
.LBB118_1068:
	s_or_b64 exec, exec, s[4:5]
.LBB118_1069:
	scratch_load_dwordx2 v[0:1], off, off
	s_waitcnt vmcnt(0)
	flat_store_dwordx2 v[2:3], v[0:1]
	scratch_load_dwordx2 v[0:1], off, off offset:8
	s_waitcnt vmcnt(0)
	flat_store_dwordx2 v[4:5], v[0:1]
	scratch_load_dwordx2 v[0:1], off, off offset:16
	;; [unrolled: 3-line block ×54, first 2 shown]
	s_waitcnt vmcnt(0)
	flat_store_dwordx2 v[112:113], v[0:1]
.LBB118_1070:
	s_endpgm
	.section	.rodata,"a",@progbits
	.p2align	6, 0x0
	.amdhsa_kernel _ZN9rocsolver6v33100L18trti2_kernel_smallILi55EdPKPdEEv13rocblas_fill_17rocblas_diagonal_T1_iil
		.amdhsa_group_segment_fixed_size 888
		.amdhsa_private_segment_fixed_size 448
		.amdhsa_kernarg_size 32
		.amdhsa_user_sgpr_count 2
		.amdhsa_user_sgpr_dispatch_ptr 0
		.amdhsa_user_sgpr_queue_ptr 0
		.amdhsa_user_sgpr_kernarg_segment_ptr 1
		.amdhsa_user_sgpr_dispatch_id 0
		.amdhsa_user_sgpr_kernarg_preload_length 0
		.amdhsa_user_sgpr_kernarg_preload_offset 0
		.amdhsa_user_sgpr_private_segment_size 0
		.amdhsa_uses_dynamic_stack 0
		.amdhsa_enable_private_segment 1
		.amdhsa_system_sgpr_workgroup_id_x 1
		.amdhsa_system_sgpr_workgroup_id_y 0
		.amdhsa_system_sgpr_workgroup_id_z 0
		.amdhsa_system_sgpr_workgroup_info 0
		.amdhsa_system_vgpr_workitem_id 0
		.amdhsa_next_free_vgpr 124
		.amdhsa_next_free_sgpr 64
		.amdhsa_accum_offset 124
		.amdhsa_reserve_vcc 1
		.amdhsa_float_round_mode_32 0
		.amdhsa_float_round_mode_16_64 0
		.amdhsa_float_denorm_mode_32 3
		.amdhsa_float_denorm_mode_16_64 3
		.amdhsa_dx10_clamp 1
		.amdhsa_ieee_mode 1
		.amdhsa_fp16_overflow 0
		.amdhsa_tg_split 0
		.amdhsa_exception_fp_ieee_invalid_op 0
		.amdhsa_exception_fp_denorm_src 0
		.amdhsa_exception_fp_ieee_div_zero 0
		.amdhsa_exception_fp_ieee_overflow 0
		.amdhsa_exception_fp_ieee_underflow 0
		.amdhsa_exception_fp_ieee_inexact 0
		.amdhsa_exception_int_div_zero 0
	.end_amdhsa_kernel
	.section	.text._ZN9rocsolver6v33100L18trti2_kernel_smallILi55EdPKPdEEv13rocblas_fill_17rocblas_diagonal_T1_iil,"axG",@progbits,_ZN9rocsolver6v33100L18trti2_kernel_smallILi55EdPKPdEEv13rocblas_fill_17rocblas_diagonal_T1_iil,comdat
.Lfunc_end118:
	.size	_ZN9rocsolver6v33100L18trti2_kernel_smallILi55EdPKPdEEv13rocblas_fill_17rocblas_diagonal_T1_iil, .Lfunc_end118-_ZN9rocsolver6v33100L18trti2_kernel_smallILi55EdPKPdEEv13rocblas_fill_17rocblas_diagonal_T1_iil
                                        ; -- End function
	.set _ZN9rocsolver6v33100L18trti2_kernel_smallILi55EdPKPdEEv13rocblas_fill_17rocblas_diagonal_T1_iil.num_vgpr, 124
	.set _ZN9rocsolver6v33100L18trti2_kernel_smallILi55EdPKPdEEv13rocblas_fill_17rocblas_diagonal_T1_iil.num_agpr, 0
	.set _ZN9rocsolver6v33100L18trti2_kernel_smallILi55EdPKPdEEv13rocblas_fill_17rocblas_diagonal_T1_iil.numbered_sgpr, 64
	.set _ZN9rocsolver6v33100L18trti2_kernel_smallILi55EdPKPdEEv13rocblas_fill_17rocblas_diagonal_T1_iil.num_named_barrier, 0
	.set _ZN9rocsolver6v33100L18trti2_kernel_smallILi55EdPKPdEEv13rocblas_fill_17rocblas_diagonal_T1_iil.private_seg_size, 448
	.set _ZN9rocsolver6v33100L18trti2_kernel_smallILi55EdPKPdEEv13rocblas_fill_17rocblas_diagonal_T1_iil.uses_vcc, 1
	.set _ZN9rocsolver6v33100L18trti2_kernel_smallILi55EdPKPdEEv13rocblas_fill_17rocblas_diagonal_T1_iil.uses_flat_scratch, 0
	.set _ZN9rocsolver6v33100L18trti2_kernel_smallILi55EdPKPdEEv13rocblas_fill_17rocblas_diagonal_T1_iil.has_dyn_sized_stack, 0
	.set _ZN9rocsolver6v33100L18trti2_kernel_smallILi55EdPKPdEEv13rocblas_fill_17rocblas_diagonal_T1_iil.has_recursion, 0
	.set _ZN9rocsolver6v33100L18trti2_kernel_smallILi55EdPKPdEEv13rocblas_fill_17rocblas_diagonal_T1_iil.has_indirect_call, 0
	.section	.AMDGPU.csdata,"",@progbits
; Kernel info:
; codeLenInByte = 26792
; TotalNumSgprs: 70
; NumVgprs: 124
; NumAgprs: 0
; TotalNumVgprs: 124
; ScratchSize: 448
; MemoryBound: 0
; FloatMode: 240
; IeeeMode: 1
; LDSByteSize: 888 bytes/workgroup (compile time only)
; SGPRBlocks: 8
; VGPRBlocks: 15
; NumSGPRsForWavesPerEU: 70
; NumVGPRsForWavesPerEU: 124
; AccumOffset: 124
; Occupancy: 4
; WaveLimiterHint : 1
; COMPUTE_PGM_RSRC2:SCRATCH_EN: 1
; COMPUTE_PGM_RSRC2:USER_SGPR: 2
; COMPUTE_PGM_RSRC2:TRAP_HANDLER: 0
; COMPUTE_PGM_RSRC2:TGID_X_EN: 1
; COMPUTE_PGM_RSRC2:TGID_Y_EN: 0
; COMPUTE_PGM_RSRC2:TGID_Z_EN: 0
; COMPUTE_PGM_RSRC2:TIDIG_COMP_CNT: 0
; COMPUTE_PGM_RSRC3_GFX90A:ACCUM_OFFSET: 30
; COMPUTE_PGM_RSRC3_GFX90A:TG_SPLIT: 0
	.section	.text._ZN9rocsolver6v33100L18trti2_kernel_smallILi56EdPKPdEEv13rocblas_fill_17rocblas_diagonal_T1_iil,"axG",@progbits,_ZN9rocsolver6v33100L18trti2_kernel_smallILi56EdPKPdEEv13rocblas_fill_17rocblas_diagonal_T1_iil,comdat
	.globl	_ZN9rocsolver6v33100L18trti2_kernel_smallILi56EdPKPdEEv13rocblas_fill_17rocblas_diagonal_T1_iil ; -- Begin function _ZN9rocsolver6v33100L18trti2_kernel_smallILi56EdPKPdEEv13rocblas_fill_17rocblas_diagonal_T1_iil
	.p2align	8
	.type	_ZN9rocsolver6v33100L18trti2_kernel_smallILi56EdPKPdEEv13rocblas_fill_17rocblas_diagonal_T1_iil,@function
_ZN9rocsolver6v33100L18trti2_kernel_smallILi56EdPKPdEEv13rocblas_fill_17rocblas_diagonal_T1_iil: ; @_ZN9rocsolver6v33100L18trti2_kernel_smallILi56EdPKPdEEv13rocblas_fill_17rocblas_diagonal_T1_iil
; %bb.0:
	v_cmp_gt_u32_e32 vcc, 56, v0
	s_and_saveexec_b64 s[4:5], vcc
	s_cbranch_execz .LBB119_1090
; %bb.1:
	s_load_dwordx2 s[8:9], s[0:1], 0x10
	s_load_dwordx4 s[4:7], s[0:1], 0x0
	s_ashr_i32 s3, s2, 31
	s_lshl_b64 s[0:1], s[2:3], 3
	v_lshlrev_b32_e32 v18, 3, v0
	s_waitcnt lgkmcnt(0)
	s_ashr_i32 s3, s8, 31
	s_add_u32 s0, s6, s0
	s_addc_u32 s1, s7, s1
	s_load_dwordx2 s[0:1], s[0:1], 0x0
	s_mov_b32 s2, s8
	s_lshl_b64 s[2:3], s[2:3], 3
	v_mov_b32_e32 v19, 0
	s_waitcnt lgkmcnt(0)
	s_add_u32 s0, s0, s2
	s_addc_u32 s1, s1, s3
	v_lshl_add_u64 v[2:3], s[0:1], 0, v[18:19]
	flat_load_dwordx2 v[6:7], v[2:3]
	s_mov_b32 s2, s9
	s_ashr_i32 s3, s9, 31
	v_lshl_add_u64 v[4:5], s[2:3], 3, v[2:3]
	s_add_i32 s2, s9, s9
	v_add_u32_e32 v10, s2, v0
	v_ashrrev_i32_e32 v11, 31, v10
	s_cmpk_lg_i32 s5, 0x84
	s_cselect_b64 s[6:7], -1, 0
	s_cmpk_eq_i32 s5, 0x84
	s_waitcnt vmcnt(0) lgkmcnt(0)
	scratch_store_dwordx2 off, v[6:7], off
	flat_load_dwordx2 v[8:9], v[4:5]
	v_lshl_add_u64 v[6:7], v[10:11], 3, s[0:1]
	v_add_u32_e32 v10, s9, v10
	v_ashrrev_i32_e32 v11, 31, v10
	v_add_u32_e32 v14, s9, v10
	v_ashrrev_i32_e32 v15, 31, v14
	s_waitcnt vmcnt(0) lgkmcnt(0)
	scratch_store_dwordx2 off, v[8:9], off offset:8
	flat_load_dwordx2 v[12:13], v[6:7]
	v_lshl_add_u64 v[8:9], v[10:11], 3, s[0:1]
	v_lshl_add_u64 v[10:11], v[14:15], 3, s[0:1]
	v_add_u32_e32 v14, s9, v14
	v_ashrrev_i32_e32 v15, 31, v14
	v_add_u32_e32 v20, s9, v14
	v_ashrrev_i32_e32 v21, 31, v20
	s_waitcnt vmcnt(0) lgkmcnt(0)
	scratch_store_dwordx2 off, v[12:13], off offset:16
	flat_load_dwordx2 v[12:13], v[8:9]
	s_waitcnt vmcnt(0) lgkmcnt(0)
	scratch_store_dwordx2 off, v[12:13], off offset:24
	flat_load_dwordx2 v[16:17], v[10:11]
	v_lshl_add_u64 v[12:13], v[14:15], 3, s[0:1]
	v_lshl_add_u64 v[14:15], v[20:21], 3, s[0:1]
	v_add_u32_e32 v20, s9, v20
	v_ashrrev_i32_e32 v21, 31, v20
	v_add_u32_e32 v24, s9, v20
	v_ashrrev_i32_e32 v25, 31, v24
	s_waitcnt vmcnt(0) lgkmcnt(0)
	scratch_store_dwordx2 off, v[16:17], off offset:32
	flat_load_dwordx2 v[16:17], v[12:13]
	;; [unrolled: 12-line block ×25, first 2 shown]
	s_waitcnt vmcnt(0) lgkmcnt(0)
	scratch_store_dwordx2 off, v[110:111], off offset:408
	flat_load_dwordx2 v[114:115], v[108:109]
	v_lshl_add_u64 v[110:111], v[112:113], 3, s[0:1]
	v_lshl_add_u64 v[112:113], v[116:117], 3, s[0:1]
	s_waitcnt vmcnt(0) lgkmcnt(0)
	scratch_store_dwordx2 off, v[114:115], off offset:416
	flat_load_dwordx2 v[114:115], v[110:111]
	s_waitcnt vmcnt(0) lgkmcnt(0)
	scratch_store_dwordx2 off, v[114:115], off offset:424
	flat_load_dwordx2 v[118:119], v[112:113]
	v_add_u32_e32 v114, s9, v116
	v_ashrrev_i32_e32 v115, 31, v114
	v_lshl_add_u64 v[114:115], v[114:115], 3, s[0:1]
	s_waitcnt vmcnt(0) lgkmcnt(0)
	scratch_store_dwordx2 off, v[118:119], off offset:432
	flat_load_dwordx2 v[116:117], v[114:115]
	s_waitcnt vmcnt(0) lgkmcnt(0)
	scratch_store_dwordx2 off, v[116:117], off offset:440
	v_mov_b64_e32 v[116:117], -1.0
	s_cbranch_scc1 .LBB119_3
; %bb.2:
	scratch_load_dwordx2 v[116:117], v18, off
	s_waitcnt vmcnt(0)
	v_div_scale_f64 v[118:119], s[0:1], v[116:117], v[116:117], 1.0
	v_rcp_f64_e32 v[120:121], v[118:119]
	v_div_scale_f64 v[122:123], vcc, 1.0, v[116:117], 1.0
	v_fma_f64 v[124:125], -v[118:119], v[120:121], 1.0
	v_fmac_f64_e32 v[120:121], v[120:121], v[124:125]
	v_fma_f64 v[124:125], -v[118:119], v[120:121], 1.0
	v_fmac_f64_e32 v[120:121], v[120:121], v[124:125]
	v_mul_f64 v[124:125], v[122:123], v[120:121]
	v_fma_f64 v[118:119], -v[118:119], v[124:125], v[122:123]
	v_div_fmas_f64 v[118:119], v[118:119], v[120:121], v[124:125]
	v_div_fixup_f64 v[116:117], v[118:119], v[116:117], 1.0
	scratch_store_dwordx2 v18, v[116:117], off
	v_xor_b32_e32 v117, 0x80000000, v117
.LBB119_3:
	s_cmpk_eq_i32 s4, 0x79
	v_add_u32_e32 v1, 0x1c0, v18
	v_mov_b32_e32 v19, v18
	s_mov_b64 s[0:1], -1
	ds_write_b64 v18, v[116:117]
	s_cbranch_scc1 .LBB119_547
; %bb.4:
	scratch_load_dwordx2 v[116:117], off, off offset:432
	s_movk_i32 s8, 0x48
	s_movk_i32 s9, 0x50
	;; [unrolled: 1-line block ×45, first 2 shown]
	v_cmp_eq_u32_e64 s[0:1], 55, v0
	s_waitcnt vmcnt(0)
	ds_write_b64 v1, v[116:117]
	s_waitcnt lgkmcnt(0)
	; wave barrier
	s_and_saveexec_b64 s[2:3], s[0:1]
	s_cbranch_execz .LBB119_10
; %bb.5:
	s_and_b64 vcc, exec, s[6:7]
	s_cbranch_vccz .LBB119_7
; %bb.6:
	scratch_load_dwordx2 v[116:117], v19, off
	ds_read_b64 v[118:119], v1
	s_waitcnt vmcnt(0) lgkmcnt(0)
	v_mul_f64 v[116:117], v[116:117], v[118:119]
	s_cbranch_execz .LBB119_8
	s_branch .LBB119_9
.LBB119_7:
                                        ; implicit-def: $vgpr116_vgpr117
.LBB119_8:
	ds_read_b64 v[116:117], v1
.LBB119_9:
	v_mov_b32_e32 v118, 0
	ds_read_b64 v[118:119], v118 offset:432
	s_waitcnt lgkmcnt(0)
	v_mul_f64 v[116:117], v[116:117], v[118:119]
	scratch_store_dwordx2 off, v[116:117], off offset:432
.LBB119_10:
	s_or_b64 exec, exec, s[2:3]
	scratch_load_dwordx2 v[116:117], off, off offset:424
	s_or_b32 s10, 0, 8
	s_mov_b32 s11, 16
	s_mov_b32 s12, 24
	;; [unrolled: 1-line block ×9, first 2 shown]
	v_cmp_lt_u32_e64 s[2:3], 53, v0
	s_waitcnt vmcnt(0)
	ds_write_b64 v1, v[116:117]
	s_waitcnt lgkmcnt(0)
	; wave barrier
	s_and_saveexec_b64 s[4:5], s[2:3]
	s_cbranch_execz .LBB119_16
; %bb.11:
	s_andn2_b64 vcc, exec, s[6:7]
	s_cbranch_vccnz .LBB119_13
; %bb.12:
	scratch_load_dwordx2 v[116:117], v19, off
	ds_read_b64 v[118:119], v1
	s_waitcnt vmcnt(0) lgkmcnt(0)
	v_mul_f64 v[116:117], v[116:117], v[118:119]
	s_cbranch_execz .LBB119_14
	s_branch .LBB119_15
.LBB119_13:
                                        ; implicit-def: $vgpr116_vgpr117
.LBB119_14:
	ds_read_b64 v[116:117], v1
.LBB119_15:
	scratch_load_dwordx2 v[122:123], off, off offset:432
	v_mov_b32_e32 v118, 0
	ds_read2_b64 v[118:121], v118 offset0:53 offset1:110
	s_waitcnt vmcnt(0) lgkmcnt(0)
	v_fma_f64 v[120:121], v[122:123], v[120:121], v[116:117]
	v_cndmask_b32_e64 v117, v117, v121, s[0:1]
	v_cndmask_b32_e64 v116, v116, v120, s[0:1]
	v_mul_f64 v[116:117], v[116:117], v[118:119]
	scratch_store_dwordx2 off, v[116:117], off offset:424
.LBB119_16:
	s_or_b64 exec, exec, s[4:5]
	scratch_load_dwordx2 v[116:117], off, off offset:416
	v_cmp_lt_u32_e64 s[0:1], 52, v0
	s_waitcnt vmcnt(0)
	ds_write_b64 v1, v[116:117]
	s_waitcnt lgkmcnt(0)
	; wave barrier
	s_and_saveexec_b64 s[4:5], s[0:1]
	s_cbranch_execz .LBB119_26
; %bb.17:
	s_andn2_b64 vcc, exec, s[6:7]
	s_cbranch_vccnz .LBB119_19
; %bb.18:
	scratch_load_dwordx2 v[116:117], v19, off
	ds_read_b64 v[118:119], v1
	s_waitcnt vmcnt(0) lgkmcnt(0)
	v_mul_f64 v[116:117], v[116:117], v[118:119]
	s_cbranch_execz .LBB119_20
	s_branch .LBB119_21
.LBB119_19:
                                        ; implicit-def: $vgpr116_vgpr117
.LBB119_20:
	ds_read_b64 v[116:117], v1
.LBB119_21:
	s_and_saveexec_b64 s[8:9], s[2:3]
	s_cbranch_execz .LBB119_25
; %bb.22:
	v_subrev_u32_e32 v118, 53, v0
	s_movk_i32 s64, 0x368
	s_mov_b64 s[2:3], 0
.LBB119_23:                             ; =>This Inner Loop Header: Depth=1
	scratch_load_dwordx2 v[120:121], off, s63
	v_mov_b32_e32 v119, s64
	ds_read_b64 v[122:123], v119
	v_add_u32_e32 v118, -1, v118
	s_add_i32 s64, s64, 8
	s_add_i32 s63, s63, 8
	v_cmp_eq_u32_e32 vcc, 0, v118
	s_or_b64 s[2:3], vcc, s[2:3]
	s_waitcnt vmcnt(0) lgkmcnt(0)
	v_fmac_f64_e32 v[116:117], v[120:121], v[122:123]
	s_andn2_b64 exec, exec, s[2:3]
	s_cbranch_execnz .LBB119_23
; %bb.24:
	s_or_b64 exec, exec, s[2:3]
.LBB119_25:
	s_or_b64 exec, exec, s[8:9]
	v_mov_b32_e32 v118, 0
	ds_read_b64 v[118:119], v118 offset:416
	s_waitcnt lgkmcnt(0)
	v_mul_f64 v[116:117], v[116:117], v[118:119]
	scratch_store_dwordx2 off, v[116:117], off offset:416
.LBB119_26:
	s_or_b64 exec, exec, s[4:5]
	scratch_load_dwordx2 v[116:117], off, off offset:408
	v_cmp_lt_u32_e64 s[2:3], 51, v0
	s_waitcnt vmcnt(0)
	ds_write_b64 v1, v[116:117]
	s_waitcnt lgkmcnt(0)
	; wave barrier
	s_and_saveexec_b64 s[4:5], s[2:3]
	s_cbranch_execz .LBB119_36
; %bb.27:
	s_andn2_b64 vcc, exec, s[6:7]
	s_cbranch_vccnz .LBB119_29
; %bb.28:
	scratch_load_dwordx2 v[116:117], v19, off
	ds_read_b64 v[118:119], v1
	s_waitcnt vmcnt(0) lgkmcnt(0)
	v_mul_f64 v[116:117], v[116:117], v[118:119]
	s_cbranch_execz .LBB119_30
	s_branch .LBB119_31
.LBB119_29:
                                        ; implicit-def: $vgpr116_vgpr117
.LBB119_30:
	ds_read_b64 v[116:117], v1
.LBB119_31:
	s_and_saveexec_b64 s[8:9], s[0:1]
	s_cbranch_execz .LBB119_35
; %bb.32:
	v_subrev_u32_e32 v118, 52, v0
	s_movk_i32 s63, 0x360
	s_mov_b64 s[0:1], 0
.LBB119_33:                             ; =>This Inner Loop Header: Depth=1
	scratch_load_dwordx2 v[120:121], off, s62
	v_mov_b32_e32 v119, s63
	ds_read_b64 v[122:123], v119
	v_add_u32_e32 v118, -1, v118
	s_add_i32 s63, s63, 8
	s_add_i32 s62, s62, 8
	v_cmp_eq_u32_e32 vcc, 0, v118
	s_or_b64 s[0:1], vcc, s[0:1]
	s_waitcnt vmcnt(0) lgkmcnt(0)
	v_fmac_f64_e32 v[116:117], v[120:121], v[122:123]
	s_andn2_b64 exec, exec, s[0:1]
	s_cbranch_execnz .LBB119_33
; %bb.34:
	s_or_b64 exec, exec, s[0:1]
.LBB119_35:
	s_or_b64 exec, exec, s[8:9]
	v_mov_b32_e32 v118, 0
	ds_read_b64 v[118:119], v118 offset:408
	s_waitcnt lgkmcnt(0)
	v_mul_f64 v[116:117], v[116:117], v[118:119]
	scratch_store_dwordx2 off, v[116:117], off offset:408
.LBB119_36:
	s_or_b64 exec, exec, s[4:5]
	scratch_load_dwordx2 v[116:117], off, off offset:400
	v_cmp_lt_u32_e64 s[0:1], 50, v0
	s_waitcnt vmcnt(0)
	ds_write_b64 v1, v[116:117]
	s_waitcnt lgkmcnt(0)
	; wave barrier
	s_and_saveexec_b64 s[4:5], s[0:1]
	s_cbranch_execz .LBB119_46
; %bb.37:
	s_andn2_b64 vcc, exec, s[6:7]
	s_cbranch_vccnz .LBB119_39
; %bb.38:
	scratch_load_dwordx2 v[116:117], v19, off
	ds_read_b64 v[118:119], v1
	s_waitcnt vmcnt(0) lgkmcnt(0)
	v_mul_f64 v[116:117], v[116:117], v[118:119]
	s_cbranch_execz .LBB119_40
	s_branch .LBB119_41
.LBB119_39:
                                        ; implicit-def: $vgpr116_vgpr117
.LBB119_40:
	ds_read_b64 v[116:117], v1
.LBB119_41:
	s_and_saveexec_b64 s[8:9], s[2:3]
	s_cbranch_execz .LBB119_45
; %bb.42:
	v_subrev_u32_e32 v118, 51, v0
	s_movk_i32 s62, 0x358
	s_mov_b64 s[2:3], 0
.LBB119_43:                             ; =>This Inner Loop Header: Depth=1
	scratch_load_dwordx2 v[120:121], off, s61
	v_mov_b32_e32 v119, s62
	ds_read_b64 v[122:123], v119
	v_add_u32_e32 v118, -1, v118
	s_add_i32 s62, s62, 8
	s_add_i32 s61, s61, 8
	v_cmp_eq_u32_e32 vcc, 0, v118
	s_or_b64 s[2:3], vcc, s[2:3]
	s_waitcnt vmcnt(0) lgkmcnt(0)
	v_fmac_f64_e32 v[116:117], v[120:121], v[122:123]
	s_andn2_b64 exec, exec, s[2:3]
	s_cbranch_execnz .LBB119_43
; %bb.44:
	s_or_b64 exec, exec, s[2:3]
.LBB119_45:
	s_or_b64 exec, exec, s[8:9]
	v_mov_b32_e32 v118, 0
	ds_read_b64 v[118:119], v118 offset:400
	s_waitcnt lgkmcnt(0)
	v_mul_f64 v[116:117], v[116:117], v[118:119]
	scratch_store_dwordx2 off, v[116:117], off offset:400
.LBB119_46:
	s_or_b64 exec, exec, s[4:5]
	scratch_load_dwordx2 v[116:117], off, off offset:392
	v_cmp_lt_u32_e64 s[2:3], 49, v0
	s_waitcnt vmcnt(0)
	ds_write_b64 v1, v[116:117]
	s_waitcnt lgkmcnt(0)
	; wave barrier
	s_and_saveexec_b64 s[4:5], s[2:3]
	s_cbranch_execz .LBB119_56
; %bb.47:
	s_andn2_b64 vcc, exec, s[6:7]
	s_cbranch_vccnz .LBB119_49
; %bb.48:
	scratch_load_dwordx2 v[116:117], v19, off
	ds_read_b64 v[118:119], v1
	s_waitcnt vmcnt(0) lgkmcnt(0)
	v_mul_f64 v[116:117], v[116:117], v[118:119]
	s_cbranch_execz .LBB119_50
	s_branch .LBB119_51
.LBB119_49:
                                        ; implicit-def: $vgpr116_vgpr117
.LBB119_50:
	ds_read_b64 v[116:117], v1
.LBB119_51:
	s_and_saveexec_b64 s[8:9], s[0:1]
	s_cbranch_execz .LBB119_55
; %bb.52:
	v_subrev_u32_e32 v118, 50, v0
	s_movk_i32 s61, 0x350
	s_mov_b64 s[0:1], 0
.LBB119_53:                             ; =>This Inner Loop Header: Depth=1
	scratch_load_dwordx2 v[120:121], off, s60
	v_mov_b32_e32 v119, s61
	ds_read_b64 v[122:123], v119
	v_add_u32_e32 v118, -1, v118
	s_add_i32 s61, s61, 8
	s_add_i32 s60, s60, 8
	v_cmp_eq_u32_e32 vcc, 0, v118
	s_or_b64 s[0:1], vcc, s[0:1]
	s_waitcnt vmcnt(0) lgkmcnt(0)
	v_fmac_f64_e32 v[116:117], v[120:121], v[122:123]
	s_andn2_b64 exec, exec, s[0:1]
	s_cbranch_execnz .LBB119_53
; %bb.54:
	s_or_b64 exec, exec, s[0:1]
.LBB119_55:
	s_or_b64 exec, exec, s[8:9]
	v_mov_b32_e32 v118, 0
	ds_read_b64 v[118:119], v118 offset:392
	s_waitcnt lgkmcnt(0)
	v_mul_f64 v[116:117], v[116:117], v[118:119]
	scratch_store_dwordx2 off, v[116:117], off offset:392
.LBB119_56:
	s_or_b64 exec, exec, s[4:5]
	scratch_load_dwordx2 v[116:117], off, off offset:384
	v_cmp_lt_u32_e64 s[0:1], 48, v0
	s_waitcnt vmcnt(0)
	ds_write_b64 v1, v[116:117]
	s_waitcnt lgkmcnt(0)
	; wave barrier
	s_and_saveexec_b64 s[4:5], s[0:1]
	s_cbranch_execz .LBB119_66
; %bb.57:
	s_andn2_b64 vcc, exec, s[6:7]
	s_cbranch_vccnz .LBB119_59
; %bb.58:
	scratch_load_dwordx2 v[116:117], v19, off
	ds_read_b64 v[118:119], v1
	s_waitcnt vmcnt(0) lgkmcnt(0)
	v_mul_f64 v[116:117], v[116:117], v[118:119]
	s_cbranch_execz .LBB119_60
	s_branch .LBB119_61
.LBB119_59:
                                        ; implicit-def: $vgpr116_vgpr117
.LBB119_60:
	ds_read_b64 v[116:117], v1
.LBB119_61:
	s_and_saveexec_b64 s[8:9], s[2:3]
	s_cbranch_execz .LBB119_65
; %bb.62:
	v_subrev_u32_e32 v118, 49, v0
	s_movk_i32 s60, 0x348
	s_mov_b64 s[2:3], 0
.LBB119_63:                             ; =>This Inner Loop Header: Depth=1
	scratch_load_dwordx2 v[120:121], off, s59
	v_mov_b32_e32 v119, s60
	ds_read_b64 v[122:123], v119
	v_add_u32_e32 v118, -1, v118
	s_add_i32 s60, s60, 8
	s_add_i32 s59, s59, 8
	v_cmp_eq_u32_e32 vcc, 0, v118
	s_or_b64 s[2:3], vcc, s[2:3]
	s_waitcnt vmcnt(0) lgkmcnt(0)
	v_fmac_f64_e32 v[116:117], v[120:121], v[122:123]
	s_andn2_b64 exec, exec, s[2:3]
	s_cbranch_execnz .LBB119_63
; %bb.64:
	s_or_b64 exec, exec, s[2:3]
.LBB119_65:
	s_or_b64 exec, exec, s[8:9]
	v_mov_b32_e32 v118, 0
	ds_read_b64 v[118:119], v118 offset:384
	s_waitcnt lgkmcnt(0)
	v_mul_f64 v[116:117], v[116:117], v[118:119]
	scratch_store_dwordx2 off, v[116:117], off offset:384
.LBB119_66:
	s_or_b64 exec, exec, s[4:5]
	scratch_load_dwordx2 v[116:117], off, off offset:376
	v_cmp_lt_u32_e64 s[2:3], 47, v0
	s_waitcnt vmcnt(0)
	ds_write_b64 v1, v[116:117]
	s_waitcnt lgkmcnt(0)
	; wave barrier
	s_and_saveexec_b64 s[4:5], s[2:3]
	s_cbranch_execz .LBB119_76
; %bb.67:
	s_andn2_b64 vcc, exec, s[6:7]
	s_cbranch_vccnz .LBB119_69
; %bb.68:
	scratch_load_dwordx2 v[116:117], v19, off
	ds_read_b64 v[118:119], v1
	s_waitcnt vmcnt(0) lgkmcnt(0)
	v_mul_f64 v[116:117], v[116:117], v[118:119]
	s_cbranch_execz .LBB119_70
	s_branch .LBB119_71
.LBB119_69:
                                        ; implicit-def: $vgpr116_vgpr117
.LBB119_70:
	ds_read_b64 v[116:117], v1
.LBB119_71:
	s_and_saveexec_b64 s[8:9], s[0:1]
	s_cbranch_execz .LBB119_75
; %bb.72:
	v_subrev_u32_e32 v118, 48, v0
	s_movk_i32 s59, 0x340
	s_mov_b64 s[0:1], 0
.LBB119_73:                             ; =>This Inner Loop Header: Depth=1
	scratch_load_dwordx2 v[120:121], off, s58
	v_mov_b32_e32 v119, s59
	ds_read_b64 v[122:123], v119
	v_add_u32_e32 v118, -1, v118
	s_add_i32 s59, s59, 8
	s_add_i32 s58, s58, 8
	v_cmp_eq_u32_e32 vcc, 0, v118
	s_or_b64 s[0:1], vcc, s[0:1]
	s_waitcnt vmcnt(0) lgkmcnt(0)
	v_fmac_f64_e32 v[116:117], v[120:121], v[122:123]
	s_andn2_b64 exec, exec, s[0:1]
	s_cbranch_execnz .LBB119_73
; %bb.74:
	s_or_b64 exec, exec, s[0:1]
.LBB119_75:
	s_or_b64 exec, exec, s[8:9]
	v_mov_b32_e32 v118, 0
	ds_read_b64 v[118:119], v118 offset:376
	s_waitcnt lgkmcnt(0)
	v_mul_f64 v[116:117], v[116:117], v[118:119]
	scratch_store_dwordx2 off, v[116:117], off offset:376
.LBB119_76:
	s_or_b64 exec, exec, s[4:5]
	scratch_load_dwordx2 v[116:117], off, off offset:368
	v_cmp_lt_u32_e64 s[0:1], 46, v0
	s_waitcnt vmcnt(0)
	ds_write_b64 v1, v[116:117]
	s_waitcnt lgkmcnt(0)
	; wave barrier
	s_and_saveexec_b64 s[4:5], s[0:1]
	s_cbranch_execz .LBB119_86
; %bb.77:
	s_andn2_b64 vcc, exec, s[6:7]
	s_cbranch_vccnz .LBB119_79
; %bb.78:
	scratch_load_dwordx2 v[116:117], v19, off
	ds_read_b64 v[118:119], v1
	s_waitcnt vmcnt(0) lgkmcnt(0)
	v_mul_f64 v[116:117], v[116:117], v[118:119]
	s_cbranch_execz .LBB119_80
	s_branch .LBB119_81
.LBB119_79:
                                        ; implicit-def: $vgpr116_vgpr117
.LBB119_80:
	ds_read_b64 v[116:117], v1
.LBB119_81:
	s_and_saveexec_b64 s[8:9], s[2:3]
	s_cbranch_execz .LBB119_85
; %bb.82:
	v_subrev_u32_e32 v118, 47, v0
	s_movk_i32 s58, 0x338
	s_mov_b64 s[2:3], 0
.LBB119_83:                             ; =>This Inner Loop Header: Depth=1
	scratch_load_dwordx2 v[120:121], off, s57
	v_mov_b32_e32 v119, s58
	ds_read_b64 v[122:123], v119
	v_add_u32_e32 v118, -1, v118
	s_add_i32 s58, s58, 8
	s_add_i32 s57, s57, 8
	v_cmp_eq_u32_e32 vcc, 0, v118
	s_or_b64 s[2:3], vcc, s[2:3]
	s_waitcnt vmcnt(0) lgkmcnt(0)
	v_fmac_f64_e32 v[116:117], v[120:121], v[122:123]
	s_andn2_b64 exec, exec, s[2:3]
	s_cbranch_execnz .LBB119_83
; %bb.84:
	s_or_b64 exec, exec, s[2:3]
.LBB119_85:
	s_or_b64 exec, exec, s[8:9]
	v_mov_b32_e32 v118, 0
	ds_read_b64 v[118:119], v118 offset:368
	s_waitcnt lgkmcnt(0)
	v_mul_f64 v[116:117], v[116:117], v[118:119]
	scratch_store_dwordx2 off, v[116:117], off offset:368
.LBB119_86:
	s_or_b64 exec, exec, s[4:5]
	scratch_load_dwordx2 v[116:117], off, off offset:360
	v_cmp_lt_u32_e64 s[2:3], 45, v0
	s_waitcnt vmcnt(0)
	ds_write_b64 v1, v[116:117]
	s_waitcnt lgkmcnt(0)
	; wave barrier
	s_and_saveexec_b64 s[4:5], s[2:3]
	s_cbranch_execz .LBB119_96
; %bb.87:
	s_andn2_b64 vcc, exec, s[6:7]
	s_cbranch_vccnz .LBB119_89
; %bb.88:
	scratch_load_dwordx2 v[116:117], v19, off
	ds_read_b64 v[118:119], v1
	s_waitcnt vmcnt(0) lgkmcnt(0)
	v_mul_f64 v[116:117], v[116:117], v[118:119]
	s_cbranch_execz .LBB119_90
	s_branch .LBB119_91
.LBB119_89:
                                        ; implicit-def: $vgpr116_vgpr117
.LBB119_90:
	ds_read_b64 v[116:117], v1
.LBB119_91:
	s_and_saveexec_b64 s[8:9], s[0:1]
	s_cbranch_execz .LBB119_95
; %bb.92:
	v_subrev_u32_e32 v118, 46, v0
	s_movk_i32 s57, 0x330
	s_mov_b64 s[0:1], 0
.LBB119_93:                             ; =>This Inner Loop Header: Depth=1
	scratch_load_dwordx2 v[120:121], off, s56
	v_mov_b32_e32 v119, s57
	ds_read_b64 v[122:123], v119
	v_add_u32_e32 v118, -1, v118
	s_add_i32 s57, s57, 8
	s_add_i32 s56, s56, 8
	v_cmp_eq_u32_e32 vcc, 0, v118
	s_or_b64 s[0:1], vcc, s[0:1]
	s_waitcnt vmcnt(0) lgkmcnt(0)
	v_fmac_f64_e32 v[116:117], v[120:121], v[122:123]
	s_andn2_b64 exec, exec, s[0:1]
	s_cbranch_execnz .LBB119_93
; %bb.94:
	s_or_b64 exec, exec, s[0:1]
.LBB119_95:
	s_or_b64 exec, exec, s[8:9]
	v_mov_b32_e32 v118, 0
	ds_read_b64 v[118:119], v118 offset:360
	s_waitcnt lgkmcnt(0)
	v_mul_f64 v[116:117], v[116:117], v[118:119]
	scratch_store_dwordx2 off, v[116:117], off offset:360
.LBB119_96:
	s_or_b64 exec, exec, s[4:5]
	scratch_load_dwordx2 v[116:117], off, off offset:352
	v_cmp_lt_u32_e64 s[0:1], 44, v0
	s_waitcnt vmcnt(0)
	ds_write_b64 v1, v[116:117]
	s_waitcnt lgkmcnt(0)
	; wave barrier
	s_and_saveexec_b64 s[4:5], s[0:1]
	s_cbranch_execz .LBB119_106
; %bb.97:
	s_andn2_b64 vcc, exec, s[6:7]
	s_cbranch_vccnz .LBB119_99
; %bb.98:
	scratch_load_dwordx2 v[116:117], v19, off
	ds_read_b64 v[118:119], v1
	s_waitcnt vmcnt(0) lgkmcnt(0)
	v_mul_f64 v[116:117], v[116:117], v[118:119]
	s_cbranch_execz .LBB119_100
	s_branch .LBB119_101
.LBB119_99:
                                        ; implicit-def: $vgpr116_vgpr117
.LBB119_100:
	ds_read_b64 v[116:117], v1
.LBB119_101:
	s_and_saveexec_b64 s[8:9], s[2:3]
	s_cbranch_execz .LBB119_105
; %bb.102:
	v_subrev_u32_e32 v118, 45, v0
	s_movk_i32 s56, 0x328
	s_mov_b64 s[2:3], 0
.LBB119_103:                            ; =>This Inner Loop Header: Depth=1
	scratch_load_dwordx2 v[120:121], off, s55
	v_mov_b32_e32 v119, s56
	ds_read_b64 v[122:123], v119
	v_add_u32_e32 v118, -1, v118
	s_add_i32 s56, s56, 8
	s_add_i32 s55, s55, 8
	v_cmp_eq_u32_e32 vcc, 0, v118
	s_or_b64 s[2:3], vcc, s[2:3]
	s_waitcnt vmcnt(0) lgkmcnt(0)
	v_fmac_f64_e32 v[116:117], v[120:121], v[122:123]
	s_andn2_b64 exec, exec, s[2:3]
	s_cbranch_execnz .LBB119_103
; %bb.104:
	s_or_b64 exec, exec, s[2:3]
.LBB119_105:
	s_or_b64 exec, exec, s[8:9]
	v_mov_b32_e32 v118, 0
	ds_read_b64 v[118:119], v118 offset:352
	s_waitcnt lgkmcnt(0)
	v_mul_f64 v[116:117], v[116:117], v[118:119]
	scratch_store_dwordx2 off, v[116:117], off offset:352
.LBB119_106:
	s_or_b64 exec, exec, s[4:5]
	scratch_load_dwordx2 v[116:117], off, off offset:344
	v_cmp_lt_u32_e64 s[2:3], 43, v0
	s_waitcnt vmcnt(0)
	ds_write_b64 v1, v[116:117]
	s_waitcnt lgkmcnt(0)
	; wave barrier
	s_and_saveexec_b64 s[4:5], s[2:3]
	s_cbranch_execz .LBB119_116
; %bb.107:
	s_andn2_b64 vcc, exec, s[6:7]
	s_cbranch_vccnz .LBB119_109
; %bb.108:
	scratch_load_dwordx2 v[116:117], v19, off
	ds_read_b64 v[118:119], v1
	s_waitcnt vmcnt(0) lgkmcnt(0)
	v_mul_f64 v[116:117], v[116:117], v[118:119]
	s_cbranch_execz .LBB119_110
	s_branch .LBB119_111
.LBB119_109:
                                        ; implicit-def: $vgpr116_vgpr117
.LBB119_110:
	ds_read_b64 v[116:117], v1
.LBB119_111:
	s_and_saveexec_b64 s[8:9], s[0:1]
	s_cbranch_execz .LBB119_115
; %bb.112:
	v_subrev_u32_e32 v118, 44, v0
	s_movk_i32 s55, 0x320
	s_mov_b64 s[0:1], 0
.LBB119_113:                            ; =>This Inner Loop Header: Depth=1
	scratch_load_dwordx2 v[120:121], off, s54
	v_mov_b32_e32 v119, s55
	ds_read_b64 v[122:123], v119
	v_add_u32_e32 v118, -1, v118
	s_add_i32 s55, s55, 8
	s_add_i32 s54, s54, 8
	v_cmp_eq_u32_e32 vcc, 0, v118
	s_or_b64 s[0:1], vcc, s[0:1]
	s_waitcnt vmcnt(0) lgkmcnt(0)
	v_fmac_f64_e32 v[116:117], v[120:121], v[122:123]
	s_andn2_b64 exec, exec, s[0:1]
	s_cbranch_execnz .LBB119_113
; %bb.114:
	s_or_b64 exec, exec, s[0:1]
.LBB119_115:
	s_or_b64 exec, exec, s[8:9]
	v_mov_b32_e32 v118, 0
	ds_read_b64 v[118:119], v118 offset:344
	s_waitcnt lgkmcnt(0)
	v_mul_f64 v[116:117], v[116:117], v[118:119]
	scratch_store_dwordx2 off, v[116:117], off offset:344
.LBB119_116:
	;; [unrolled: 53-line block ×29, first 2 shown]
	s_or_b64 exec, exec, s[4:5]
	scratch_load_dwordx2 v[116:117], off, off offset:120
	v_cmp_lt_u32_e64 s[2:3], 15, v0
	s_waitcnt vmcnt(0)
	ds_write_b64 v1, v[116:117]
	s_waitcnt lgkmcnt(0)
	; wave barrier
	s_and_saveexec_b64 s[4:5], s[2:3]
	s_cbranch_execz .LBB119_396
; %bb.387:
	s_andn2_b64 vcc, exec, s[6:7]
	s_cbranch_vccnz .LBB119_389
; %bb.388:
	scratch_load_dwordx2 v[116:117], v19, off
	ds_read_b64 v[118:119], v1
	s_waitcnt vmcnt(0) lgkmcnt(0)
	v_mul_f64 v[116:117], v[116:117], v[118:119]
	s_cbranch_execz .LBB119_390
	s_branch .LBB119_391
.LBB119_389:
                                        ; implicit-def: $vgpr116_vgpr117
.LBB119_390:
	ds_read_b64 v[116:117], v1
.LBB119_391:
	s_and_saveexec_b64 s[8:9], s[0:1]
	s_cbranch_execz .LBB119_395
; %bb.392:
	v_add_u32_e32 v118, -16, v0
	s_movk_i32 s26, 0x240
	s_mov_b64 s[0:1], 0
.LBB119_393:                            ; =>This Inner Loop Header: Depth=1
	scratch_load_dwordx2 v[120:121], off, s25
	v_mov_b32_e32 v119, s26
	ds_read_b64 v[122:123], v119
	v_add_u32_e32 v118, -1, v118
	s_add_i32 s26, s26, 8
	s_add_i32 s25, s25, 8
	v_cmp_eq_u32_e32 vcc, 0, v118
	s_or_b64 s[0:1], vcc, s[0:1]
	s_waitcnt vmcnt(0) lgkmcnt(0)
	v_fmac_f64_e32 v[116:117], v[120:121], v[122:123]
	s_andn2_b64 exec, exec, s[0:1]
	s_cbranch_execnz .LBB119_393
; %bb.394:
	s_or_b64 exec, exec, s[0:1]
.LBB119_395:
	s_or_b64 exec, exec, s[8:9]
	v_mov_b32_e32 v118, 0
	ds_read_b64 v[118:119], v118 offset:120
	s_waitcnt lgkmcnt(0)
	v_mul_f64 v[116:117], v[116:117], v[118:119]
	scratch_store_dwordx2 off, v[116:117], off offset:120
.LBB119_396:
	s_or_b64 exec, exec, s[4:5]
	scratch_load_dwordx2 v[116:117], off, off offset:112
	v_cmp_lt_u32_e64 s[0:1], 14, v0
	s_waitcnt vmcnt(0)
	ds_write_b64 v1, v[116:117]
	s_waitcnt lgkmcnt(0)
	; wave barrier
	s_and_saveexec_b64 s[4:5], s[0:1]
	s_cbranch_execz .LBB119_406
; %bb.397:
	s_andn2_b64 vcc, exec, s[6:7]
	s_cbranch_vccnz .LBB119_399
; %bb.398:
	scratch_load_dwordx2 v[116:117], v19, off
	ds_read_b64 v[118:119], v1
	s_waitcnt vmcnt(0) lgkmcnt(0)
	v_mul_f64 v[116:117], v[116:117], v[118:119]
	s_cbranch_execz .LBB119_400
	s_branch .LBB119_401
.LBB119_399:
                                        ; implicit-def: $vgpr116_vgpr117
.LBB119_400:
	ds_read_b64 v[116:117], v1
.LBB119_401:
	s_and_saveexec_b64 s[8:9], s[2:3]
	s_cbranch_execz .LBB119_405
; %bb.402:
	v_add_u32_e32 v118, -15, v0
	s_movk_i32 s25, 0x238
	s_mov_b64 s[2:3], 0
.LBB119_403:                            ; =>This Inner Loop Header: Depth=1
	scratch_load_dwordx2 v[120:121], off, s24
	v_mov_b32_e32 v119, s25
	ds_read_b64 v[122:123], v119
	v_add_u32_e32 v118, -1, v118
	s_add_i32 s25, s25, 8
	s_add_i32 s24, s24, 8
	v_cmp_eq_u32_e32 vcc, 0, v118
	s_or_b64 s[2:3], vcc, s[2:3]
	s_waitcnt vmcnt(0) lgkmcnt(0)
	v_fmac_f64_e32 v[116:117], v[120:121], v[122:123]
	s_andn2_b64 exec, exec, s[2:3]
	s_cbranch_execnz .LBB119_403
; %bb.404:
	s_or_b64 exec, exec, s[2:3]
.LBB119_405:
	s_or_b64 exec, exec, s[8:9]
	v_mov_b32_e32 v118, 0
	ds_read_b64 v[118:119], v118 offset:112
	s_waitcnt lgkmcnt(0)
	v_mul_f64 v[116:117], v[116:117], v[118:119]
	scratch_store_dwordx2 off, v[116:117], off offset:112
.LBB119_406:
	;; [unrolled: 53-line block ×15, first 2 shown]
	s_or_b64 exec, exec, s[4:5]
	scratch_load_dwordx2 v[116:117], off, off
	v_cmp_ne_u32_e32 vcc, 0, v0
	s_waitcnt vmcnt(0)
	ds_write_b64 v1, v[116:117]
	s_waitcnt lgkmcnt(0)
	; wave barrier
	s_and_saveexec_b64 s[0:1], vcc
	s_cbranch_execz .LBB119_546
; %bb.537:
	s_andn2_b64 vcc, exec, s[6:7]
	s_cbranch_vccnz .LBB119_539
; %bb.538:
	scratch_load_dwordx2 v[116:117], v19, off
	ds_read_b64 v[118:119], v1
	s_waitcnt vmcnt(0) lgkmcnt(0)
	v_mul_f64 v[116:117], v[116:117], v[118:119]
	s_cbranch_execz .LBB119_540
	s_branch .LBB119_541
.LBB119_539:
                                        ; implicit-def: $vgpr116_vgpr117
.LBB119_540:
	ds_read_b64 v[116:117], v1
.LBB119_541:
	s_and_saveexec_b64 s[4:5], s[2:3]
	s_cbranch_execz .LBB119_545
; %bb.542:
	v_add_u32_e32 v118, -1, v0
	s_movk_i32 s8, 0x1c8
	s_mov_b64 s[2:3], 0
.LBB119_543:                            ; =>This Inner Loop Header: Depth=1
	scratch_load_dwordx2 v[120:121], off, s10
	v_mov_b32_e32 v119, s8
	ds_read_b64 v[122:123], v119
	v_add_u32_e32 v118, -1, v118
	s_add_i32 s8, s8, 8
	s_add_i32 s10, s10, 8
	v_cmp_eq_u32_e32 vcc, 0, v118
	s_or_b64 s[2:3], vcc, s[2:3]
	s_waitcnt vmcnt(0) lgkmcnt(0)
	v_fmac_f64_e32 v[116:117], v[120:121], v[122:123]
	s_andn2_b64 exec, exec, s[2:3]
	s_cbranch_execnz .LBB119_543
; %bb.544:
	s_or_b64 exec, exec, s[2:3]
.LBB119_545:
	s_or_b64 exec, exec, s[4:5]
	v_mov_b32_e32 v118, 0
	ds_read_b64 v[118:119], v118
	s_waitcnt lgkmcnt(0)
	v_mul_f64 v[116:117], v[116:117], v[118:119]
	scratch_store_dwordx2 off, v[116:117], off
.LBB119_546:
	s_or_b64 exec, exec, s[0:1]
	s_mov_b64 s[0:1], 0
.LBB119_547:
	s_and_b64 vcc, exec, s[0:1]
	s_cbranch_vccz .LBB119_1089
; %bb.548:
	scratch_load_dwordx2 v[116:117], off, off offset:8
	v_cmp_eq_u32_e64 s[2:3], 0, v0
	s_waitcnt vmcnt(0)
	ds_write_b64 v1, v[116:117]
	s_waitcnt lgkmcnt(0)
	; wave barrier
	s_and_saveexec_b64 s[0:1], s[2:3]
	s_cbranch_execz .LBB119_554
; %bb.549:
	s_and_b64 vcc, exec, s[6:7]
	s_cbranch_vccz .LBB119_551
; %bb.550:
	scratch_load_dwordx2 v[116:117], v19, off
	ds_read_b64 v[118:119], v1
	s_waitcnt vmcnt(0) lgkmcnt(0)
	v_mul_f64 v[116:117], v[116:117], v[118:119]
	s_cbranch_execz .LBB119_552
	s_branch .LBB119_553
.LBB119_551:
                                        ; implicit-def: $vgpr116_vgpr117
.LBB119_552:
	ds_read_b64 v[116:117], v1
.LBB119_553:
	v_mov_b32_e32 v118, 0
	ds_read_b64 v[118:119], v118 offset:8
	s_waitcnt lgkmcnt(0)
	v_mul_f64 v[116:117], v[116:117], v[118:119]
	scratch_store_dwordx2 off, v[116:117], off offset:8
.LBB119_554:
	s_or_b64 exec, exec, s[0:1]
	scratch_load_dwordx2 v[116:117], off, off offset:16
	v_cndmask_b32_e64 v118, 0, 1, s[6:7]
	v_cmp_gt_u32_e32 vcc, 2, v0
	v_cmp_ne_u32_e64 s[0:1], 1, v118
	s_waitcnt vmcnt(0)
	ds_write_b64 v1, v[116:117]
	s_waitcnt lgkmcnt(0)
	; wave barrier
	s_and_saveexec_b64 s[4:5], vcc
	s_cbranch_execz .LBB119_560
; %bb.555:
	s_and_b64 vcc, exec, s[0:1]
	s_cbranch_vccnz .LBB119_557
; %bb.556:
	scratch_load_dwordx2 v[116:117], v19, off
	ds_read_b64 v[118:119], v1
	s_waitcnt vmcnt(0) lgkmcnt(0)
	v_mul_f64 v[116:117], v[116:117], v[118:119]
	s_cbranch_execz .LBB119_558
	s_branch .LBB119_559
.LBB119_557:
                                        ; implicit-def: $vgpr116_vgpr117
.LBB119_558:
	ds_read_b64 v[116:117], v1
.LBB119_559:
	scratch_load_dwordx2 v[122:123], off, off offset:8
	v_mov_b32_e32 v118, 0
	ds_read2_b64 v[118:121], v118 offset0:2 offset1:57
	s_waitcnt vmcnt(0) lgkmcnt(0)
	v_fma_f64 v[120:121], v[122:123], v[120:121], v[116:117]
	v_cndmask_b32_e64 v117, v117, v121, s[2:3]
	v_cndmask_b32_e64 v116, v116, v120, s[2:3]
	v_mul_f64 v[116:117], v[116:117], v[118:119]
	scratch_store_dwordx2 off, v[116:117], off offset:16
.LBB119_560:
	s_or_b64 exec, exec, s[4:5]
	scratch_load_dwordx2 v[116:117], off, off offset:24
	v_cmp_gt_u32_e32 vcc, 3, v0
	s_waitcnt vmcnt(0)
	ds_write_b64 v1, v[116:117]
	s_waitcnt lgkmcnt(0)
	; wave barrier
	s_and_saveexec_b64 s[4:5], vcc
	s_cbranch_execz .LBB119_568
; %bb.561:
	s_and_b64 vcc, exec, s[0:1]
	s_cbranch_vccnz .LBB119_563
; %bb.562:
	scratch_load_dwordx2 v[116:117], v19, off
	ds_read_b64 v[118:119], v1
	s_waitcnt vmcnt(0) lgkmcnt(0)
	v_mul_f64 v[116:117], v[116:117], v[118:119]
	s_cbranch_execz .LBB119_564
	s_branch .LBB119_565
.LBB119_563:
                                        ; implicit-def: $vgpr116_vgpr117
.LBB119_564:
	ds_read_b64 v[116:117], v1
.LBB119_565:
	v_cmp_ne_u32_e32 vcc, 2, v0
	s_and_saveexec_b64 s[6:7], vcc
	s_cbranch_execz .LBB119_567
; %bb.566:
	scratch_load_dwordx2 v[118:119], v19, off offset:8
	scratch_load_dwordx2 v[120:121], off, off offset:16
	ds_read_b64 v[122:123], v1 offset:8
	v_mov_b32_e32 v124, 0
	ds_read_b64 v[124:125], v124 offset:464
	s_waitcnt vmcnt(1) lgkmcnt(1)
	v_fmac_f64_e32 v[116:117], v[118:119], v[122:123]
	s_waitcnt vmcnt(0) lgkmcnt(0)
	v_fma_f64 v[118:119], v[120:121], v[124:125], v[116:117]
	v_cndmask_b32_e64 v117, v117, v119, s[2:3]
	v_cndmask_b32_e64 v116, v116, v118, s[2:3]
.LBB119_567:
	s_or_b64 exec, exec, s[6:7]
	v_mov_b32_e32 v118, 0
	ds_read_b64 v[118:119], v118 offset:24
	s_waitcnt lgkmcnt(0)
	v_mul_f64 v[116:117], v[116:117], v[118:119]
	scratch_store_dwordx2 off, v[116:117], off offset:24
.LBB119_568:
	s_or_b64 exec, exec, s[4:5]
	scratch_load_dwordx2 v[116:117], off, off offset:32
	v_cmp_gt_u32_e32 vcc, 4, v0
	s_waitcnt vmcnt(0)
	ds_write_b64 v1, v[116:117]
	s_waitcnt lgkmcnt(0)
	; wave barrier
	s_and_saveexec_b64 s[2:3], vcc
	s_cbranch_execz .LBB119_578
; %bb.569:
	s_and_b64 vcc, exec, s[0:1]
	s_cbranch_vccnz .LBB119_571
; %bb.570:
	scratch_load_dwordx2 v[116:117], v19, off
	ds_read_b64 v[118:119], v1
	s_waitcnt vmcnt(0) lgkmcnt(0)
	v_mul_f64 v[116:117], v[116:117], v[118:119]
	s_cbranch_execz .LBB119_572
	s_branch .LBB119_573
.LBB119_571:
                                        ; implicit-def: $vgpr116_vgpr117
.LBB119_572:
	ds_read_b64 v[116:117], v1
.LBB119_573:
	v_cmp_ne_u32_e32 vcc, 3, v0
	s_and_saveexec_b64 s[4:5], vcc
	s_cbranch_execz .LBB119_577
; %bb.574:
	s_mov_b32 s6, 0
	v_add_u32_e32 v118, 0x1c8, v18
	v_add3_u32 v119, v18, s6, 8
	s_mov_b64 s[6:7], 0
	v_mov_b32_e32 v120, v0
.LBB119_575:                            ; =>This Inner Loop Header: Depth=1
	scratch_load_dwordx2 v[122:123], v119, off
	ds_read_b64 v[124:125], v118
	v_add_u32_e32 v120, 1, v120
	v_cmp_lt_u32_e32 vcc, 2, v120
	v_add_u32_e32 v118, 8, v118
	v_add_u32_e32 v119, 8, v119
	s_or_b64 s[6:7], vcc, s[6:7]
	s_waitcnt vmcnt(0) lgkmcnt(0)
	v_fmac_f64_e32 v[116:117], v[122:123], v[124:125]
	s_andn2_b64 exec, exec, s[6:7]
	s_cbranch_execnz .LBB119_575
; %bb.576:
	s_or_b64 exec, exec, s[6:7]
.LBB119_577:
	s_or_b64 exec, exec, s[4:5]
	v_mov_b32_e32 v118, 0
	ds_read_b64 v[118:119], v118 offset:32
	s_waitcnt lgkmcnt(0)
	v_mul_f64 v[116:117], v[116:117], v[118:119]
	scratch_store_dwordx2 off, v[116:117], off offset:32
.LBB119_578:
	s_or_b64 exec, exec, s[2:3]
	scratch_load_dwordx2 v[116:117], off, off offset:40
	v_cmp_gt_u32_e32 vcc, 5, v0
	s_waitcnt vmcnt(0)
	ds_write_b64 v1, v[116:117]
	s_waitcnt lgkmcnt(0)
	; wave barrier
	s_and_saveexec_b64 s[2:3], vcc
	s_cbranch_execz .LBB119_588
; %bb.579:
	s_and_b64 vcc, exec, s[0:1]
	s_cbranch_vccnz .LBB119_581
; %bb.580:
	scratch_load_dwordx2 v[116:117], v19, off
	ds_read_b64 v[118:119], v1
	s_waitcnt vmcnt(0) lgkmcnt(0)
	v_mul_f64 v[116:117], v[116:117], v[118:119]
	s_cbranch_execz .LBB119_582
	s_branch .LBB119_583
.LBB119_581:
                                        ; implicit-def: $vgpr116_vgpr117
.LBB119_582:
	ds_read_b64 v[116:117], v1
.LBB119_583:
	v_cmp_ne_u32_e32 vcc, 4, v0
	s_and_saveexec_b64 s[4:5], vcc
	s_cbranch_execz .LBB119_587
; %bb.584:
	s_mov_b32 s6, 0
	v_add_u32_e32 v118, 0x1c8, v18
	v_add3_u32 v119, v18, s6, 8
	s_mov_b64 s[6:7], 0
	v_mov_b32_e32 v120, v0
.LBB119_585:                            ; =>This Inner Loop Header: Depth=1
	scratch_load_dwordx2 v[122:123], v119, off
	ds_read_b64 v[124:125], v118
	v_add_u32_e32 v120, 1, v120
	v_cmp_lt_u32_e32 vcc, 3, v120
	v_add_u32_e32 v118, 8, v118
	v_add_u32_e32 v119, 8, v119
	s_or_b64 s[6:7], vcc, s[6:7]
	s_waitcnt vmcnt(0) lgkmcnt(0)
	v_fmac_f64_e32 v[116:117], v[122:123], v[124:125]
	s_andn2_b64 exec, exec, s[6:7]
	s_cbranch_execnz .LBB119_585
; %bb.586:
	s_or_b64 exec, exec, s[6:7]
.LBB119_587:
	s_or_b64 exec, exec, s[4:5]
	v_mov_b32_e32 v118, 0
	ds_read_b64 v[118:119], v118 offset:40
	s_waitcnt lgkmcnt(0)
	v_mul_f64 v[116:117], v[116:117], v[118:119]
	scratch_store_dwordx2 off, v[116:117], off offset:40
.LBB119_588:
	;; [unrolled: 55-line block ×43, first 2 shown]
	s_or_b64 exec, exec, s[2:3]
	scratch_load_dwordx2 v[116:117], off, off offset:376
	v_cmp_gt_u32_e32 vcc, 47, v0
	s_waitcnt vmcnt(0)
	ds_write_b64 v1, v[116:117]
	s_waitcnt lgkmcnt(0)
	; wave barrier
	s_and_saveexec_b64 s[2:3], vcc
	s_cbranch_execz .LBB119_1008
; %bb.999:
	s_and_b64 vcc, exec, s[0:1]
	s_cbranch_vccnz .LBB119_1001
; %bb.1000:
	scratch_load_dwordx2 v[116:117], v19, off
	ds_read_b64 v[118:119], v1
	s_waitcnt vmcnt(0) lgkmcnt(0)
	v_mul_f64 v[116:117], v[116:117], v[118:119]
	s_cbranch_execz .LBB119_1002
	s_branch .LBB119_1003
.LBB119_1001:
                                        ; implicit-def: $vgpr116_vgpr117
.LBB119_1002:
	ds_read_b64 v[116:117], v1
.LBB119_1003:
	v_cmp_ne_u32_e32 vcc, 46, v0
	s_and_saveexec_b64 s[4:5], vcc
	s_cbranch_execz .LBB119_1007
; %bb.1004:
	s_mov_b32 s6, 0
	v_add_u32_e32 v118, 0x1c8, v18
	v_add3_u32 v119, v18, s6, 8
	s_mov_b64 s[6:7], 0
	v_mov_b32_e32 v120, v0
.LBB119_1005:                           ; =>This Inner Loop Header: Depth=1
	scratch_load_dwordx2 v[122:123], v119, off
	ds_read_b64 v[124:125], v118
	v_add_u32_e32 v120, 1, v120
	v_cmp_lt_u32_e32 vcc, 45, v120
	v_add_u32_e32 v118, 8, v118
	v_add_u32_e32 v119, 8, v119
	s_or_b64 s[6:7], vcc, s[6:7]
	s_waitcnt vmcnt(0) lgkmcnt(0)
	v_fmac_f64_e32 v[116:117], v[122:123], v[124:125]
	s_andn2_b64 exec, exec, s[6:7]
	s_cbranch_execnz .LBB119_1005
; %bb.1006:
	s_or_b64 exec, exec, s[6:7]
.LBB119_1007:
	s_or_b64 exec, exec, s[4:5]
	v_mov_b32_e32 v118, 0
	ds_read_b64 v[118:119], v118 offset:376
	s_waitcnt lgkmcnt(0)
	v_mul_f64 v[116:117], v[116:117], v[118:119]
	scratch_store_dwordx2 off, v[116:117], off offset:376
.LBB119_1008:
	s_or_b64 exec, exec, s[2:3]
	scratch_load_dwordx2 v[116:117], off, off offset:384
	v_cmp_gt_u32_e32 vcc, 48, v0
	s_waitcnt vmcnt(0)
	ds_write_b64 v1, v[116:117]
	s_waitcnt lgkmcnt(0)
	; wave barrier
	s_and_saveexec_b64 s[2:3], vcc
	s_cbranch_execz .LBB119_1018
; %bb.1009:
	s_and_b64 vcc, exec, s[0:1]
	s_cbranch_vccnz .LBB119_1011
; %bb.1010:
	scratch_load_dwordx2 v[116:117], v19, off
	ds_read_b64 v[118:119], v1
	s_waitcnt vmcnt(0) lgkmcnt(0)
	v_mul_f64 v[116:117], v[116:117], v[118:119]
	s_cbranch_execz .LBB119_1012
	s_branch .LBB119_1013
.LBB119_1011:
                                        ; implicit-def: $vgpr116_vgpr117
.LBB119_1012:
	ds_read_b64 v[116:117], v1
.LBB119_1013:
	v_cmp_ne_u32_e32 vcc, 47, v0
	s_and_saveexec_b64 s[4:5], vcc
	s_cbranch_execz .LBB119_1017
; %bb.1014:
	s_mov_b32 s6, 0
	v_add_u32_e32 v118, 0x1c8, v18
	v_add3_u32 v119, v18, s6, 8
	s_mov_b64 s[6:7], 0
	v_mov_b32_e32 v120, v0
.LBB119_1015:                           ; =>This Inner Loop Header: Depth=1
	scratch_load_dwordx2 v[122:123], v119, off
	ds_read_b64 v[124:125], v118
	v_add_u32_e32 v120, 1, v120
	v_cmp_lt_u32_e32 vcc, 46, v120
	v_add_u32_e32 v118, 8, v118
	v_add_u32_e32 v119, 8, v119
	s_or_b64 s[6:7], vcc, s[6:7]
	s_waitcnt vmcnt(0) lgkmcnt(0)
	v_fmac_f64_e32 v[116:117], v[122:123], v[124:125]
	s_andn2_b64 exec, exec, s[6:7]
	s_cbranch_execnz .LBB119_1015
; %bb.1016:
	s_or_b64 exec, exec, s[6:7]
.LBB119_1017:
	s_or_b64 exec, exec, s[4:5]
	v_mov_b32_e32 v118, 0
	ds_read_b64 v[118:119], v118 offset:384
	s_waitcnt lgkmcnt(0)
	v_mul_f64 v[116:117], v[116:117], v[118:119]
	scratch_store_dwordx2 off, v[116:117], off offset:384
.LBB119_1018:
	;; [unrolled: 55-line block ×7, first 2 shown]
	s_or_b64 exec, exec, s[2:3]
	scratch_load_dwordx2 v[116:117], off, off offset:432
	v_cmp_gt_u32_e64 s[2:3], 54, v0
	s_waitcnt vmcnt(0)
	ds_write_b64 v1, v[116:117]
	s_waitcnt lgkmcnt(0)
	; wave barrier
	s_and_saveexec_b64 s[4:5], s[2:3]
	s_cbranch_execz .LBB119_1078
; %bb.1069:
	s_and_b64 vcc, exec, s[0:1]
	s_cbranch_vccnz .LBB119_1071
; %bb.1070:
	scratch_load_dwordx2 v[116:117], v19, off
	ds_read_b64 v[118:119], v1
	s_waitcnt vmcnt(0) lgkmcnt(0)
	v_mul_f64 v[116:117], v[116:117], v[118:119]
	s_cbranch_execz .LBB119_1072
	s_branch .LBB119_1073
.LBB119_1071:
                                        ; implicit-def: $vgpr116_vgpr117
.LBB119_1072:
	ds_read_b64 v[116:117], v1
.LBB119_1073:
	v_cmp_ne_u32_e32 vcc, 53, v0
	s_and_saveexec_b64 s[6:7], vcc
	s_cbranch_execz .LBB119_1077
; %bb.1074:
	s_mov_b32 s8, 0
	v_add_u32_e32 v118, 0x1c8, v18
	v_add3_u32 v119, v18, s8, 8
	s_mov_b64 s[8:9], 0
	v_mov_b32_e32 v120, v0
.LBB119_1075:                           ; =>This Inner Loop Header: Depth=1
	scratch_load_dwordx2 v[122:123], v119, off
	ds_read_b64 v[124:125], v118
	v_add_u32_e32 v120, 1, v120
	v_cmp_lt_u32_e32 vcc, 52, v120
	v_add_u32_e32 v118, 8, v118
	v_add_u32_e32 v119, 8, v119
	s_or_b64 s[8:9], vcc, s[8:9]
	s_waitcnt vmcnt(0) lgkmcnt(0)
	v_fmac_f64_e32 v[116:117], v[122:123], v[124:125]
	s_andn2_b64 exec, exec, s[8:9]
	s_cbranch_execnz .LBB119_1075
; %bb.1076:
	s_or_b64 exec, exec, s[8:9]
.LBB119_1077:
	s_or_b64 exec, exec, s[6:7]
	v_mov_b32_e32 v118, 0
	ds_read_b64 v[118:119], v118 offset:432
	s_waitcnt lgkmcnt(0)
	v_mul_f64 v[116:117], v[116:117], v[118:119]
	scratch_store_dwordx2 off, v[116:117], off offset:432
.LBB119_1078:
	s_or_b64 exec, exec, s[4:5]
	scratch_load_dwordx2 v[116:117], off, off offset:440
	v_cmp_ne_u32_e32 vcc, 55, v0
	s_waitcnt vmcnt(0)
	ds_write_b64 v1, v[116:117]
	s_waitcnt lgkmcnt(0)
	; wave barrier
	s_and_saveexec_b64 s[4:5], vcc
	s_cbranch_execz .LBB119_1088
; %bb.1079:
	s_and_b64 vcc, exec, s[0:1]
	s_cbranch_vccnz .LBB119_1081
; %bb.1080:
	scratch_load_dwordx2 v[116:117], v19, off
	ds_read_b64 v[118:119], v1
	s_waitcnt vmcnt(0) lgkmcnt(0)
	v_mul_f64 v[116:117], v[116:117], v[118:119]
	s_cbranch_execz .LBB119_1082
	s_branch .LBB119_1083
.LBB119_1081:
                                        ; implicit-def: $vgpr116_vgpr117
.LBB119_1082:
	ds_read_b64 v[116:117], v1
.LBB119_1083:
	s_and_saveexec_b64 s[0:1], s[2:3]
	s_cbranch_execz .LBB119_1087
; %bb.1084:
	s_mov_b32 s2, 0
	v_add_u32_e32 v1, 0x1c8, v18
	v_add3_u32 v18, v18, s2, 8
	s_mov_b64 s[2:3], 0
.LBB119_1085:                           ; =>This Inner Loop Header: Depth=1
	scratch_load_dwordx2 v[118:119], v18, off
	ds_read_b64 v[120:121], v1
	v_add_u32_e32 v0, 1, v0
	v_cmp_lt_u32_e32 vcc, 53, v0
	v_add_u32_e32 v1, 8, v1
	v_add_u32_e32 v18, 8, v18
	s_or_b64 s[2:3], vcc, s[2:3]
	s_waitcnt vmcnt(0) lgkmcnt(0)
	v_fmac_f64_e32 v[116:117], v[118:119], v[120:121]
	s_andn2_b64 exec, exec, s[2:3]
	s_cbranch_execnz .LBB119_1085
; %bb.1086:
	s_or_b64 exec, exec, s[2:3]
.LBB119_1087:
	s_or_b64 exec, exec, s[0:1]
	v_mov_b32_e32 v0, 0
	ds_read_b64 v[0:1], v0 offset:440
	s_waitcnt lgkmcnt(0)
	v_mul_f64 v[0:1], v[116:117], v[0:1]
	scratch_store_dwordx2 off, v[0:1], off offset:440
.LBB119_1088:
	s_or_b64 exec, exec, s[4:5]
.LBB119_1089:
	scratch_load_dwordx2 v[0:1], off, off
	s_waitcnt vmcnt(0)
	flat_store_dwordx2 v[2:3], v[0:1]
	scratch_load_dwordx2 v[0:1], off, off offset:8
	s_waitcnt vmcnt(0)
	flat_store_dwordx2 v[4:5], v[0:1]
	scratch_load_dwordx2 v[0:1], off, off offset:16
	;; [unrolled: 3-line block ×55, first 2 shown]
	s_waitcnt vmcnt(0)
	flat_store_dwordx2 v[114:115], v[0:1]
.LBB119_1090:
	s_endpgm
	.section	.rodata,"a",@progbits
	.p2align	6, 0x0
	.amdhsa_kernel _ZN9rocsolver6v33100L18trti2_kernel_smallILi56EdPKPdEEv13rocblas_fill_17rocblas_diagonal_T1_iil
		.amdhsa_group_segment_fixed_size 896
		.amdhsa_private_segment_fixed_size 464
		.amdhsa_kernarg_size 32
		.amdhsa_user_sgpr_count 2
		.amdhsa_user_sgpr_dispatch_ptr 0
		.amdhsa_user_sgpr_queue_ptr 0
		.amdhsa_user_sgpr_kernarg_segment_ptr 1
		.amdhsa_user_sgpr_dispatch_id 0
		.amdhsa_user_sgpr_kernarg_preload_length 0
		.amdhsa_user_sgpr_kernarg_preload_offset 0
		.amdhsa_user_sgpr_private_segment_size 0
		.amdhsa_uses_dynamic_stack 0
		.amdhsa_enable_private_segment 1
		.amdhsa_system_sgpr_workgroup_id_x 1
		.amdhsa_system_sgpr_workgroup_id_y 0
		.amdhsa_system_sgpr_workgroup_id_z 0
		.amdhsa_system_sgpr_workgroup_info 0
		.amdhsa_system_vgpr_workitem_id 0
		.amdhsa_next_free_vgpr 126
		.amdhsa_next_free_sgpr 65
		.amdhsa_accum_offset 128
		.amdhsa_reserve_vcc 1
		.amdhsa_float_round_mode_32 0
		.amdhsa_float_round_mode_16_64 0
		.amdhsa_float_denorm_mode_32 3
		.amdhsa_float_denorm_mode_16_64 3
		.amdhsa_dx10_clamp 1
		.amdhsa_ieee_mode 1
		.amdhsa_fp16_overflow 0
		.amdhsa_tg_split 0
		.amdhsa_exception_fp_ieee_invalid_op 0
		.amdhsa_exception_fp_denorm_src 0
		.amdhsa_exception_fp_ieee_div_zero 0
		.amdhsa_exception_fp_ieee_overflow 0
		.amdhsa_exception_fp_ieee_underflow 0
		.amdhsa_exception_fp_ieee_inexact 0
		.amdhsa_exception_int_div_zero 0
	.end_amdhsa_kernel
	.section	.text._ZN9rocsolver6v33100L18trti2_kernel_smallILi56EdPKPdEEv13rocblas_fill_17rocblas_diagonal_T1_iil,"axG",@progbits,_ZN9rocsolver6v33100L18trti2_kernel_smallILi56EdPKPdEEv13rocblas_fill_17rocblas_diagonal_T1_iil,comdat
.Lfunc_end119:
	.size	_ZN9rocsolver6v33100L18trti2_kernel_smallILi56EdPKPdEEv13rocblas_fill_17rocblas_diagonal_T1_iil, .Lfunc_end119-_ZN9rocsolver6v33100L18trti2_kernel_smallILi56EdPKPdEEv13rocblas_fill_17rocblas_diagonal_T1_iil
                                        ; -- End function
	.set _ZN9rocsolver6v33100L18trti2_kernel_smallILi56EdPKPdEEv13rocblas_fill_17rocblas_diagonal_T1_iil.num_vgpr, 126
	.set _ZN9rocsolver6v33100L18trti2_kernel_smallILi56EdPKPdEEv13rocblas_fill_17rocblas_diagonal_T1_iil.num_agpr, 0
	.set _ZN9rocsolver6v33100L18trti2_kernel_smallILi56EdPKPdEEv13rocblas_fill_17rocblas_diagonal_T1_iil.numbered_sgpr, 65
	.set _ZN9rocsolver6v33100L18trti2_kernel_smallILi56EdPKPdEEv13rocblas_fill_17rocblas_diagonal_T1_iil.num_named_barrier, 0
	.set _ZN9rocsolver6v33100L18trti2_kernel_smallILi56EdPKPdEEv13rocblas_fill_17rocblas_diagonal_T1_iil.private_seg_size, 464
	.set _ZN9rocsolver6v33100L18trti2_kernel_smallILi56EdPKPdEEv13rocblas_fill_17rocblas_diagonal_T1_iil.uses_vcc, 1
	.set _ZN9rocsolver6v33100L18trti2_kernel_smallILi56EdPKPdEEv13rocblas_fill_17rocblas_diagonal_T1_iil.uses_flat_scratch, 0
	.set _ZN9rocsolver6v33100L18trti2_kernel_smallILi56EdPKPdEEv13rocblas_fill_17rocblas_diagonal_T1_iil.has_dyn_sized_stack, 0
	.set _ZN9rocsolver6v33100L18trti2_kernel_smallILi56EdPKPdEEv13rocblas_fill_17rocblas_diagonal_T1_iil.has_recursion, 0
	.set _ZN9rocsolver6v33100L18trti2_kernel_smallILi56EdPKPdEEv13rocblas_fill_17rocblas_diagonal_T1_iil.has_indirect_call, 0
	.section	.AMDGPU.csdata,"",@progbits
; Kernel info:
; codeLenInByte = 27288
; TotalNumSgprs: 71
; NumVgprs: 126
; NumAgprs: 0
; TotalNumVgprs: 126
; ScratchSize: 464
; MemoryBound: 0
; FloatMode: 240
; IeeeMode: 1
; LDSByteSize: 896 bytes/workgroup (compile time only)
; SGPRBlocks: 8
; VGPRBlocks: 15
; NumSGPRsForWavesPerEU: 71
; NumVGPRsForWavesPerEU: 126
; AccumOffset: 128
; Occupancy: 4
; WaveLimiterHint : 1
; COMPUTE_PGM_RSRC2:SCRATCH_EN: 1
; COMPUTE_PGM_RSRC2:USER_SGPR: 2
; COMPUTE_PGM_RSRC2:TRAP_HANDLER: 0
; COMPUTE_PGM_RSRC2:TGID_X_EN: 1
; COMPUTE_PGM_RSRC2:TGID_Y_EN: 0
; COMPUTE_PGM_RSRC2:TGID_Z_EN: 0
; COMPUTE_PGM_RSRC2:TIDIG_COMP_CNT: 0
; COMPUTE_PGM_RSRC3_GFX90A:ACCUM_OFFSET: 31
; COMPUTE_PGM_RSRC3_GFX90A:TG_SPLIT: 0
	.section	.text._ZN9rocsolver6v33100L18trti2_kernel_smallILi57EdPKPdEEv13rocblas_fill_17rocblas_diagonal_T1_iil,"axG",@progbits,_ZN9rocsolver6v33100L18trti2_kernel_smallILi57EdPKPdEEv13rocblas_fill_17rocblas_diagonal_T1_iil,comdat
	.globl	_ZN9rocsolver6v33100L18trti2_kernel_smallILi57EdPKPdEEv13rocblas_fill_17rocblas_diagonal_T1_iil ; -- Begin function _ZN9rocsolver6v33100L18trti2_kernel_smallILi57EdPKPdEEv13rocblas_fill_17rocblas_diagonal_T1_iil
	.p2align	8
	.type	_ZN9rocsolver6v33100L18trti2_kernel_smallILi57EdPKPdEEv13rocblas_fill_17rocblas_diagonal_T1_iil,@function
_ZN9rocsolver6v33100L18trti2_kernel_smallILi57EdPKPdEEv13rocblas_fill_17rocblas_diagonal_T1_iil: ; @_ZN9rocsolver6v33100L18trti2_kernel_smallILi57EdPKPdEEv13rocblas_fill_17rocblas_diagonal_T1_iil
; %bb.0:
	v_cmp_gt_u32_e32 vcc, 57, v0
	s_and_saveexec_b64 s[4:5], vcc
	s_cbranch_execz .LBB120_1110
; %bb.1:
	s_load_dwordx2 s[8:9], s[0:1], 0x10
	s_load_dwordx4 s[4:7], s[0:1], 0x0
	s_ashr_i32 s3, s2, 31
	s_lshl_b64 s[0:1], s[2:3], 3
	v_lshlrev_b32_e32 v18, 3, v0
	s_waitcnt lgkmcnt(0)
	s_ashr_i32 s3, s8, 31
	s_add_u32 s0, s6, s0
	s_addc_u32 s1, s7, s1
	s_load_dwordx2 s[0:1], s[0:1], 0x0
	s_mov_b32 s2, s8
	s_lshl_b64 s[2:3], s[2:3], 3
	v_mov_b32_e32 v19, 0
	s_waitcnt lgkmcnt(0)
	s_add_u32 s0, s0, s2
	s_addc_u32 s1, s1, s3
	v_lshl_add_u64 v[2:3], s[0:1], 0, v[18:19]
	flat_load_dwordx2 v[6:7], v[2:3]
	s_mov_b32 s2, s9
	s_ashr_i32 s3, s9, 31
	v_lshl_add_u64 v[4:5], s[2:3], 3, v[2:3]
	s_add_i32 s2, s9, s9
	v_add_u32_e32 v10, s2, v0
	v_ashrrev_i32_e32 v11, 31, v10
	s_cmpk_lg_i32 s5, 0x84
	s_cselect_b64 s[6:7], -1, 0
	s_cmpk_eq_i32 s5, 0x84
	s_waitcnt vmcnt(0) lgkmcnt(0)
	scratch_store_dwordx2 off, v[6:7], off
	flat_load_dwordx2 v[8:9], v[4:5]
	v_lshl_add_u64 v[6:7], v[10:11], 3, s[0:1]
	v_add_u32_e32 v10, s9, v10
	v_ashrrev_i32_e32 v11, 31, v10
	v_add_u32_e32 v14, s9, v10
	v_ashrrev_i32_e32 v15, 31, v14
	s_waitcnt vmcnt(0) lgkmcnt(0)
	scratch_store_dwordx2 off, v[8:9], off offset:8
	flat_load_dwordx2 v[12:13], v[6:7]
	v_lshl_add_u64 v[8:9], v[10:11], 3, s[0:1]
	v_lshl_add_u64 v[10:11], v[14:15], 3, s[0:1]
	v_add_u32_e32 v14, s9, v14
	v_ashrrev_i32_e32 v15, 31, v14
	v_add_u32_e32 v20, s9, v14
	v_ashrrev_i32_e32 v21, 31, v20
	s_waitcnt vmcnt(0) lgkmcnt(0)
	scratch_store_dwordx2 off, v[12:13], off offset:16
	flat_load_dwordx2 v[12:13], v[8:9]
	s_waitcnt vmcnt(0) lgkmcnt(0)
	scratch_store_dwordx2 off, v[12:13], off offset:24
	flat_load_dwordx2 v[16:17], v[10:11]
	v_lshl_add_u64 v[12:13], v[14:15], 3, s[0:1]
	v_lshl_add_u64 v[14:15], v[20:21], 3, s[0:1]
	v_add_u32_e32 v20, s9, v20
	v_ashrrev_i32_e32 v21, 31, v20
	v_add_u32_e32 v24, s9, v20
	v_ashrrev_i32_e32 v25, 31, v24
	s_waitcnt vmcnt(0) lgkmcnt(0)
	scratch_store_dwordx2 off, v[16:17], off offset:32
	flat_load_dwordx2 v[16:17], v[12:13]
	;; [unrolled: 12-line block ×25, first 2 shown]
	s_waitcnt vmcnt(0) lgkmcnt(0)
	scratch_store_dwordx2 off, v[110:111], off offset:408
	flat_load_dwordx2 v[114:115], v[108:109]
	v_lshl_add_u64 v[110:111], v[112:113], 3, s[0:1]
	v_lshl_add_u64 v[112:113], v[116:117], 3, s[0:1]
	v_add_u32_e32 v116, s9, v116
	v_ashrrev_i32_e32 v117, 31, v116
	s_waitcnt vmcnt(0) lgkmcnt(0)
	scratch_store_dwordx2 off, v[114:115], off offset:416
	flat_load_dwordx2 v[114:115], v[110:111]
	s_waitcnt vmcnt(0) lgkmcnt(0)
	scratch_store_dwordx2 off, v[114:115], off offset:424
	flat_load_dwordx2 v[118:119], v[112:113]
	v_lshl_add_u64 v[114:115], v[116:117], 3, s[0:1]
	v_add_u32_e32 v116, s9, v116
	v_ashrrev_i32_e32 v117, 31, v116
	v_lshl_add_u64 v[116:117], v[116:117], 3, s[0:1]
	s_waitcnt vmcnt(0) lgkmcnt(0)
	scratch_store_dwordx2 off, v[118:119], off offset:432
	flat_load_dwordx2 v[118:119], v[114:115]
	s_waitcnt vmcnt(0) lgkmcnt(0)
	scratch_store_dwordx2 off, v[118:119], off offset:440
	flat_load_dwordx2 v[118:119], v[116:117]
	s_waitcnt vmcnt(0) lgkmcnt(0)
	scratch_store_dwordx2 off, v[118:119], off offset:448
	v_mov_b64_e32 v[118:119], -1.0
	s_cbranch_scc1 .LBB120_3
; %bb.2:
	scratch_load_dwordx2 v[118:119], v18, off
	s_waitcnt vmcnt(0)
	v_div_scale_f64 v[120:121], s[0:1], v[118:119], v[118:119], 1.0
	v_rcp_f64_e32 v[122:123], v[120:121]
	v_div_scale_f64 v[124:125], vcc, 1.0, v[118:119], 1.0
	v_fma_f64 v[126:127], -v[120:121], v[122:123], 1.0
	v_fmac_f64_e32 v[122:123], v[122:123], v[126:127]
	v_fma_f64 v[126:127], -v[120:121], v[122:123], 1.0
	v_fmac_f64_e32 v[122:123], v[122:123], v[126:127]
	v_mul_f64 v[126:127], v[124:125], v[122:123]
	v_fma_f64 v[120:121], -v[120:121], v[126:127], v[124:125]
	v_div_fmas_f64 v[120:121], v[120:121], v[122:123], v[126:127]
	v_div_fixup_f64 v[118:119], v[120:121], v[118:119], 1.0
	scratch_store_dwordx2 v18, v[118:119], off
	v_xor_b32_e32 v119, 0x80000000, v119
.LBB120_3:
	s_cmpk_eq_i32 s4, 0x79
	v_add_u32_e32 v1, 0x1d0, v18
	v_mov_b32_e32 v19, v18
	s_mov_b64 s[0:1], -1
	ds_write_b64 v18, v[118:119]
	s_cbranch_scc1 .LBB120_557
; %bb.4:
	scratch_load_dwordx2 v[118:119], off, off offset:440
	s_movk_i32 s8, 0x48
	s_movk_i32 s9, 0x50
	;; [unrolled: 1-line block ×46, first 2 shown]
	v_cmp_eq_u32_e64 s[0:1], 56, v0
	s_waitcnt vmcnt(0)
	ds_write_b64 v1, v[118:119]
	s_waitcnt lgkmcnt(0)
	; wave barrier
	s_and_saveexec_b64 s[2:3], s[0:1]
	s_cbranch_execz .LBB120_10
; %bb.5:
	s_and_b64 vcc, exec, s[6:7]
	s_cbranch_vccz .LBB120_7
; %bb.6:
	scratch_load_dwordx2 v[118:119], v19, off
	ds_read_b64 v[120:121], v1
	s_waitcnt vmcnt(0) lgkmcnt(0)
	v_mul_f64 v[118:119], v[118:119], v[120:121]
	s_cbranch_execz .LBB120_8
	s_branch .LBB120_9
.LBB120_7:
                                        ; implicit-def: $vgpr118_vgpr119
.LBB120_8:
	ds_read_b64 v[118:119], v1
.LBB120_9:
	v_mov_b32_e32 v120, 0
	ds_read_b64 v[120:121], v120 offset:440
	s_waitcnt lgkmcnt(0)
	v_mul_f64 v[118:119], v[118:119], v[120:121]
	scratch_store_dwordx2 off, v[118:119], off offset:440
.LBB120_10:
	s_or_b64 exec, exec, s[2:3]
	scratch_load_dwordx2 v[118:119], off, off offset:432
	s_or_b32 s10, 0, 8
	s_mov_b32 s11, 16
	s_mov_b32 s12, 24
	;; [unrolled: 1-line block ×9, first 2 shown]
	v_cmp_lt_u32_e64 s[2:3], 54, v0
	s_waitcnt vmcnt(0)
	ds_write_b64 v1, v[118:119]
	s_waitcnt lgkmcnt(0)
	; wave barrier
	s_and_saveexec_b64 s[4:5], s[2:3]
	s_cbranch_execz .LBB120_16
; %bb.11:
	s_andn2_b64 vcc, exec, s[6:7]
	s_cbranch_vccnz .LBB120_13
; %bb.12:
	scratch_load_dwordx2 v[118:119], v19, off
	ds_read_b64 v[120:121], v1
	s_waitcnt vmcnt(0) lgkmcnt(0)
	v_mul_f64 v[118:119], v[118:119], v[120:121]
	s_cbranch_execz .LBB120_14
	s_branch .LBB120_15
.LBB120_13:
                                        ; implicit-def: $vgpr118_vgpr119
.LBB120_14:
	ds_read_b64 v[118:119], v1
.LBB120_15:
	scratch_load_dwordx2 v[124:125], off, off offset:440
	v_mov_b32_e32 v120, 0
	ds_read2_b64 v[120:123], v120 offset0:54 offset1:113
	s_waitcnt vmcnt(0) lgkmcnt(0)
	v_fma_f64 v[122:123], v[124:125], v[122:123], v[118:119]
	v_cndmask_b32_e64 v119, v119, v123, s[0:1]
	v_cndmask_b32_e64 v118, v118, v122, s[0:1]
	v_mul_f64 v[118:119], v[118:119], v[120:121]
	scratch_store_dwordx2 off, v[118:119], off offset:432
.LBB120_16:
	s_or_b64 exec, exec, s[4:5]
	scratch_load_dwordx2 v[118:119], off, off offset:424
	v_cmp_lt_u32_e64 s[0:1], 53, v0
	s_waitcnt vmcnt(0)
	ds_write_b64 v1, v[118:119]
	s_waitcnt lgkmcnt(0)
	; wave barrier
	s_and_saveexec_b64 s[4:5], s[0:1]
	s_cbranch_execz .LBB120_26
; %bb.17:
	s_andn2_b64 vcc, exec, s[6:7]
	s_cbranch_vccnz .LBB120_19
; %bb.18:
	scratch_load_dwordx2 v[118:119], v19, off
	ds_read_b64 v[120:121], v1
	s_waitcnt vmcnt(0) lgkmcnt(0)
	v_mul_f64 v[118:119], v[118:119], v[120:121]
	s_cbranch_execz .LBB120_20
	s_branch .LBB120_21
.LBB120_19:
                                        ; implicit-def: $vgpr118_vgpr119
.LBB120_20:
	ds_read_b64 v[118:119], v1
.LBB120_21:
	s_and_saveexec_b64 s[8:9], s[2:3]
	s_cbranch_execz .LBB120_25
; %bb.22:
	v_subrev_u32_e32 v120, 54, v0
	s_movk_i32 s65, 0x380
	s_mov_b64 s[2:3], 0
.LBB120_23:                             ; =>This Inner Loop Header: Depth=1
	scratch_load_dwordx2 v[122:123], off, s64
	v_mov_b32_e32 v121, s65
	ds_read_b64 v[124:125], v121
	v_add_u32_e32 v120, -1, v120
	s_add_i32 s65, s65, 8
	s_add_i32 s64, s64, 8
	v_cmp_eq_u32_e32 vcc, 0, v120
	s_or_b64 s[2:3], vcc, s[2:3]
	s_waitcnt vmcnt(0) lgkmcnt(0)
	v_fmac_f64_e32 v[118:119], v[122:123], v[124:125]
	s_andn2_b64 exec, exec, s[2:3]
	s_cbranch_execnz .LBB120_23
; %bb.24:
	s_or_b64 exec, exec, s[2:3]
.LBB120_25:
	s_or_b64 exec, exec, s[8:9]
	v_mov_b32_e32 v120, 0
	ds_read_b64 v[120:121], v120 offset:424
	s_waitcnt lgkmcnt(0)
	v_mul_f64 v[118:119], v[118:119], v[120:121]
	scratch_store_dwordx2 off, v[118:119], off offset:424
.LBB120_26:
	s_or_b64 exec, exec, s[4:5]
	scratch_load_dwordx2 v[118:119], off, off offset:416
	v_cmp_lt_u32_e64 s[2:3], 52, v0
	s_waitcnt vmcnt(0)
	ds_write_b64 v1, v[118:119]
	s_waitcnt lgkmcnt(0)
	; wave barrier
	s_and_saveexec_b64 s[4:5], s[2:3]
	s_cbranch_execz .LBB120_36
; %bb.27:
	s_andn2_b64 vcc, exec, s[6:7]
	s_cbranch_vccnz .LBB120_29
; %bb.28:
	scratch_load_dwordx2 v[118:119], v19, off
	ds_read_b64 v[120:121], v1
	s_waitcnt vmcnt(0) lgkmcnt(0)
	v_mul_f64 v[118:119], v[118:119], v[120:121]
	s_cbranch_execz .LBB120_30
	s_branch .LBB120_31
.LBB120_29:
                                        ; implicit-def: $vgpr118_vgpr119
.LBB120_30:
	ds_read_b64 v[118:119], v1
.LBB120_31:
	s_and_saveexec_b64 s[8:9], s[0:1]
	s_cbranch_execz .LBB120_35
; %bb.32:
	v_subrev_u32_e32 v120, 53, v0
	s_movk_i32 s64, 0x378
	s_mov_b64 s[0:1], 0
.LBB120_33:                             ; =>This Inner Loop Header: Depth=1
	scratch_load_dwordx2 v[122:123], off, s63
	v_mov_b32_e32 v121, s64
	ds_read_b64 v[124:125], v121
	v_add_u32_e32 v120, -1, v120
	s_add_i32 s64, s64, 8
	s_add_i32 s63, s63, 8
	v_cmp_eq_u32_e32 vcc, 0, v120
	s_or_b64 s[0:1], vcc, s[0:1]
	s_waitcnt vmcnt(0) lgkmcnt(0)
	v_fmac_f64_e32 v[118:119], v[122:123], v[124:125]
	s_andn2_b64 exec, exec, s[0:1]
	s_cbranch_execnz .LBB120_33
; %bb.34:
	s_or_b64 exec, exec, s[0:1]
.LBB120_35:
	s_or_b64 exec, exec, s[8:9]
	v_mov_b32_e32 v120, 0
	ds_read_b64 v[120:121], v120 offset:416
	s_waitcnt lgkmcnt(0)
	v_mul_f64 v[118:119], v[118:119], v[120:121]
	scratch_store_dwordx2 off, v[118:119], off offset:416
.LBB120_36:
	;; [unrolled: 53-line block ×8, first 2 shown]
	s_or_b64 exec, exec, s[4:5]
	scratch_load_dwordx2 v[118:119], off, off offset:360
	v_cmp_lt_u32_e64 s[0:1], 45, v0
	s_waitcnt vmcnt(0)
	ds_write_b64 v1, v[118:119]
	s_waitcnt lgkmcnt(0)
	; wave barrier
	s_and_saveexec_b64 s[4:5], s[0:1]
	s_cbranch_execz .LBB120_106
; %bb.97:
	s_andn2_b64 vcc, exec, s[6:7]
	s_cbranch_vccnz .LBB120_99
; %bb.98:
	scratch_load_dwordx2 v[118:119], v19, off
	ds_read_b64 v[120:121], v1
	s_waitcnt vmcnt(0) lgkmcnt(0)
	v_mul_f64 v[118:119], v[118:119], v[120:121]
	s_cbranch_execz .LBB120_100
	s_branch .LBB120_101
.LBB120_99:
                                        ; implicit-def: $vgpr118_vgpr119
.LBB120_100:
	ds_read_b64 v[118:119], v1
.LBB120_101:
	s_and_saveexec_b64 s[8:9], s[2:3]
	s_cbranch_execz .LBB120_105
; %bb.102:
	v_subrev_u32_e32 v120, 46, v0
	s_movk_i32 s57, 0x340
	s_mov_b64 s[2:3], 0
.LBB120_103:                            ; =>This Inner Loop Header: Depth=1
	scratch_load_dwordx2 v[122:123], off, s56
	v_mov_b32_e32 v121, s57
	ds_read_b64 v[124:125], v121
	v_add_u32_e32 v120, -1, v120
	s_add_i32 s57, s57, 8
	s_add_i32 s56, s56, 8
	v_cmp_eq_u32_e32 vcc, 0, v120
	s_or_b64 s[2:3], vcc, s[2:3]
	s_waitcnt vmcnt(0) lgkmcnt(0)
	v_fmac_f64_e32 v[118:119], v[122:123], v[124:125]
	s_andn2_b64 exec, exec, s[2:3]
	s_cbranch_execnz .LBB120_103
; %bb.104:
	s_or_b64 exec, exec, s[2:3]
.LBB120_105:
	s_or_b64 exec, exec, s[8:9]
	v_mov_b32_e32 v120, 0
	ds_read_b64 v[120:121], v120 offset:360
	s_waitcnt lgkmcnt(0)
	v_mul_f64 v[118:119], v[118:119], v[120:121]
	scratch_store_dwordx2 off, v[118:119], off offset:360
.LBB120_106:
	s_or_b64 exec, exec, s[4:5]
	scratch_load_dwordx2 v[118:119], off, off offset:352
	v_cmp_lt_u32_e64 s[2:3], 44, v0
	s_waitcnt vmcnt(0)
	ds_write_b64 v1, v[118:119]
	s_waitcnt lgkmcnt(0)
	; wave barrier
	s_and_saveexec_b64 s[4:5], s[2:3]
	s_cbranch_execz .LBB120_116
; %bb.107:
	s_andn2_b64 vcc, exec, s[6:7]
	s_cbranch_vccnz .LBB120_109
; %bb.108:
	scratch_load_dwordx2 v[118:119], v19, off
	ds_read_b64 v[120:121], v1
	s_waitcnt vmcnt(0) lgkmcnt(0)
	v_mul_f64 v[118:119], v[118:119], v[120:121]
	s_cbranch_execz .LBB120_110
	s_branch .LBB120_111
.LBB120_109:
                                        ; implicit-def: $vgpr118_vgpr119
.LBB120_110:
	ds_read_b64 v[118:119], v1
.LBB120_111:
	s_and_saveexec_b64 s[8:9], s[0:1]
	s_cbranch_execz .LBB120_115
; %bb.112:
	v_subrev_u32_e32 v120, 45, v0
	s_movk_i32 s56, 0x338
	s_mov_b64 s[0:1], 0
.LBB120_113:                            ; =>This Inner Loop Header: Depth=1
	scratch_load_dwordx2 v[122:123], off, s55
	v_mov_b32_e32 v121, s56
	ds_read_b64 v[124:125], v121
	v_add_u32_e32 v120, -1, v120
	s_add_i32 s56, s56, 8
	s_add_i32 s55, s55, 8
	v_cmp_eq_u32_e32 vcc, 0, v120
	s_or_b64 s[0:1], vcc, s[0:1]
	s_waitcnt vmcnt(0) lgkmcnt(0)
	v_fmac_f64_e32 v[118:119], v[122:123], v[124:125]
	s_andn2_b64 exec, exec, s[0:1]
	s_cbranch_execnz .LBB120_113
; %bb.114:
	s_or_b64 exec, exec, s[0:1]
.LBB120_115:
	s_or_b64 exec, exec, s[8:9]
	v_mov_b32_e32 v120, 0
	ds_read_b64 v[120:121], v120 offset:352
	s_waitcnt lgkmcnt(0)
	v_mul_f64 v[118:119], v[118:119], v[120:121]
	scratch_store_dwordx2 off, v[118:119], off offset:352
.LBB120_116:
	;; [unrolled: 53-line block ×30, first 2 shown]
	s_or_b64 exec, exec, s[4:5]
	scratch_load_dwordx2 v[118:119], off, off offset:120
	v_cmp_lt_u32_e64 s[0:1], 15, v0
	s_waitcnt vmcnt(0)
	ds_write_b64 v1, v[118:119]
	s_waitcnt lgkmcnt(0)
	; wave barrier
	s_and_saveexec_b64 s[4:5], s[0:1]
	s_cbranch_execz .LBB120_406
; %bb.397:
	s_andn2_b64 vcc, exec, s[6:7]
	s_cbranch_vccnz .LBB120_399
; %bb.398:
	scratch_load_dwordx2 v[118:119], v19, off
	ds_read_b64 v[120:121], v1
	s_waitcnt vmcnt(0) lgkmcnt(0)
	v_mul_f64 v[118:119], v[118:119], v[120:121]
	s_cbranch_execz .LBB120_400
	s_branch .LBB120_401
.LBB120_399:
                                        ; implicit-def: $vgpr118_vgpr119
.LBB120_400:
	ds_read_b64 v[118:119], v1
.LBB120_401:
	s_and_saveexec_b64 s[8:9], s[2:3]
	s_cbranch_execz .LBB120_405
; %bb.402:
	v_add_u32_e32 v120, -16, v0
	s_movk_i32 s26, 0x250
	s_mov_b64 s[2:3], 0
.LBB120_403:                            ; =>This Inner Loop Header: Depth=1
	scratch_load_dwordx2 v[122:123], off, s25
	v_mov_b32_e32 v121, s26
	ds_read_b64 v[124:125], v121
	v_add_u32_e32 v120, -1, v120
	s_add_i32 s26, s26, 8
	s_add_i32 s25, s25, 8
	v_cmp_eq_u32_e32 vcc, 0, v120
	s_or_b64 s[2:3], vcc, s[2:3]
	s_waitcnt vmcnt(0) lgkmcnt(0)
	v_fmac_f64_e32 v[118:119], v[122:123], v[124:125]
	s_andn2_b64 exec, exec, s[2:3]
	s_cbranch_execnz .LBB120_403
; %bb.404:
	s_or_b64 exec, exec, s[2:3]
.LBB120_405:
	s_or_b64 exec, exec, s[8:9]
	v_mov_b32_e32 v120, 0
	ds_read_b64 v[120:121], v120 offset:120
	s_waitcnt lgkmcnt(0)
	v_mul_f64 v[118:119], v[118:119], v[120:121]
	scratch_store_dwordx2 off, v[118:119], off offset:120
.LBB120_406:
	s_or_b64 exec, exec, s[4:5]
	scratch_load_dwordx2 v[118:119], off, off offset:112
	v_cmp_lt_u32_e64 s[2:3], 14, v0
	s_waitcnt vmcnt(0)
	ds_write_b64 v1, v[118:119]
	s_waitcnt lgkmcnt(0)
	; wave barrier
	s_and_saveexec_b64 s[4:5], s[2:3]
	s_cbranch_execz .LBB120_416
; %bb.407:
	s_andn2_b64 vcc, exec, s[6:7]
	s_cbranch_vccnz .LBB120_409
; %bb.408:
	scratch_load_dwordx2 v[118:119], v19, off
	ds_read_b64 v[120:121], v1
	s_waitcnt vmcnt(0) lgkmcnt(0)
	v_mul_f64 v[118:119], v[118:119], v[120:121]
	s_cbranch_execz .LBB120_410
	s_branch .LBB120_411
.LBB120_409:
                                        ; implicit-def: $vgpr118_vgpr119
.LBB120_410:
	ds_read_b64 v[118:119], v1
.LBB120_411:
	s_and_saveexec_b64 s[8:9], s[0:1]
	s_cbranch_execz .LBB120_415
; %bb.412:
	v_add_u32_e32 v120, -15, v0
	s_movk_i32 s25, 0x248
	s_mov_b64 s[0:1], 0
.LBB120_413:                            ; =>This Inner Loop Header: Depth=1
	scratch_load_dwordx2 v[122:123], off, s24
	v_mov_b32_e32 v121, s25
	ds_read_b64 v[124:125], v121
	v_add_u32_e32 v120, -1, v120
	s_add_i32 s25, s25, 8
	s_add_i32 s24, s24, 8
	v_cmp_eq_u32_e32 vcc, 0, v120
	s_or_b64 s[0:1], vcc, s[0:1]
	s_waitcnt vmcnt(0) lgkmcnt(0)
	v_fmac_f64_e32 v[118:119], v[122:123], v[124:125]
	s_andn2_b64 exec, exec, s[0:1]
	s_cbranch_execnz .LBB120_413
; %bb.414:
	s_or_b64 exec, exec, s[0:1]
.LBB120_415:
	s_or_b64 exec, exec, s[8:9]
	v_mov_b32_e32 v120, 0
	ds_read_b64 v[120:121], v120 offset:112
	s_waitcnt lgkmcnt(0)
	v_mul_f64 v[118:119], v[118:119], v[120:121]
	scratch_store_dwordx2 off, v[118:119], off offset:112
.LBB120_416:
	;; [unrolled: 53-line block ×15, first 2 shown]
	s_or_b64 exec, exec, s[4:5]
	scratch_load_dwordx2 v[118:119], off, off
	v_cmp_ne_u32_e32 vcc, 0, v0
	s_waitcnt vmcnt(0)
	ds_write_b64 v1, v[118:119]
	s_waitcnt lgkmcnt(0)
	; wave barrier
	s_and_saveexec_b64 s[2:3], vcc
	s_cbranch_execz .LBB120_556
; %bb.547:
	s_andn2_b64 vcc, exec, s[6:7]
	s_cbranch_vccnz .LBB120_549
; %bb.548:
	scratch_load_dwordx2 v[118:119], v19, off
	ds_read_b64 v[120:121], v1
	s_waitcnt vmcnt(0) lgkmcnt(0)
	v_mul_f64 v[118:119], v[118:119], v[120:121]
	s_cbranch_execz .LBB120_550
	s_branch .LBB120_551
.LBB120_549:
                                        ; implicit-def: $vgpr118_vgpr119
.LBB120_550:
	ds_read_b64 v[118:119], v1
.LBB120_551:
	s_and_saveexec_b64 s[4:5], s[0:1]
	s_cbranch_execz .LBB120_555
; %bb.552:
	v_add_u32_e32 v120, -1, v0
	s_movk_i32 s8, 0x1d8
	s_mov_b64 s[0:1], 0
.LBB120_553:                            ; =>This Inner Loop Header: Depth=1
	scratch_load_dwordx2 v[122:123], off, s10
	v_mov_b32_e32 v121, s8
	ds_read_b64 v[124:125], v121
	v_add_u32_e32 v120, -1, v120
	s_add_i32 s8, s8, 8
	s_add_i32 s10, s10, 8
	v_cmp_eq_u32_e32 vcc, 0, v120
	s_or_b64 s[0:1], vcc, s[0:1]
	s_waitcnt vmcnt(0) lgkmcnt(0)
	v_fmac_f64_e32 v[118:119], v[122:123], v[124:125]
	s_andn2_b64 exec, exec, s[0:1]
	s_cbranch_execnz .LBB120_553
; %bb.554:
	s_or_b64 exec, exec, s[0:1]
.LBB120_555:
	s_or_b64 exec, exec, s[4:5]
	v_mov_b32_e32 v120, 0
	ds_read_b64 v[120:121], v120
	s_waitcnt lgkmcnt(0)
	v_mul_f64 v[118:119], v[118:119], v[120:121]
	scratch_store_dwordx2 off, v[118:119], off
.LBB120_556:
	s_or_b64 exec, exec, s[2:3]
	s_mov_b64 s[0:1], 0
.LBB120_557:
	s_and_b64 vcc, exec, s[0:1]
	s_cbranch_vccz .LBB120_1109
; %bb.558:
	scratch_load_dwordx2 v[118:119], off, off offset:8
	v_cmp_eq_u32_e64 s[2:3], 0, v0
	s_waitcnt vmcnt(0)
	ds_write_b64 v1, v[118:119]
	s_waitcnt lgkmcnt(0)
	; wave barrier
	s_and_saveexec_b64 s[0:1], s[2:3]
	s_cbranch_execz .LBB120_564
; %bb.559:
	s_and_b64 vcc, exec, s[6:7]
	s_cbranch_vccz .LBB120_561
; %bb.560:
	scratch_load_dwordx2 v[118:119], v19, off
	ds_read_b64 v[120:121], v1
	s_waitcnt vmcnt(0) lgkmcnt(0)
	v_mul_f64 v[118:119], v[118:119], v[120:121]
	s_cbranch_execz .LBB120_562
	s_branch .LBB120_563
.LBB120_561:
                                        ; implicit-def: $vgpr118_vgpr119
.LBB120_562:
	ds_read_b64 v[118:119], v1
.LBB120_563:
	v_mov_b32_e32 v120, 0
	ds_read_b64 v[120:121], v120 offset:8
	s_waitcnt lgkmcnt(0)
	v_mul_f64 v[118:119], v[118:119], v[120:121]
	scratch_store_dwordx2 off, v[118:119], off offset:8
.LBB120_564:
	s_or_b64 exec, exec, s[0:1]
	scratch_load_dwordx2 v[118:119], off, off offset:16
	v_cndmask_b32_e64 v120, 0, 1, s[6:7]
	v_cmp_gt_u32_e32 vcc, 2, v0
	v_cmp_ne_u32_e64 s[0:1], 1, v120
	s_waitcnt vmcnt(0)
	ds_write_b64 v1, v[118:119]
	s_waitcnt lgkmcnt(0)
	; wave barrier
	s_and_saveexec_b64 s[4:5], vcc
	s_cbranch_execz .LBB120_570
; %bb.565:
	s_and_b64 vcc, exec, s[0:1]
	s_cbranch_vccnz .LBB120_567
; %bb.566:
	scratch_load_dwordx2 v[118:119], v19, off
	ds_read_b64 v[120:121], v1
	s_waitcnt vmcnt(0) lgkmcnt(0)
	v_mul_f64 v[118:119], v[118:119], v[120:121]
	s_cbranch_execz .LBB120_568
	s_branch .LBB120_569
.LBB120_567:
                                        ; implicit-def: $vgpr118_vgpr119
.LBB120_568:
	ds_read_b64 v[118:119], v1
.LBB120_569:
	scratch_load_dwordx2 v[124:125], off, off offset:8
	v_mov_b32_e32 v120, 0
	ds_read2_b64 v[120:123], v120 offset0:2 offset1:59
	s_waitcnt vmcnt(0) lgkmcnt(0)
	v_fma_f64 v[122:123], v[124:125], v[122:123], v[118:119]
	v_cndmask_b32_e64 v119, v119, v123, s[2:3]
	v_cndmask_b32_e64 v118, v118, v122, s[2:3]
	v_mul_f64 v[118:119], v[118:119], v[120:121]
	scratch_store_dwordx2 off, v[118:119], off offset:16
.LBB120_570:
	s_or_b64 exec, exec, s[4:5]
	scratch_load_dwordx2 v[118:119], off, off offset:24
	v_cmp_gt_u32_e32 vcc, 3, v0
	s_waitcnt vmcnt(0)
	ds_write_b64 v1, v[118:119]
	s_waitcnt lgkmcnt(0)
	; wave barrier
	s_and_saveexec_b64 s[4:5], vcc
	s_cbranch_execz .LBB120_578
; %bb.571:
	s_and_b64 vcc, exec, s[0:1]
	s_cbranch_vccnz .LBB120_573
; %bb.572:
	scratch_load_dwordx2 v[118:119], v19, off
	ds_read_b64 v[120:121], v1
	s_waitcnt vmcnt(0) lgkmcnt(0)
	v_mul_f64 v[118:119], v[118:119], v[120:121]
	s_cbranch_execz .LBB120_574
	s_branch .LBB120_575
.LBB120_573:
                                        ; implicit-def: $vgpr118_vgpr119
.LBB120_574:
	ds_read_b64 v[118:119], v1
.LBB120_575:
	v_cmp_ne_u32_e32 vcc, 2, v0
	s_and_saveexec_b64 s[6:7], vcc
	s_cbranch_execz .LBB120_577
; %bb.576:
	scratch_load_dwordx2 v[120:121], v19, off offset:8
	ds_read_b64 v[122:123], v1 offset:8
	s_waitcnt vmcnt(0) lgkmcnt(0)
	v_fmac_f64_e32 v[118:119], v[120:121], v[122:123]
	scratch_load_dwordx2 v[120:121], off, off offset:16
	v_mov_b32_e32 v122, 0
	ds_read_b64 v[122:123], v122 offset:480
	s_waitcnt vmcnt(0) lgkmcnt(0)
	v_fma_f64 v[120:121], v[120:121], v[122:123], v[118:119]
	v_cndmask_b32_e64 v119, v119, v121, s[2:3]
	v_cndmask_b32_e64 v118, v118, v120, s[2:3]
.LBB120_577:
	s_or_b64 exec, exec, s[6:7]
	v_mov_b32_e32 v120, 0
	ds_read_b64 v[120:121], v120 offset:24
	s_waitcnt lgkmcnt(0)
	v_mul_f64 v[118:119], v[118:119], v[120:121]
	scratch_store_dwordx2 off, v[118:119], off offset:24
.LBB120_578:
	s_or_b64 exec, exec, s[4:5]
	scratch_load_dwordx2 v[118:119], off, off offset:32
	v_cmp_gt_u32_e32 vcc, 4, v0
	s_waitcnt vmcnt(0)
	ds_write_b64 v1, v[118:119]
	s_waitcnt lgkmcnt(0)
	; wave barrier
	s_and_saveexec_b64 s[2:3], vcc
	s_cbranch_execz .LBB120_588
; %bb.579:
	s_and_b64 vcc, exec, s[0:1]
	s_cbranch_vccnz .LBB120_581
; %bb.580:
	scratch_load_dwordx2 v[118:119], v19, off
	ds_read_b64 v[120:121], v1
	s_waitcnt vmcnt(0) lgkmcnt(0)
	v_mul_f64 v[118:119], v[118:119], v[120:121]
	s_cbranch_execz .LBB120_582
	s_branch .LBB120_583
.LBB120_581:
                                        ; implicit-def: $vgpr118_vgpr119
.LBB120_582:
	ds_read_b64 v[118:119], v1
.LBB120_583:
	v_cmp_ne_u32_e32 vcc, 3, v0
	s_and_saveexec_b64 s[4:5], vcc
	s_cbranch_execz .LBB120_587
; %bb.584:
	s_mov_b32 s6, 0
	v_add_u32_e32 v120, 0x1d8, v18
	v_add3_u32 v121, v18, s6, 8
	s_mov_b64 s[6:7], 0
	v_mov_b32_e32 v122, v0
.LBB120_585:                            ; =>This Inner Loop Header: Depth=1
	scratch_load_dwordx2 v[124:125], v121, off
	ds_read_b64 v[126:127], v120
	v_add_u32_e32 v122, 1, v122
	v_cmp_lt_u32_e32 vcc, 2, v122
	v_add_u32_e32 v120, 8, v120
	v_add_u32_e32 v121, 8, v121
	s_or_b64 s[6:7], vcc, s[6:7]
	s_waitcnt vmcnt(0) lgkmcnt(0)
	v_fmac_f64_e32 v[118:119], v[124:125], v[126:127]
	s_andn2_b64 exec, exec, s[6:7]
	s_cbranch_execnz .LBB120_585
; %bb.586:
	s_or_b64 exec, exec, s[6:7]
.LBB120_587:
	s_or_b64 exec, exec, s[4:5]
	v_mov_b32_e32 v120, 0
	ds_read_b64 v[120:121], v120 offset:32
	s_waitcnt lgkmcnt(0)
	v_mul_f64 v[118:119], v[118:119], v[120:121]
	scratch_store_dwordx2 off, v[118:119], off offset:32
.LBB120_588:
	s_or_b64 exec, exec, s[2:3]
	scratch_load_dwordx2 v[118:119], off, off offset:40
	v_cmp_gt_u32_e32 vcc, 5, v0
	s_waitcnt vmcnt(0)
	ds_write_b64 v1, v[118:119]
	s_waitcnt lgkmcnt(0)
	; wave barrier
	s_and_saveexec_b64 s[2:3], vcc
	s_cbranch_execz .LBB120_598
; %bb.589:
	s_and_b64 vcc, exec, s[0:1]
	s_cbranch_vccnz .LBB120_591
; %bb.590:
	scratch_load_dwordx2 v[118:119], v19, off
	ds_read_b64 v[120:121], v1
	s_waitcnt vmcnt(0) lgkmcnt(0)
	v_mul_f64 v[118:119], v[118:119], v[120:121]
	s_cbranch_execz .LBB120_592
	s_branch .LBB120_593
.LBB120_591:
                                        ; implicit-def: $vgpr118_vgpr119
.LBB120_592:
	ds_read_b64 v[118:119], v1
.LBB120_593:
	v_cmp_ne_u32_e32 vcc, 4, v0
	s_and_saveexec_b64 s[4:5], vcc
	s_cbranch_execz .LBB120_597
; %bb.594:
	s_mov_b32 s6, 0
	v_add_u32_e32 v120, 0x1d8, v18
	v_add3_u32 v121, v18, s6, 8
	s_mov_b64 s[6:7], 0
	v_mov_b32_e32 v122, v0
.LBB120_595:                            ; =>This Inner Loop Header: Depth=1
	scratch_load_dwordx2 v[124:125], v121, off
	ds_read_b64 v[126:127], v120
	v_add_u32_e32 v122, 1, v122
	v_cmp_lt_u32_e32 vcc, 3, v122
	v_add_u32_e32 v120, 8, v120
	v_add_u32_e32 v121, 8, v121
	s_or_b64 s[6:7], vcc, s[6:7]
	s_waitcnt vmcnt(0) lgkmcnt(0)
	v_fmac_f64_e32 v[118:119], v[124:125], v[126:127]
	s_andn2_b64 exec, exec, s[6:7]
	s_cbranch_execnz .LBB120_595
; %bb.596:
	s_or_b64 exec, exec, s[6:7]
.LBB120_597:
	s_or_b64 exec, exec, s[4:5]
	v_mov_b32_e32 v120, 0
	ds_read_b64 v[120:121], v120 offset:40
	s_waitcnt lgkmcnt(0)
	v_mul_f64 v[118:119], v[118:119], v[120:121]
	scratch_store_dwordx2 off, v[118:119], off offset:40
.LBB120_598:
	;; [unrolled: 55-line block ×42, first 2 shown]
	s_or_b64 exec, exec, s[2:3]
	scratch_load_dwordx2 v[118:119], off, off offset:368
	v_cmp_gt_u32_e32 vcc, 46, v0
	s_waitcnt vmcnt(0)
	ds_write_b64 v1, v[118:119]
	s_waitcnt lgkmcnt(0)
	; wave barrier
	s_and_saveexec_b64 s[2:3], vcc
	s_cbranch_execz .LBB120_1008
; %bb.999:
	s_and_b64 vcc, exec, s[0:1]
	s_cbranch_vccnz .LBB120_1001
; %bb.1000:
	scratch_load_dwordx2 v[118:119], v19, off
	ds_read_b64 v[120:121], v1
	s_waitcnt vmcnt(0) lgkmcnt(0)
	v_mul_f64 v[118:119], v[118:119], v[120:121]
	s_cbranch_execz .LBB120_1002
	s_branch .LBB120_1003
.LBB120_1001:
                                        ; implicit-def: $vgpr118_vgpr119
.LBB120_1002:
	ds_read_b64 v[118:119], v1
.LBB120_1003:
	v_cmp_ne_u32_e32 vcc, 45, v0
	s_and_saveexec_b64 s[4:5], vcc
	s_cbranch_execz .LBB120_1007
; %bb.1004:
	s_mov_b32 s6, 0
	v_add_u32_e32 v120, 0x1d8, v18
	v_add3_u32 v121, v18, s6, 8
	s_mov_b64 s[6:7], 0
	v_mov_b32_e32 v122, v0
.LBB120_1005:                           ; =>This Inner Loop Header: Depth=1
	scratch_load_dwordx2 v[124:125], v121, off
	ds_read_b64 v[126:127], v120
	v_add_u32_e32 v122, 1, v122
	v_cmp_lt_u32_e32 vcc, 44, v122
	v_add_u32_e32 v120, 8, v120
	v_add_u32_e32 v121, 8, v121
	s_or_b64 s[6:7], vcc, s[6:7]
	s_waitcnt vmcnt(0) lgkmcnt(0)
	v_fmac_f64_e32 v[118:119], v[124:125], v[126:127]
	s_andn2_b64 exec, exec, s[6:7]
	s_cbranch_execnz .LBB120_1005
; %bb.1006:
	s_or_b64 exec, exec, s[6:7]
.LBB120_1007:
	s_or_b64 exec, exec, s[4:5]
	v_mov_b32_e32 v120, 0
	ds_read_b64 v[120:121], v120 offset:368
	s_waitcnt lgkmcnt(0)
	v_mul_f64 v[118:119], v[118:119], v[120:121]
	scratch_store_dwordx2 off, v[118:119], off offset:368
.LBB120_1008:
	s_or_b64 exec, exec, s[2:3]
	scratch_load_dwordx2 v[118:119], off, off offset:376
	v_cmp_gt_u32_e32 vcc, 47, v0
	s_waitcnt vmcnt(0)
	ds_write_b64 v1, v[118:119]
	s_waitcnt lgkmcnt(0)
	; wave barrier
	s_and_saveexec_b64 s[2:3], vcc
	s_cbranch_execz .LBB120_1018
; %bb.1009:
	s_and_b64 vcc, exec, s[0:1]
	s_cbranch_vccnz .LBB120_1011
; %bb.1010:
	scratch_load_dwordx2 v[118:119], v19, off
	ds_read_b64 v[120:121], v1
	s_waitcnt vmcnt(0) lgkmcnt(0)
	v_mul_f64 v[118:119], v[118:119], v[120:121]
	s_cbranch_execz .LBB120_1012
	s_branch .LBB120_1013
.LBB120_1011:
                                        ; implicit-def: $vgpr118_vgpr119
.LBB120_1012:
	ds_read_b64 v[118:119], v1
.LBB120_1013:
	v_cmp_ne_u32_e32 vcc, 46, v0
	s_and_saveexec_b64 s[4:5], vcc
	s_cbranch_execz .LBB120_1017
; %bb.1014:
	s_mov_b32 s6, 0
	v_add_u32_e32 v120, 0x1d8, v18
	v_add3_u32 v121, v18, s6, 8
	s_mov_b64 s[6:7], 0
	v_mov_b32_e32 v122, v0
.LBB120_1015:                           ; =>This Inner Loop Header: Depth=1
	scratch_load_dwordx2 v[124:125], v121, off
	ds_read_b64 v[126:127], v120
	v_add_u32_e32 v122, 1, v122
	v_cmp_lt_u32_e32 vcc, 45, v122
	v_add_u32_e32 v120, 8, v120
	v_add_u32_e32 v121, 8, v121
	s_or_b64 s[6:7], vcc, s[6:7]
	s_waitcnt vmcnt(0) lgkmcnt(0)
	v_fmac_f64_e32 v[118:119], v[124:125], v[126:127]
	s_andn2_b64 exec, exec, s[6:7]
	s_cbranch_execnz .LBB120_1015
; %bb.1016:
	s_or_b64 exec, exec, s[6:7]
.LBB120_1017:
	s_or_b64 exec, exec, s[4:5]
	v_mov_b32_e32 v120, 0
	ds_read_b64 v[120:121], v120 offset:376
	s_waitcnt lgkmcnt(0)
	v_mul_f64 v[118:119], v[118:119], v[120:121]
	scratch_store_dwordx2 off, v[118:119], off offset:376
.LBB120_1018:
	;; [unrolled: 55-line block ×9, first 2 shown]
	s_or_b64 exec, exec, s[2:3]
	scratch_load_dwordx2 v[118:119], off, off offset:440
	v_cmp_gt_u32_e64 s[2:3], 55, v0
	s_waitcnt vmcnt(0)
	ds_write_b64 v1, v[118:119]
	s_waitcnt lgkmcnt(0)
	; wave barrier
	s_and_saveexec_b64 s[4:5], s[2:3]
	s_cbranch_execz .LBB120_1098
; %bb.1089:
	s_and_b64 vcc, exec, s[0:1]
	s_cbranch_vccnz .LBB120_1091
; %bb.1090:
	scratch_load_dwordx2 v[118:119], v19, off
	ds_read_b64 v[120:121], v1
	s_waitcnt vmcnt(0) lgkmcnt(0)
	v_mul_f64 v[118:119], v[118:119], v[120:121]
	s_cbranch_execz .LBB120_1092
	s_branch .LBB120_1093
.LBB120_1091:
                                        ; implicit-def: $vgpr118_vgpr119
.LBB120_1092:
	ds_read_b64 v[118:119], v1
.LBB120_1093:
	v_cmp_ne_u32_e32 vcc, 54, v0
	s_and_saveexec_b64 s[6:7], vcc
	s_cbranch_execz .LBB120_1097
; %bb.1094:
	s_mov_b32 s8, 0
	v_add_u32_e32 v120, 0x1d8, v18
	v_add3_u32 v121, v18, s8, 8
	s_mov_b64 s[8:9], 0
	v_mov_b32_e32 v122, v0
.LBB120_1095:                           ; =>This Inner Loop Header: Depth=1
	scratch_load_dwordx2 v[124:125], v121, off
	ds_read_b64 v[126:127], v120
	v_add_u32_e32 v122, 1, v122
	v_cmp_lt_u32_e32 vcc, 53, v122
	v_add_u32_e32 v120, 8, v120
	v_add_u32_e32 v121, 8, v121
	s_or_b64 s[8:9], vcc, s[8:9]
	s_waitcnt vmcnt(0) lgkmcnt(0)
	v_fmac_f64_e32 v[118:119], v[124:125], v[126:127]
	s_andn2_b64 exec, exec, s[8:9]
	s_cbranch_execnz .LBB120_1095
; %bb.1096:
	s_or_b64 exec, exec, s[8:9]
.LBB120_1097:
	s_or_b64 exec, exec, s[6:7]
	v_mov_b32_e32 v120, 0
	ds_read_b64 v[120:121], v120 offset:440
	s_waitcnt lgkmcnt(0)
	v_mul_f64 v[118:119], v[118:119], v[120:121]
	scratch_store_dwordx2 off, v[118:119], off offset:440
.LBB120_1098:
	s_or_b64 exec, exec, s[4:5]
	scratch_load_dwordx2 v[118:119], off, off offset:448
	v_cmp_ne_u32_e32 vcc, 56, v0
	s_waitcnt vmcnt(0)
	ds_write_b64 v1, v[118:119]
	s_waitcnt lgkmcnt(0)
	; wave barrier
	s_and_saveexec_b64 s[4:5], vcc
	s_cbranch_execz .LBB120_1108
; %bb.1099:
	s_and_b64 vcc, exec, s[0:1]
	s_cbranch_vccnz .LBB120_1101
; %bb.1100:
	scratch_load_dwordx2 v[118:119], v19, off
	ds_read_b64 v[120:121], v1
	s_waitcnt vmcnt(0) lgkmcnt(0)
	v_mul_f64 v[118:119], v[118:119], v[120:121]
	s_cbranch_execz .LBB120_1102
	s_branch .LBB120_1103
.LBB120_1101:
                                        ; implicit-def: $vgpr118_vgpr119
.LBB120_1102:
	ds_read_b64 v[118:119], v1
.LBB120_1103:
	s_and_saveexec_b64 s[0:1], s[2:3]
	s_cbranch_execz .LBB120_1107
; %bb.1104:
	s_mov_b32 s2, 0
	v_add_u32_e32 v1, 0x1d8, v18
	v_add3_u32 v18, v18, s2, 8
	s_mov_b64 s[2:3], 0
.LBB120_1105:                           ; =>This Inner Loop Header: Depth=1
	scratch_load_dwordx2 v[120:121], v18, off
	ds_read_b64 v[122:123], v1
	v_add_u32_e32 v0, 1, v0
	v_cmp_lt_u32_e32 vcc, 54, v0
	v_add_u32_e32 v1, 8, v1
	v_add_u32_e32 v18, 8, v18
	s_or_b64 s[2:3], vcc, s[2:3]
	s_waitcnt vmcnt(0) lgkmcnt(0)
	v_fmac_f64_e32 v[118:119], v[120:121], v[122:123]
	s_andn2_b64 exec, exec, s[2:3]
	s_cbranch_execnz .LBB120_1105
; %bb.1106:
	s_or_b64 exec, exec, s[2:3]
.LBB120_1107:
	s_or_b64 exec, exec, s[0:1]
	v_mov_b32_e32 v0, 0
	ds_read_b64 v[0:1], v0 offset:448
	s_waitcnt lgkmcnt(0)
	v_mul_f64 v[0:1], v[118:119], v[0:1]
	scratch_store_dwordx2 off, v[0:1], off offset:448
.LBB120_1108:
	s_or_b64 exec, exec, s[4:5]
.LBB120_1109:
	scratch_load_dwordx2 v[0:1], off, off
	s_waitcnt vmcnt(0)
	flat_store_dwordx2 v[2:3], v[0:1]
	scratch_load_dwordx2 v[0:1], off, off offset:8
	s_waitcnt vmcnt(0)
	flat_store_dwordx2 v[4:5], v[0:1]
	scratch_load_dwordx2 v[0:1], off, off offset:16
	;; [unrolled: 3-line block ×56, first 2 shown]
	s_waitcnt vmcnt(0)
	flat_store_dwordx2 v[116:117], v[0:1]
.LBB120_1110:
	s_endpgm
	.section	.rodata,"a",@progbits
	.p2align	6, 0x0
	.amdhsa_kernel _ZN9rocsolver6v33100L18trti2_kernel_smallILi57EdPKPdEEv13rocblas_fill_17rocblas_diagonal_T1_iil
		.amdhsa_group_segment_fixed_size 920
		.amdhsa_private_segment_fixed_size 464
		.amdhsa_kernarg_size 32
		.amdhsa_user_sgpr_count 2
		.amdhsa_user_sgpr_dispatch_ptr 0
		.amdhsa_user_sgpr_queue_ptr 0
		.amdhsa_user_sgpr_kernarg_segment_ptr 1
		.amdhsa_user_sgpr_dispatch_id 0
		.amdhsa_user_sgpr_kernarg_preload_length 0
		.amdhsa_user_sgpr_kernarg_preload_offset 0
		.amdhsa_user_sgpr_private_segment_size 0
		.amdhsa_uses_dynamic_stack 0
		.amdhsa_enable_private_segment 1
		.amdhsa_system_sgpr_workgroup_id_x 1
		.amdhsa_system_sgpr_workgroup_id_y 0
		.amdhsa_system_sgpr_workgroup_id_z 0
		.amdhsa_system_sgpr_workgroup_info 0
		.amdhsa_system_vgpr_workitem_id 0
		.amdhsa_next_free_vgpr 128
		.amdhsa_next_free_sgpr 66
		.amdhsa_accum_offset 128
		.amdhsa_reserve_vcc 1
		.amdhsa_float_round_mode_32 0
		.amdhsa_float_round_mode_16_64 0
		.amdhsa_float_denorm_mode_32 3
		.amdhsa_float_denorm_mode_16_64 3
		.amdhsa_dx10_clamp 1
		.amdhsa_ieee_mode 1
		.amdhsa_fp16_overflow 0
		.amdhsa_tg_split 0
		.amdhsa_exception_fp_ieee_invalid_op 0
		.amdhsa_exception_fp_denorm_src 0
		.amdhsa_exception_fp_ieee_div_zero 0
		.amdhsa_exception_fp_ieee_overflow 0
		.amdhsa_exception_fp_ieee_underflow 0
		.amdhsa_exception_fp_ieee_inexact 0
		.amdhsa_exception_int_div_zero 0
	.end_amdhsa_kernel
	.section	.text._ZN9rocsolver6v33100L18trti2_kernel_smallILi57EdPKPdEEv13rocblas_fill_17rocblas_diagonal_T1_iil,"axG",@progbits,_ZN9rocsolver6v33100L18trti2_kernel_smallILi57EdPKPdEEv13rocblas_fill_17rocblas_diagonal_T1_iil,comdat
.Lfunc_end120:
	.size	_ZN9rocsolver6v33100L18trti2_kernel_smallILi57EdPKPdEEv13rocblas_fill_17rocblas_diagonal_T1_iil, .Lfunc_end120-_ZN9rocsolver6v33100L18trti2_kernel_smallILi57EdPKPdEEv13rocblas_fill_17rocblas_diagonal_T1_iil
                                        ; -- End function
	.set _ZN9rocsolver6v33100L18trti2_kernel_smallILi57EdPKPdEEv13rocblas_fill_17rocblas_diagonal_T1_iil.num_vgpr, 128
	.set _ZN9rocsolver6v33100L18trti2_kernel_smallILi57EdPKPdEEv13rocblas_fill_17rocblas_diagonal_T1_iil.num_agpr, 0
	.set _ZN9rocsolver6v33100L18trti2_kernel_smallILi57EdPKPdEEv13rocblas_fill_17rocblas_diagonal_T1_iil.numbered_sgpr, 66
	.set _ZN9rocsolver6v33100L18trti2_kernel_smallILi57EdPKPdEEv13rocblas_fill_17rocblas_diagonal_T1_iil.num_named_barrier, 0
	.set _ZN9rocsolver6v33100L18trti2_kernel_smallILi57EdPKPdEEv13rocblas_fill_17rocblas_diagonal_T1_iil.private_seg_size, 464
	.set _ZN9rocsolver6v33100L18trti2_kernel_smallILi57EdPKPdEEv13rocblas_fill_17rocblas_diagonal_T1_iil.uses_vcc, 1
	.set _ZN9rocsolver6v33100L18trti2_kernel_smallILi57EdPKPdEEv13rocblas_fill_17rocblas_diagonal_T1_iil.uses_flat_scratch, 0
	.set _ZN9rocsolver6v33100L18trti2_kernel_smallILi57EdPKPdEEv13rocblas_fill_17rocblas_diagonal_T1_iil.has_dyn_sized_stack, 0
	.set _ZN9rocsolver6v33100L18trti2_kernel_smallILi57EdPKPdEEv13rocblas_fill_17rocblas_diagonal_T1_iil.has_recursion, 0
	.set _ZN9rocsolver6v33100L18trti2_kernel_smallILi57EdPKPdEEv13rocblas_fill_17rocblas_diagonal_T1_iil.has_indirect_call, 0
	.section	.AMDGPU.csdata,"",@progbits
; Kernel info:
; codeLenInByte = 27784
; TotalNumSgprs: 72
; NumVgprs: 128
; NumAgprs: 0
; TotalNumVgprs: 128
; ScratchSize: 464
; MemoryBound: 0
; FloatMode: 240
; IeeeMode: 1
; LDSByteSize: 920 bytes/workgroup (compile time only)
; SGPRBlocks: 8
; VGPRBlocks: 15
; NumSGPRsForWavesPerEU: 72
; NumVGPRsForWavesPerEU: 128
; AccumOffset: 128
; Occupancy: 4
; WaveLimiterHint : 1
; COMPUTE_PGM_RSRC2:SCRATCH_EN: 1
; COMPUTE_PGM_RSRC2:USER_SGPR: 2
; COMPUTE_PGM_RSRC2:TRAP_HANDLER: 0
; COMPUTE_PGM_RSRC2:TGID_X_EN: 1
; COMPUTE_PGM_RSRC2:TGID_Y_EN: 0
; COMPUTE_PGM_RSRC2:TGID_Z_EN: 0
; COMPUTE_PGM_RSRC2:TIDIG_COMP_CNT: 0
; COMPUTE_PGM_RSRC3_GFX90A:ACCUM_OFFSET: 31
; COMPUTE_PGM_RSRC3_GFX90A:TG_SPLIT: 0
	.section	.text._ZN9rocsolver6v33100L18trti2_kernel_smallILi58EdPKPdEEv13rocblas_fill_17rocblas_diagonal_T1_iil,"axG",@progbits,_ZN9rocsolver6v33100L18trti2_kernel_smallILi58EdPKPdEEv13rocblas_fill_17rocblas_diagonal_T1_iil,comdat
	.globl	_ZN9rocsolver6v33100L18trti2_kernel_smallILi58EdPKPdEEv13rocblas_fill_17rocblas_diagonal_T1_iil ; -- Begin function _ZN9rocsolver6v33100L18trti2_kernel_smallILi58EdPKPdEEv13rocblas_fill_17rocblas_diagonal_T1_iil
	.p2align	8
	.type	_ZN9rocsolver6v33100L18trti2_kernel_smallILi58EdPKPdEEv13rocblas_fill_17rocblas_diagonal_T1_iil,@function
_ZN9rocsolver6v33100L18trti2_kernel_smallILi58EdPKPdEEv13rocblas_fill_17rocblas_diagonal_T1_iil: ; @_ZN9rocsolver6v33100L18trti2_kernel_smallILi58EdPKPdEEv13rocblas_fill_17rocblas_diagonal_T1_iil
; %bb.0:
	v_cmp_gt_u32_e32 vcc, 58, v0
	s_and_saveexec_b64 s[4:5], vcc
	s_cbranch_execz .LBB121_1130
; %bb.1:
	s_load_dwordx2 s[8:9], s[0:1], 0x10
	s_load_dwordx4 s[4:7], s[0:1], 0x0
	s_ashr_i32 s3, s2, 31
	s_lshl_b64 s[0:1], s[2:3], 3
	v_lshlrev_b32_e32 v18, 3, v0
	s_waitcnt lgkmcnt(0)
	s_ashr_i32 s3, s8, 31
	s_add_u32 s0, s6, s0
	s_addc_u32 s1, s7, s1
	s_load_dwordx2 s[0:1], s[0:1], 0x0
	s_mov_b32 s2, s8
	s_lshl_b64 s[2:3], s[2:3], 3
	v_mov_b32_e32 v19, 0
	s_waitcnt lgkmcnt(0)
	s_add_u32 s0, s0, s2
	s_addc_u32 s1, s1, s3
	v_lshl_add_u64 v[2:3], s[0:1], 0, v[18:19]
	flat_load_dwordx2 v[6:7], v[2:3]
	s_mov_b32 s2, s9
	s_ashr_i32 s3, s9, 31
	v_lshl_add_u64 v[4:5], s[2:3], 3, v[2:3]
	s_add_i32 s2, s9, s9
	v_add_u32_e32 v10, s2, v0
	v_ashrrev_i32_e32 v11, 31, v10
	s_cmpk_lg_i32 s5, 0x84
	s_cselect_b64 s[6:7], -1, 0
	s_cmpk_eq_i32 s5, 0x84
	s_waitcnt vmcnt(0) lgkmcnt(0)
	scratch_store_dwordx2 off, v[6:7], off
	flat_load_dwordx2 v[8:9], v[4:5]
	v_lshl_add_u64 v[6:7], v[10:11], 3, s[0:1]
	v_add_u32_e32 v10, s9, v10
	v_ashrrev_i32_e32 v11, 31, v10
	v_add_u32_e32 v14, s9, v10
	v_ashrrev_i32_e32 v15, 31, v14
	s_waitcnt vmcnt(0) lgkmcnt(0)
	scratch_store_dwordx2 off, v[8:9], off offset:8
	flat_load_dwordx2 v[12:13], v[6:7]
	v_lshl_add_u64 v[8:9], v[10:11], 3, s[0:1]
	v_lshl_add_u64 v[10:11], v[14:15], 3, s[0:1]
	v_add_u32_e32 v14, s9, v14
	v_ashrrev_i32_e32 v15, 31, v14
	v_add_u32_e32 v20, s9, v14
	v_ashrrev_i32_e32 v21, 31, v20
	s_waitcnt vmcnt(0) lgkmcnt(0)
	scratch_store_dwordx2 off, v[12:13], off offset:16
	flat_load_dwordx2 v[12:13], v[8:9]
	s_waitcnt vmcnt(0) lgkmcnt(0)
	scratch_store_dwordx2 off, v[12:13], off offset:24
	flat_load_dwordx2 v[16:17], v[10:11]
	v_lshl_add_u64 v[12:13], v[14:15], 3, s[0:1]
	v_lshl_add_u64 v[14:15], v[20:21], 3, s[0:1]
	v_add_u32_e32 v20, s9, v20
	v_ashrrev_i32_e32 v21, 31, v20
	v_add_u32_e32 v24, s9, v20
	v_ashrrev_i32_e32 v25, 31, v24
	s_waitcnt vmcnt(0) lgkmcnt(0)
	scratch_store_dwordx2 off, v[16:17], off offset:32
	flat_load_dwordx2 v[16:17], v[12:13]
	;; [unrolled: 12-line block ×26, first 2 shown]
	s_waitcnt vmcnt(0) lgkmcnt(0)
	scratch_store_dwordx2 off, v[114:115], off offset:424
	flat_load_dwordx2 v[118:119], v[112:113]
	v_lshl_add_u64 v[114:115], v[116:117], 3, s[0:1]
	v_lshl_add_u64 v[116:117], v[120:121], 3, s[0:1]
	s_waitcnt vmcnt(0) lgkmcnt(0)
	scratch_store_dwordx2 off, v[118:119], off offset:432
	flat_load_dwordx2 v[118:119], v[114:115]
	s_waitcnt vmcnt(0) lgkmcnt(0)
	scratch_store_dwordx2 off, v[118:119], off offset:440
	flat_load_dwordx2 v[122:123], v[116:117]
	v_add_u32_e32 v118, s9, v120
	v_ashrrev_i32_e32 v119, 31, v118
	v_lshl_add_u64 v[118:119], v[118:119], 3, s[0:1]
	s_waitcnt vmcnt(0) lgkmcnt(0)
	scratch_store_dwordx2 off, v[122:123], off offset:448
	flat_load_dwordx2 v[120:121], v[118:119]
	s_waitcnt vmcnt(0) lgkmcnt(0)
	scratch_store_dwordx2 off, v[120:121], off offset:456
	v_mov_b64_e32 v[120:121], -1.0
	s_cbranch_scc1 .LBB121_3
; %bb.2:
	scratch_load_dwordx2 v[120:121], v18, off
	s_waitcnt vmcnt(0)
	v_div_scale_f64 v[122:123], s[0:1], v[120:121], v[120:121], 1.0
	v_rcp_f64_e32 v[124:125], v[122:123]
	v_div_scale_f64 v[126:127], vcc, 1.0, v[120:121], 1.0
	v_fma_f64 v[128:129], -v[122:123], v[124:125], 1.0
	v_fmac_f64_e32 v[124:125], v[124:125], v[128:129]
	v_fma_f64 v[128:129], -v[122:123], v[124:125], 1.0
	v_fmac_f64_e32 v[124:125], v[124:125], v[128:129]
	v_mul_f64 v[128:129], v[126:127], v[124:125]
	v_fma_f64 v[122:123], -v[122:123], v[128:129], v[126:127]
	v_div_fmas_f64 v[122:123], v[122:123], v[124:125], v[128:129]
	v_div_fixup_f64 v[120:121], v[122:123], v[120:121], 1.0
	scratch_store_dwordx2 v18, v[120:121], off
	v_xor_b32_e32 v121, 0x80000000, v121
.LBB121_3:
	s_cmpk_eq_i32 s4, 0x79
	v_add_u32_e32 v1, 0x1d0, v18
	v_mov_b32_e32 v19, v18
	s_mov_b64 s[0:1], -1
	ds_write_b64 v18, v[120:121]
	s_cbranch_scc1 .LBB121_567
; %bb.4:
	scratch_load_dwordx2 v[120:121], off, off offset:448
	s_movk_i32 s8, 0x48
	s_movk_i32 s9, 0x50
	;; [unrolled: 1-line block ×47, first 2 shown]
	v_cmp_eq_u32_e64 s[0:1], 57, v0
	s_waitcnt vmcnt(0)
	ds_write_b64 v1, v[120:121]
	s_waitcnt lgkmcnt(0)
	; wave barrier
	s_and_saveexec_b64 s[2:3], s[0:1]
	s_cbranch_execz .LBB121_10
; %bb.5:
	s_and_b64 vcc, exec, s[6:7]
	s_cbranch_vccz .LBB121_7
; %bb.6:
	scratch_load_dwordx2 v[120:121], v19, off
	ds_read_b64 v[122:123], v1
	s_waitcnt vmcnt(0) lgkmcnt(0)
	v_mul_f64 v[120:121], v[120:121], v[122:123]
	s_cbranch_execz .LBB121_8
	s_branch .LBB121_9
.LBB121_7:
                                        ; implicit-def: $vgpr120_vgpr121
.LBB121_8:
	ds_read_b64 v[120:121], v1
.LBB121_9:
	v_mov_b32_e32 v122, 0
	ds_read_b64 v[122:123], v122 offset:448
	s_waitcnt lgkmcnt(0)
	v_mul_f64 v[120:121], v[120:121], v[122:123]
	scratch_store_dwordx2 off, v[120:121], off offset:448
.LBB121_10:
	s_or_b64 exec, exec, s[2:3]
	scratch_load_dwordx2 v[120:121], off, off offset:440
	s_or_b32 s10, 0, 8
	s_mov_b32 s11, 16
	s_mov_b32 s12, 24
	;; [unrolled: 1-line block ×9, first 2 shown]
	v_cmp_lt_u32_e64 s[2:3], 55, v0
	s_waitcnt vmcnt(0)
	ds_write_b64 v1, v[120:121]
	s_waitcnt lgkmcnt(0)
	; wave barrier
	s_and_saveexec_b64 s[4:5], s[2:3]
	s_cbranch_execz .LBB121_16
; %bb.11:
	s_andn2_b64 vcc, exec, s[6:7]
	s_cbranch_vccnz .LBB121_13
; %bb.12:
	scratch_load_dwordx2 v[120:121], v19, off
	ds_read_b64 v[122:123], v1
	s_waitcnt vmcnt(0) lgkmcnt(0)
	v_mul_f64 v[120:121], v[120:121], v[122:123]
	s_cbranch_execz .LBB121_14
	s_branch .LBB121_15
.LBB121_13:
                                        ; implicit-def: $vgpr120_vgpr121
.LBB121_14:
	ds_read_b64 v[120:121], v1
.LBB121_15:
	scratch_load_dwordx2 v[126:127], off, off offset:448
	v_mov_b32_e32 v122, 0
	ds_read2_b64 v[122:125], v122 offset0:55 offset1:114
	s_waitcnt vmcnt(0) lgkmcnt(0)
	v_fma_f64 v[124:125], v[126:127], v[124:125], v[120:121]
	v_cndmask_b32_e64 v121, v121, v125, s[0:1]
	v_cndmask_b32_e64 v120, v120, v124, s[0:1]
	v_mul_f64 v[120:121], v[120:121], v[122:123]
	scratch_store_dwordx2 off, v[120:121], off offset:440
.LBB121_16:
	s_or_b64 exec, exec, s[4:5]
	scratch_load_dwordx2 v[120:121], off, off offset:432
	v_cmp_lt_u32_e64 s[0:1], 54, v0
	s_waitcnt vmcnt(0)
	ds_write_b64 v1, v[120:121]
	s_waitcnt lgkmcnt(0)
	; wave barrier
	s_and_saveexec_b64 s[4:5], s[0:1]
	s_cbranch_execz .LBB121_26
; %bb.17:
	s_andn2_b64 vcc, exec, s[6:7]
	s_cbranch_vccnz .LBB121_19
; %bb.18:
	scratch_load_dwordx2 v[120:121], v19, off
	ds_read_b64 v[122:123], v1
	s_waitcnt vmcnt(0) lgkmcnt(0)
	v_mul_f64 v[120:121], v[120:121], v[122:123]
	s_cbranch_execz .LBB121_20
	s_branch .LBB121_21
.LBB121_19:
                                        ; implicit-def: $vgpr120_vgpr121
.LBB121_20:
	ds_read_b64 v[120:121], v1
.LBB121_21:
	s_and_saveexec_b64 s[8:9], s[2:3]
	s_cbranch_execz .LBB121_25
; %bb.22:
	v_subrev_u32_e32 v122, 55, v0
	s_movk_i32 s66, 0x388
	s_mov_b64 s[2:3], 0
.LBB121_23:                             ; =>This Inner Loop Header: Depth=1
	scratch_load_dwordx2 v[124:125], off, s65
	v_mov_b32_e32 v123, s66
	ds_read_b64 v[126:127], v123
	v_add_u32_e32 v122, -1, v122
	s_add_i32 s66, s66, 8
	s_add_i32 s65, s65, 8
	v_cmp_eq_u32_e32 vcc, 0, v122
	s_or_b64 s[2:3], vcc, s[2:3]
	s_waitcnt vmcnt(0) lgkmcnt(0)
	v_fmac_f64_e32 v[120:121], v[124:125], v[126:127]
	s_andn2_b64 exec, exec, s[2:3]
	s_cbranch_execnz .LBB121_23
; %bb.24:
	s_or_b64 exec, exec, s[2:3]
.LBB121_25:
	s_or_b64 exec, exec, s[8:9]
	v_mov_b32_e32 v122, 0
	ds_read_b64 v[122:123], v122 offset:432
	s_waitcnt lgkmcnt(0)
	v_mul_f64 v[120:121], v[120:121], v[122:123]
	scratch_store_dwordx2 off, v[120:121], off offset:432
.LBB121_26:
	s_or_b64 exec, exec, s[4:5]
	scratch_load_dwordx2 v[120:121], off, off offset:424
	v_cmp_lt_u32_e64 s[2:3], 53, v0
	s_waitcnt vmcnt(0)
	ds_write_b64 v1, v[120:121]
	s_waitcnt lgkmcnt(0)
	; wave barrier
	s_and_saveexec_b64 s[4:5], s[2:3]
	s_cbranch_execz .LBB121_36
; %bb.27:
	s_andn2_b64 vcc, exec, s[6:7]
	s_cbranch_vccnz .LBB121_29
; %bb.28:
	scratch_load_dwordx2 v[120:121], v19, off
	ds_read_b64 v[122:123], v1
	s_waitcnt vmcnt(0) lgkmcnt(0)
	v_mul_f64 v[120:121], v[120:121], v[122:123]
	s_cbranch_execz .LBB121_30
	s_branch .LBB121_31
.LBB121_29:
                                        ; implicit-def: $vgpr120_vgpr121
.LBB121_30:
	ds_read_b64 v[120:121], v1
.LBB121_31:
	s_and_saveexec_b64 s[8:9], s[0:1]
	s_cbranch_execz .LBB121_35
; %bb.32:
	v_subrev_u32_e32 v122, 54, v0
	s_movk_i32 s65, 0x380
	s_mov_b64 s[0:1], 0
.LBB121_33:                             ; =>This Inner Loop Header: Depth=1
	scratch_load_dwordx2 v[124:125], off, s64
	v_mov_b32_e32 v123, s65
	ds_read_b64 v[126:127], v123
	v_add_u32_e32 v122, -1, v122
	s_add_i32 s65, s65, 8
	s_add_i32 s64, s64, 8
	v_cmp_eq_u32_e32 vcc, 0, v122
	s_or_b64 s[0:1], vcc, s[0:1]
	s_waitcnt vmcnt(0) lgkmcnt(0)
	v_fmac_f64_e32 v[120:121], v[124:125], v[126:127]
	s_andn2_b64 exec, exec, s[0:1]
	s_cbranch_execnz .LBB121_33
; %bb.34:
	s_or_b64 exec, exec, s[0:1]
.LBB121_35:
	s_or_b64 exec, exec, s[8:9]
	v_mov_b32_e32 v122, 0
	ds_read_b64 v[122:123], v122 offset:424
	s_waitcnt lgkmcnt(0)
	v_mul_f64 v[120:121], v[120:121], v[122:123]
	scratch_store_dwordx2 off, v[120:121], off offset:424
.LBB121_36:
	;; [unrolled: 53-line block ×8, first 2 shown]
	s_or_b64 exec, exec, s[4:5]
	scratch_load_dwordx2 v[120:121], off, off offset:368
	v_cmp_lt_u32_e64 s[0:1], 46, v0
	s_waitcnt vmcnt(0)
	ds_write_b64 v1, v[120:121]
	s_waitcnt lgkmcnt(0)
	; wave barrier
	s_and_saveexec_b64 s[4:5], s[0:1]
	s_cbranch_execz .LBB121_106
; %bb.97:
	s_andn2_b64 vcc, exec, s[6:7]
	s_cbranch_vccnz .LBB121_99
; %bb.98:
	scratch_load_dwordx2 v[120:121], v19, off
	ds_read_b64 v[122:123], v1
	s_waitcnt vmcnt(0) lgkmcnt(0)
	v_mul_f64 v[120:121], v[120:121], v[122:123]
	s_cbranch_execz .LBB121_100
	s_branch .LBB121_101
.LBB121_99:
                                        ; implicit-def: $vgpr120_vgpr121
.LBB121_100:
	ds_read_b64 v[120:121], v1
.LBB121_101:
	s_and_saveexec_b64 s[8:9], s[2:3]
	s_cbranch_execz .LBB121_105
; %bb.102:
	v_subrev_u32_e32 v122, 47, v0
	s_movk_i32 s58, 0x348
	s_mov_b64 s[2:3], 0
.LBB121_103:                            ; =>This Inner Loop Header: Depth=1
	scratch_load_dwordx2 v[124:125], off, s57
	v_mov_b32_e32 v123, s58
	ds_read_b64 v[126:127], v123
	v_add_u32_e32 v122, -1, v122
	s_add_i32 s58, s58, 8
	s_add_i32 s57, s57, 8
	v_cmp_eq_u32_e32 vcc, 0, v122
	s_or_b64 s[2:3], vcc, s[2:3]
	s_waitcnt vmcnt(0) lgkmcnt(0)
	v_fmac_f64_e32 v[120:121], v[124:125], v[126:127]
	s_andn2_b64 exec, exec, s[2:3]
	s_cbranch_execnz .LBB121_103
; %bb.104:
	s_or_b64 exec, exec, s[2:3]
.LBB121_105:
	s_or_b64 exec, exec, s[8:9]
	v_mov_b32_e32 v122, 0
	ds_read_b64 v[122:123], v122 offset:368
	s_waitcnt lgkmcnt(0)
	v_mul_f64 v[120:121], v[120:121], v[122:123]
	scratch_store_dwordx2 off, v[120:121], off offset:368
.LBB121_106:
	s_or_b64 exec, exec, s[4:5]
	scratch_load_dwordx2 v[120:121], off, off offset:360
	v_cmp_lt_u32_e64 s[2:3], 45, v0
	s_waitcnt vmcnt(0)
	ds_write_b64 v1, v[120:121]
	s_waitcnt lgkmcnt(0)
	; wave barrier
	s_and_saveexec_b64 s[4:5], s[2:3]
	s_cbranch_execz .LBB121_116
; %bb.107:
	s_andn2_b64 vcc, exec, s[6:7]
	s_cbranch_vccnz .LBB121_109
; %bb.108:
	scratch_load_dwordx2 v[120:121], v19, off
	ds_read_b64 v[122:123], v1
	s_waitcnt vmcnt(0) lgkmcnt(0)
	v_mul_f64 v[120:121], v[120:121], v[122:123]
	s_cbranch_execz .LBB121_110
	s_branch .LBB121_111
.LBB121_109:
                                        ; implicit-def: $vgpr120_vgpr121
.LBB121_110:
	ds_read_b64 v[120:121], v1
.LBB121_111:
	s_and_saveexec_b64 s[8:9], s[0:1]
	s_cbranch_execz .LBB121_115
; %bb.112:
	v_subrev_u32_e32 v122, 46, v0
	s_movk_i32 s57, 0x340
	s_mov_b64 s[0:1], 0
.LBB121_113:                            ; =>This Inner Loop Header: Depth=1
	scratch_load_dwordx2 v[124:125], off, s56
	v_mov_b32_e32 v123, s57
	ds_read_b64 v[126:127], v123
	v_add_u32_e32 v122, -1, v122
	s_add_i32 s57, s57, 8
	s_add_i32 s56, s56, 8
	v_cmp_eq_u32_e32 vcc, 0, v122
	s_or_b64 s[0:1], vcc, s[0:1]
	s_waitcnt vmcnt(0) lgkmcnt(0)
	v_fmac_f64_e32 v[120:121], v[124:125], v[126:127]
	s_andn2_b64 exec, exec, s[0:1]
	s_cbranch_execnz .LBB121_113
; %bb.114:
	s_or_b64 exec, exec, s[0:1]
.LBB121_115:
	s_or_b64 exec, exec, s[8:9]
	v_mov_b32_e32 v122, 0
	ds_read_b64 v[122:123], v122 offset:360
	s_waitcnt lgkmcnt(0)
	v_mul_f64 v[120:121], v[120:121], v[122:123]
	scratch_store_dwordx2 off, v[120:121], off offset:360
.LBB121_116:
	;; [unrolled: 53-line block ×31, first 2 shown]
	s_or_b64 exec, exec, s[4:5]
	scratch_load_dwordx2 v[120:121], off, off offset:120
	v_cmp_lt_u32_e64 s[2:3], 15, v0
	s_waitcnt vmcnt(0)
	ds_write_b64 v1, v[120:121]
	s_waitcnt lgkmcnt(0)
	; wave barrier
	s_and_saveexec_b64 s[4:5], s[2:3]
	s_cbranch_execz .LBB121_416
; %bb.407:
	s_andn2_b64 vcc, exec, s[6:7]
	s_cbranch_vccnz .LBB121_409
; %bb.408:
	scratch_load_dwordx2 v[120:121], v19, off
	ds_read_b64 v[122:123], v1
	s_waitcnt vmcnt(0) lgkmcnt(0)
	v_mul_f64 v[120:121], v[120:121], v[122:123]
	s_cbranch_execz .LBB121_410
	s_branch .LBB121_411
.LBB121_409:
                                        ; implicit-def: $vgpr120_vgpr121
.LBB121_410:
	ds_read_b64 v[120:121], v1
.LBB121_411:
	s_and_saveexec_b64 s[8:9], s[0:1]
	s_cbranch_execz .LBB121_415
; %bb.412:
	v_add_u32_e32 v122, -16, v0
	s_movk_i32 s26, 0x250
	s_mov_b64 s[0:1], 0
.LBB121_413:                            ; =>This Inner Loop Header: Depth=1
	scratch_load_dwordx2 v[124:125], off, s25
	v_mov_b32_e32 v123, s26
	ds_read_b64 v[126:127], v123
	v_add_u32_e32 v122, -1, v122
	s_add_i32 s26, s26, 8
	s_add_i32 s25, s25, 8
	v_cmp_eq_u32_e32 vcc, 0, v122
	s_or_b64 s[0:1], vcc, s[0:1]
	s_waitcnt vmcnt(0) lgkmcnt(0)
	v_fmac_f64_e32 v[120:121], v[124:125], v[126:127]
	s_andn2_b64 exec, exec, s[0:1]
	s_cbranch_execnz .LBB121_413
; %bb.414:
	s_or_b64 exec, exec, s[0:1]
.LBB121_415:
	s_or_b64 exec, exec, s[8:9]
	v_mov_b32_e32 v122, 0
	ds_read_b64 v[122:123], v122 offset:120
	s_waitcnt lgkmcnt(0)
	v_mul_f64 v[120:121], v[120:121], v[122:123]
	scratch_store_dwordx2 off, v[120:121], off offset:120
.LBB121_416:
	s_or_b64 exec, exec, s[4:5]
	scratch_load_dwordx2 v[120:121], off, off offset:112
	v_cmp_lt_u32_e64 s[0:1], 14, v0
	s_waitcnt vmcnt(0)
	ds_write_b64 v1, v[120:121]
	s_waitcnt lgkmcnt(0)
	; wave barrier
	s_and_saveexec_b64 s[4:5], s[0:1]
	s_cbranch_execz .LBB121_426
; %bb.417:
	s_andn2_b64 vcc, exec, s[6:7]
	s_cbranch_vccnz .LBB121_419
; %bb.418:
	scratch_load_dwordx2 v[120:121], v19, off
	ds_read_b64 v[122:123], v1
	s_waitcnt vmcnt(0) lgkmcnt(0)
	v_mul_f64 v[120:121], v[120:121], v[122:123]
	s_cbranch_execz .LBB121_420
	s_branch .LBB121_421
.LBB121_419:
                                        ; implicit-def: $vgpr120_vgpr121
.LBB121_420:
	ds_read_b64 v[120:121], v1
.LBB121_421:
	s_and_saveexec_b64 s[8:9], s[2:3]
	s_cbranch_execz .LBB121_425
; %bb.422:
	v_add_u32_e32 v122, -15, v0
	s_movk_i32 s25, 0x248
	s_mov_b64 s[2:3], 0
.LBB121_423:                            ; =>This Inner Loop Header: Depth=1
	scratch_load_dwordx2 v[124:125], off, s24
	v_mov_b32_e32 v123, s25
	ds_read_b64 v[126:127], v123
	v_add_u32_e32 v122, -1, v122
	s_add_i32 s25, s25, 8
	s_add_i32 s24, s24, 8
	v_cmp_eq_u32_e32 vcc, 0, v122
	s_or_b64 s[2:3], vcc, s[2:3]
	s_waitcnt vmcnt(0) lgkmcnt(0)
	v_fmac_f64_e32 v[120:121], v[124:125], v[126:127]
	s_andn2_b64 exec, exec, s[2:3]
	s_cbranch_execnz .LBB121_423
; %bb.424:
	s_or_b64 exec, exec, s[2:3]
.LBB121_425:
	s_or_b64 exec, exec, s[8:9]
	v_mov_b32_e32 v122, 0
	ds_read_b64 v[122:123], v122 offset:112
	s_waitcnt lgkmcnt(0)
	v_mul_f64 v[120:121], v[120:121], v[122:123]
	scratch_store_dwordx2 off, v[120:121], off offset:112
.LBB121_426:
	;; [unrolled: 53-line block ×15, first 2 shown]
	s_or_b64 exec, exec, s[4:5]
	scratch_load_dwordx2 v[120:121], off, off
	v_cmp_ne_u32_e32 vcc, 0, v0
	s_waitcnt vmcnt(0)
	ds_write_b64 v1, v[120:121]
	s_waitcnt lgkmcnt(0)
	; wave barrier
	s_and_saveexec_b64 s[0:1], vcc
	s_cbranch_execz .LBB121_566
; %bb.557:
	s_andn2_b64 vcc, exec, s[6:7]
	s_cbranch_vccnz .LBB121_559
; %bb.558:
	scratch_load_dwordx2 v[120:121], v19, off
	ds_read_b64 v[122:123], v1
	s_waitcnt vmcnt(0) lgkmcnt(0)
	v_mul_f64 v[120:121], v[120:121], v[122:123]
	s_cbranch_execz .LBB121_560
	s_branch .LBB121_561
.LBB121_559:
                                        ; implicit-def: $vgpr120_vgpr121
.LBB121_560:
	ds_read_b64 v[120:121], v1
.LBB121_561:
	s_and_saveexec_b64 s[4:5], s[2:3]
	s_cbranch_execz .LBB121_565
; %bb.562:
	v_add_u32_e32 v122, -1, v0
	s_movk_i32 s8, 0x1d8
	s_mov_b64 s[2:3], 0
.LBB121_563:                            ; =>This Inner Loop Header: Depth=1
	scratch_load_dwordx2 v[124:125], off, s10
	v_mov_b32_e32 v123, s8
	ds_read_b64 v[126:127], v123
	v_add_u32_e32 v122, -1, v122
	s_add_i32 s8, s8, 8
	s_add_i32 s10, s10, 8
	v_cmp_eq_u32_e32 vcc, 0, v122
	s_or_b64 s[2:3], vcc, s[2:3]
	s_waitcnt vmcnt(0) lgkmcnt(0)
	v_fmac_f64_e32 v[120:121], v[124:125], v[126:127]
	s_andn2_b64 exec, exec, s[2:3]
	s_cbranch_execnz .LBB121_563
; %bb.564:
	s_or_b64 exec, exec, s[2:3]
.LBB121_565:
	s_or_b64 exec, exec, s[4:5]
	v_mov_b32_e32 v122, 0
	ds_read_b64 v[122:123], v122
	s_waitcnt lgkmcnt(0)
	v_mul_f64 v[120:121], v[120:121], v[122:123]
	scratch_store_dwordx2 off, v[120:121], off
.LBB121_566:
	s_or_b64 exec, exec, s[0:1]
	s_mov_b64 s[0:1], 0
.LBB121_567:
	s_and_b64 vcc, exec, s[0:1]
	s_cbranch_vccz .LBB121_1129
; %bb.568:
	scratch_load_dwordx2 v[120:121], off, off offset:8
	v_cmp_eq_u32_e64 s[2:3], 0, v0
	s_waitcnt vmcnt(0)
	ds_write_b64 v1, v[120:121]
	s_waitcnt lgkmcnt(0)
	; wave barrier
	s_and_saveexec_b64 s[0:1], s[2:3]
	s_cbranch_execz .LBB121_574
; %bb.569:
	s_and_b64 vcc, exec, s[6:7]
	s_cbranch_vccz .LBB121_571
; %bb.570:
	scratch_load_dwordx2 v[120:121], v19, off
	ds_read_b64 v[122:123], v1
	s_waitcnt vmcnt(0) lgkmcnt(0)
	v_mul_f64 v[120:121], v[120:121], v[122:123]
	s_cbranch_execz .LBB121_572
	s_branch .LBB121_573
.LBB121_571:
                                        ; implicit-def: $vgpr120_vgpr121
.LBB121_572:
	ds_read_b64 v[120:121], v1
.LBB121_573:
	v_mov_b32_e32 v122, 0
	ds_read_b64 v[122:123], v122 offset:8
	s_waitcnt lgkmcnt(0)
	v_mul_f64 v[120:121], v[120:121], v[122:123]
	scratch_store_dwordx2 off, v[120:121], off offset:8
.LBB121_574:
	s_or_b64 exec, exec, s[0:1]
	scratch_load_dwordx2 v[120:121], off, off offset:16
	v_cndmask_b32_e64 v122, 0, 1, s[6:7]
	v_cmp_gt_u32_e32 vcc, 2, v0
	v_cmp_ne_u32_e64 s[0:1], 1, v122
	s_waitcnt vmcnt(0)
	ds_write_b64 v1, v[120:121]
	s_waitcnt lgkmcnt(0)
	; wave barrier
	s_and_saveexec_b64 s[4:5], vcc
	s_cbranch_execz .LBB121_580
; %bb.575:
	s_and_b64 vcc, exec, s[0:1]
	s_cbranch_vccnz .LBB121_577
; %bb.576:
	scratch_load_dwordx2 v[120:121], v19, off
	ds_read_b64 v[122:123], v1
	s_waitcnt vmcnt(0) lgkmcnt(0)
	v_mul_f64 v[120:121], v[120:121], v[122:123]
	s_cbranch_execz .LBB121_578
	s_branch .LBB121_579
.LBB121_577:
                                        ; implicit-def: $vgpr120_vgpr121
.LBB121_578:
	ds_read_b64 v[120:121], v1
.LBB121_579:
	scratch_load_dwordx2 v[126:127], off, off offset:8
	v_mov_b32_e32 v122, 0
	ds_read2_b64 v[122:125], v122 offset0:2 offset1:59
	s_waitcnt vmcnt(0) lgkmcnt(0)
	v_fma_f64 v[124:125], v[126:127], v[124:125], v[120:121]
	v_cndmask_b32_e64 v121, v121, v125, s[2:3]
	v_cndmask_b32_e64 v120, v120, v124, s[2:3]
	v_mul_f64 v[120:121], v[120:121], v[122:123]
	scratch_store_dwordx2 off, v[120:121], off offset:16
.LBB121_580:
	s_or_b64 exec, exec, s[4:5]
	scratch_load_dwordx2 v[120:121], off, off offset:24
	v_cmp_gt_u32_e32 vcc, 3, v0
	s_waitcnt vmcnt(0)
	ds_write_b64 v1, v[120:121]
	s_waitcnt lgkmcnt(0)
	; wave barrier
	s_and_saveexec_b64 s[4:5], vcc
	s_cbranch_execz .LBB121_588
; %bb.581:
	s_and_b64 vcc, exec, s[0:1]
	s_cbranch_vccnz .LBB121_583
; %bb.582:
	scratch_load_dwordx2 v[120:121], v19, off
	ds_read_b64 v[122:123], v1
	s_waitcnt vmcnt(0) lgkmcnt(0)
	v_mul_f64 v[120:121], v[120:121], v[122:123]
	s_cbranch_execz .LBB121_584
	s_branch .LBB121_585
.LBB121_583:
                                        ; implicit-def: $vgpr120_vgpr121
.LBB121_584:
	ds_read_b64 v[120:121], v1
.LBB121_585:
	v_cmp_ne_u32_e32 vcc, 2, v0
	s_and_saveexec_b64 s[6:7], vcc
	s_cbranch_execz .LBB121_587
; %bb.586:
	scratch_load_dwordx2 v[122:123], v19, off offset:8
	scratch_load_dwordx2 v[124:125], off, off offset:16
	ds_read_b64 v[126:127], v1 offset:8
	v_mov_b32_e32 v128, 0
	ds_read_b64 v[128:129], v128 offset:480
	s_waitcnt vmcnt(1) lgkmcnt(1)
	v_fmac_f64_e32 v[120:121], v[122:123], v[126:127]
	s_waitcnt vmcnt(0) lgkmcnt(0)
	v_fma_f64 v[122:123], v[124:125], v[128:129], v[120:121]
	v_cndmask_b32_e64 v121, v121, v123, s[2:3]
	v_cndmask_b32_e64 v120, v120, v122, s[2:3]
.LBB121_587:
	s_or_b64 exec, exec, s[6:7]
	v_mov_b32_e32 v122, 0
	ds_read_b64 v[122:123], v122 offset:24
	s_waitcnt lgkmcnt(0)
	v_mul_f64 v[120:121], v[120:121], v[122:123]
	scratch_store_dwordx2 off, v[120:121], off offset:24
.LBB121_588:
	s_or_b64 exec, exec, s[4:5]
	scratch_load_dwordx2 v[120:121], off, off offset:32
	v_cmp_gt_u32_e32 vcc, 4, v0
	s_waitcnt vmcnt(0)
	ds_write_b64 v1, v[120:121]
	s_waitcnt lgkmcnt(0)
	; wave barrier
	s_and_saveexec_b64 s[2:3], vcc
	s_cbranch_execz .LBB121_598
; %bb.589:
	s_and_b64 vcc, exec, s[0:1]
	s_cbranch_vccnz .LBB121_591
; %bb.590:
	scratch_load_dwordx2 v[120:121], v19, off
	ds_read_b64 v[122:123], v1
	s_waitcnt vmcnt(0) lgkmcnt(0)
	v_mul_f64 v[120:121], v[120:121], v[122:123]
	s_cbranch_execz .LBB121_592
	s_branch .LBB121_593
.LBB121_591:
                                        ; implicit-def: $vgpr120_vgpr121
.LBB121_592:
	ds_read_b64 v[120:121], v1
.LBB121_593:
	v_cmp_ne_u32_e32 vcc, 3, v0
	s_and_saveexec_b64 s[4:5], vcc
	s_cbranch_execz .LBB121_597
; %bb.594:
	s_mov_b32 s6, 0
	v_add_u32_e32 v122, 0x1d8, v18
	v_add3_u32 v123, v18, s6, 8
	s_mov_b64 s[6:7], 0
	v_mov_b32_e32 v124, v0
.LBB121_595:                            ; =>This Inner Loop Header: Depth=1
	scratch_load_dwordx2 v[126:127], v123, off
	ds_read_b64 v[128:129], v122
	v_add_u32_e32 v124, 1, v124
	v_cmp_lt_u32_e32 vcc, 2, v124
	v_add_u32_e32 v122, 8, v122
	v_add_u32_e32 v123, 8, v123
	s_or_b64 s[6:7], vcc, s[6:7]
	s_waitcnt vmcnt(0) lgkmcnt(0)
	v_fmac_f64_e32 v[120:121], v[126:127], v[128:129]
	s_andn2_b64 exec, exec, s[6:7]
	s_cbranch_execnz .LBB121_595
; %bb.596:
	s_or_b64 exec, exec, s[6:7]
.LBB121_597:
	s_or_b64 exec, exec, s[4:5]
	v_mov_b32_e32 v122, 0
	ds_read_b64 v[122:123], v122 offset:32
	s_waitcnt lgkmcnt(0)
	v_mul_f64 v[120:121], v[120:121], v[122:123]
	scratch_store_dwordx2 off, v[120:121], off offset:32
.LBB121_598:
	s_or_b64 exec, exec, s[2:3]
	scratch_load_dwordx2 v[120:121], off, off offset:40
	v_cmp_gt_u32_e32 vcc, 5, v0
	s_waitcnt vmcnt(0)
	ds_write_b64 v1, v[120:121]
	s_waitcnt lgkmcnt(0)
	; wave barrier
	s_and_saveexec_b64 s[2:3], vcc
	s_cbranch_execz .LBB121_608
; %bb.599:
	s_and_b64 vcc, exec, s[0:1]
	s_cbranch_vccnz .LBB121_601
; %bb.600:
	scratch_load_dwordx2 v[120:121], v19, off
	ds_read_b64 v[122:123], v1
	s_waitcnt vmcnt(0) lgkmcnt(0)
	v_mul_f64 v[120:121], v[120:121], v[122:123]
	s_cbranch_execz .LBB121_602
	s_branch .LBB121_603
.LBB121_601:
                                        ; implicit-def: $vgpr120_vgpr121
.LBB121_602:
	ds_read_b64 v[120:121], v1
.LBB121_603:
	v_cmp_ne_u32_e32 vcc, 4, v0
	s_and_saveexec_b64 s[4:5], vcc
	s_cbranch_execz .LBB121_607
; %bb.604:
	s_mov_b32 s6, 0
	v_add_u32_e32 v122, 0x1d8, v18
	v_add3_u32 v123, v18, s6, 8
	s_mov_b64 s[6:7], 0
	v_mov_b32_e32 v124, v0
.LBB121_605:                            ; =>This Inner Loop Header: Depth=1
	scratch_load_dwordx2 v[126:127], v123, off
	ds_read_b64 v[128:129], v122
	v_add_u32_e32 v124, 1, v124
	v_cmp_lt_u32_e32 vcc, 3, v124
	v_add_u32_e32 v122, 8, v122
	v_add_u32_e32 v123, 8, v123
	s_or_b64 s[6:7], vcc, s[6:7]
	s_waitcnt vmcnt(0) lgkmcnt(0)
	v_fmac_f64_e32 v[120:121], v[126:127], v[128:129]
	s_andn2_b64 exec, exec, s[6:7]
	s_cbranch_execnz .LBB121_605
; %bb.606:
	s_or_b64 exec, exec, s[6:7]
.LBB121_607:
	s_or_b64 exec, exec, s[4:5]
	v_mov_b32_e32 v122, 0
	ds_read_b64 v[122:123], v122 offset:40
	s_waitcnt lgkmcnt(0)
	v_mul_f64 v[120:121], v[120:121], v[122:123]
	scratch_store_dwordx2 off, v[120:121], off offset:40
.LBB121_608:
	;; [unrolled: 55-line block ×41, first 2 shown]
	s_or_b64 exec, exec, s[2:3]
	scratch_load_dwordx2 v[120:121], off, off offset:360
	v_cmp_gt_u32_e32 vcc, 45, v0
	s_waitcnt vmcnt(0)
	ds_write_b64 v1, v[120:121]
	s_waitcnt lgkmcnt(0)
	; wave barrier
	s_and_saveexec_b64 s[2:3], vcc
	s_cbranch_execz .LBB121_1008
; %bb.999:
	s_and_b64 vcc, exec, s[0:1]
	s_cbranch_vccnz .LBB121_1001
; %bb.1000:
	scratch_load_dwordx2 v[120:121], v19, off
	ds_read_b64 v[122:123], v1
	s_waitcnt vmcnt(0) lgkmcnt(0)
	v_mul_f64 v[120:121], v[120:121], v[122:123]
	s_cbranch_execz .LBB121_1002
	s_branch .LBB121_1003
.LBB121_1001:
                                        ; implicit-def: $vgpr120_vgpr121
.LBB121_1002:
	ds_read_b64 v[120:121], v1
.LBB121_1003:
	v_cmp_ne_u32_e32 vcc, 44, v0
	s_and_saveexec_b64 s[4:5], vcc
	s_cbranch_execz .LBB121_1007
; %bb.1004:
	s_mov_b32 s6, 0
	v_add_u32_e32 v122, 0x1d8, v18
	v_add3_u32 v123, v18, s6, 8
	s_mov_b64 s[6:7], 0
	v_mov_b32_e32 v124, v0
.LBB121_1005:                           ; =>This Inner Loop Header: Depth=1
	scratch_load_dwordx2 v[126:127], v123, off
	ds_read_b64 v[128:129], v122
	v_add_u32_e32 v124, 1, v124
	v_cmp_lt_u32_e32 vcc, 43, v124
	v_add_u32_e32 v122, 8, v122
	v_add_u32_e32 v123, 8, v123
	s_or_b64 s[6:7], vcc, s[6:7]
	s_waitcnt vmcnt(0) lgkmcnt(0)
	v_fmac_f64_e32 v[120:121], v[126:127], v[128:129]
	s_andn2_b64 exec, exec, s[6:7]
	s_cbranch_execnz .LBB121_1005
; %bb.1006:
	s_or_b64 exec, exec, s[6:7]
.LBB121_1007:
	s_or_b64 exec, exec, s[4:5]
	v_mov_b32_e32 v122, 0
	ds_read_b64 v[122:123], v122 offset:360
	s_waitcnt lgkmcnt(0)
	v_mul_f64 v[120:121], v[120:121], v[122:123]
	scratch_store_dwordx2 off, v[120:121], off offset:360
.LBB121_1008:
	s_or_b64 exec, exec, s[2:3]
	scratch_load_dwordx2 v[120:121], off, off offset:368
	v_cmp_gt_u32_e32 vcc, 46, v0
	s_waitcnt vmcnt(0)
	ds_write_b64 v1, v[120:121]
	s_waitcnt lgkmcnt(0)
	; wave barrier
	s_and_saveexec_b64 s[2:3], vcc
	s_cbranch_execz .LBB121_1018
; %bb.1009:
	s_and_b64 vcc, exec, s[0:1]
	s_cbranch_vccnz .LBB121_1011
; %bb.1010:
	scratch_load_dwordx2 v[120:121], v19, off
	ds_read_b64 v[122:123], v1
	s_waitcnt vmcnt(0) lgkmcnt(0)
	v_mul_f64 v[120:121], v[120:121], v[122:123]
	s_cbranch_execz .LBB121_1012
	s_branch .LBB121_1013
.LBB121_1011:
                                        ; implicit-def: $vgpr120_vgpr121
.LBB121_1012:
	ds_read_b64 v[120:121], v1
.LBB121_1013:
	v_cmp_ne_u32_e32 vcc, 45, v0
	s_and_saveexec_b64 s[4:5], vcc
	s_cbranch_execz .LBB121_1017
; %bb.1014:
	s_mov_b32 s6, 0
	v_add_u32_e32 v122, 0x1d8, v18
	v_add3_u32 v123, v18, s6, 8
	s_mov_b64 s[6:7], 0
	v_mov_b32_e32 v124, v0
.LBB121_1015:                           ; =>This Inner Loop Header: Depth=1
	scratch_load_dwordx2 v[126:127], v123, off
	ds_read_b64 v[128:129], v122
	v_add_u32_e32 v124, 1, v124
	v_cmp_lt_u32_e32 vcc, 44, v124
	v_add_u32_e32 v122, 8, v122
	v_add_u32_e32 v123, 8, v123
	s_or_b64 s[6:7], vcc, s[6:7]
	s_waitcnt vmcnt(0) lgkmcnt(0)
	v_fmac_f64_e32 v[120:121], v[126:127], v[128:129]
	s_andn2_b64 exec, exec, s[6:7]
	s_cbranch_execnz .LBB121_1015
; %bb.1016:
	s_or_b64 exec, exec, s[6:7]
.LBB121_1017:
	s_or_b64 exec, exec, s[4:5]
	v_mov_b32_e32 v122, 0
	ds_read_b64 v[122:123], v122 offset:368
	s_waitcnt lgkmcnt(0)
	v_mul_f64 v[120:121], v[120:121], v[122:123]
	scratch_store_dwordx2 off, v[120:121], off offset:368
.LBB121_1018:
	;; [unrolled: 55-line block ×11, first 2 shown]
	s_or_b64 exec, exec, s[2:3]
	scratch_load_dwordx2 v[120:121], off, off offset:448
	v_cmp_gt_u32_e64 s[2:3], 56, v0
	s_waitcnt vmcnt(0)
	ds_write_b64 v1, v[120:121]
	s_waitcnt lgkmcnt(0)
	; wave barrier
	s_and_saveexec_b64 s[4:5], s[2:3]
	s_cbranch_execz .LBB121_1118
; %bb.1109:
	s_and_b64 vcc, exec, s[0:1]
	s_cbranch_vccnz .LBB121_1111
; %bb.1110:
	scratch_load_dwordx2 v[120:121], v19, off
	ds_read_b64 v[122:123], v1
	s_waitcnt vmcnt(0) lgkmcnt(0)
	v_mul_f64 v[120:121], v[120:121], v[122:123]
	s_cbranch_execz .LBB121_1112
	s_branch .LBB121_1113
.LBB121_1111:
                                        ; implicit-def: $vgpr120_vgpr121
.LBB121_1112:
	ds_read_b64 v[120:121], v1
.LBB121_1113:
	v_cmp_ne_u32_e32 vcc, 55, v0
	s_and_saveexec_b64 s[6:7], vcc
	s_cbranch_execz .LBB121_1117
; %bb.1114:
	s_mov_b32 s8, 0
	v_add_u32_e32 v122, 0x1d8, v18
	v_add3_u32 v123, v18, s8, 8
	s_mov_b64 s[8:9], 0
	v_mov_b32_e32 v124, v0
.LBB121_1115:                           ; =>This Inner Loop Header: Depth=1
	scratch_load_dwordx2 v[126:127], v123, off
	ds_read_b64 v[128:129], v122
	v_add_u32_e32 v124, 1, v124
	v_cmp_lt_u32_e32 vcc, 54, v124
	v_add_u32_e32 v122, 8, v122
	v_add_u32_e32 v123, 8, v123
	s_or_b64 s[8:9], vcc, s[8:9]
	s_waitcnt vmcnt(0) lgkmcnt(0)
	v_fmac_f64_e32 v[120:121], v[126:127], v[128:129]
	s_andn2_b64 exec, exec, s[8:9]
	s_cbranch_execnz .LBB121_1115
; %bb.1116:
	s_or_b64 exec, exec, s[8:9]
.LBB121_1117:
	s_or_b64 exec, exec, s[6:7]
	v_mov_b32_e32 v122, 0
	ds_read_b64 v[122:123], v122 offset:448
	s_waitcnt lgkmcnt(0)
	v_mul_f64 v[120:121], v[120:121], v[122:123]
	scratch_store_dwordx2 off, v[120:121], off offset:448
.LBB121_1118:
	s_or_b64 exec, exec, s[4:5]
	scratch_load_dwordx2 v[120:121], off, off offset:456
	v_cmp_ne_u32_e32 vcc, 57, v0
	s_waitcnt vmcnt(0)
	ds_write_b64 v1, v[120:121]
	s_waitcnt lgkmcnt(0)
	; wave barrier
	s_and_saveexec_b64 s[4:5], vcc
	s_cbranch_execz .LBB121_1128
; %bb.1119:
	s_and_b64 vcc, exec, s[0:1]
	s_cbranch_vccnz .LBB121_1121
; %bb.1120:
	scratch_load_dwordx2 v[120:121], v19, off
	ds_read_b64 v[122:123], v1
	s_waitcnt vmcnt(0) lgkmcnt(0)
	v_mul_f64 v[120:121], v[120:121], v[122:123]
	s_cbranch_execz .LBB121_1122
	s_branch .LBB121_1123
.LBB121_1121:
                                        ; implicit-def: $vgpr120_vgpr121
.LBB121_1122:
	ds_read_b64 v[120:121], v1
.LBB121_1123:
	s_and_saveexec_b64 s[0:1], s[2:3]
	s_cbranch_execz .LBB121_1127
; %bb.1124:
	s_mov_b32 s2, 0
	v_add_u32_e32 v1, 0x1d8, v18
	v_add3_u32 v18, v18, s2, 8
	s_mov_b64 s[2:3], 0
.LBB121_1125:                           ; =>This Inner Loop Header: Depth=1
	scratch_load_dwordx2 v[122:123], v18, off
	ds_read_b64 v[124:125], v1
	v_add_u32_e32 v0, 1, v0
	v_cmp_lt_u32_e32 vcc, 55, v0
	v_add_u32_e32 v1, 8, v1
	v_add_u32_e32 v18, 8, v18
	s_or_b64 s[2:3], vcc, s[2:3]
	s_waitcnt vmcnt(0) lgkmcnt(0)
	v_fmac_f64_e32 v[120:121], v[122:123], v[124:125]
	s_andn2_b64 exec, exec, s[2:3]
	s_cbranch_execnz .LBB121_1125
; %bb.1126:
	s_or_b64 exec, exec, s[2:3]
.LBB121_1127:
	s_or_b64 exec, exec, s[0:1]
	v_mov_b32_e32 v0, 0
	ds_read_b64 v[0:1], v0 offset:456
	s_waitcnt lgkmcnt(0)
	v_mul_f64 v[0:1], v[120:121], v[0:1]
	scratch_store_dwordx2 off, v[0:1], off offset:456
.LBB121_1128:
	s_or_b64 exec, exec, s[4:5]
.LBB121_1129:
	scratch_load_dwordx2 v[0:1], off, off
	s_waitcnt vmcnt(0)
	flat_store_dwordx2 v[2:3], v[0:1]
	scratch_load_dwordx2 v[0:1], off, off offset:8
	s_waitcnt vmcnt(0)
	flat_store_dwordx2 v[4:5], v[0:1]
	scratch_load_dwordx2 v[0:1], off, off offset:16
	;; [unrolled: 3-line block ×57, first 2 shown]
	s_waitcnt vmcnt(0)
	flat_store_dwordx2 v[118:119], v[0:1]
.LBB121_1130:
	s_endpgm
	.section	.rodata,"a",@progbits
	.p2align	6, 0x0
	.amdhsa_kernel _ZN9rocsolver6v33100L18trti2_kernel_smallILi58EdPKPdEEv13rocblas_fill_17rocblas_diagonal_T1_iil
		.amdhsa_group_segment_fixed_size 928
		.amdhsa_private_segment_fixed_size 480
		.amdhsa_kernarg_size 32
		.amdhsa_user_sgpr_count 2
		.amdhsa_user_sgpr_dispatch_ptr 0
		.amdhsa_user_sgpr_queue_ptr 0
		.amdhsa_user_sgpr_kernarg_segment_ptr 1
		.amdhsa_user_sgpr_dispatch_id 0
		.amdhsa_user_sgpr_kernarg_preload_length 0
		.amdhsa_user_sgpr_kernarg_preload_offset 0
		.amdhsa_user_sgpr_private_segment_size 0
		.amdhsa_uses_dynamic_stack 0
		.amdhsa_enable_private_segment 1
		.amdhsa_system_sgpr_workgroup_id_x 1
		.amdhsa_system_sgpr_workgroup_id_y 0
		.amdhsa_system_sgpr_workgroup_id_z 0
		.amdhsa_system_sgpr_workgroup_info 0
		.amdhsa_system_vgpr_workitem_id 0
		.amdhsa_next_free_vgpr 130
		.amdhsa_next_free_sgpr 67
		.amdhsa_accum_offset 132
		.amdhsa_reserve_vcc 1
		.amdhsa_float_round_mode_32 0
		.amdhsa_float_round_mode_16_64 0
		.amdhsa_float_denorm_mode_32 3
		.amdhsa_float_denorm_mode_16_64 3
		.amdhsa_dx10_clamp 1
		.amdhsa_ieee_mode 1
		.amdhsa_fp16_overflow 0
		.amdhsa_tg_split 0
		.amdhsa_exception_fp_ieee_invalid_op 0
		.amdhsa_exception_fp_denorm_src 0
		.amdhsa_exception_fp_ieee_div_zero 0
		.amdhsa_exception_fp_ieee_overflow 0
		.amdhsa_exception_fp_ieee_underflow 0
		.amdhsa_exception_fp_ieee_inexact 0
		.amdhsa_exception_int_div_zero 0
	.end_amdhsa_kernel
	.section	.text._ZN9rocsolver6v33100L18trti2_kernel_smallILi58EdPKPdEEv13rocblas_fill_17rocblas_diagonal_T1_iil,"axG",@progbits,_ZN9rocsolver6v33100L18trti2_kernel_smallILi58EdPKPdEEv13rocblas_fill_17rocblas_diagonal_T1_iil,comdat
.Lfunc_end121:
	.size	_ZN9rocsolver6v33100L18trti2_kernel_smallILi58EdPKPdEEv13rocblas_fill_17rocblas_diagonal_T1_iil, .Lfunc_end121-_ZN9rocsolver6v33100L18trti2_kernel_smallILi58EdPKPdEEv13rocblas_fill_17rocblas_diagonal_T1_iil
                                        ; -- End function
	.set _ZN9rocsolver6v33100L18trti2_kernel_smallILi58EdPKPdEEv13rocblas_fill_17rocblas_diagonal_T1_iil.num_vgpr, 130
	.set _ZN9rocsolver6v33100L18trti2_kernel_smallILi58EdPKPdEEv13rocblas_fill_17rocblas_diagonal_T1_iil.num_agpr, 0
	.set _ZN9rocsolver6v33100L18trti2_kernel_smallILi58EdPKPdEEv13rocblas_fill_17rocblas_diagonal_T1_iil.numbered_sgpr, 67
	.set _ZN9rocsolver6v33100L18trti2_kernel_smallILi58EdPKPdEEv13rocblas_fill_17rocblas_diagonal_T1_iil.num_named_barrier, 0
	.set _ZN9rocsolver6v33100L18trti2_kernel_smallILi58EdPKPdEEv13rocblas_fill_17rocblas_diagonal_T1_iil.private_seg_size, 480
	.set _ZN9rocsolver6v33100L18trti2_kernel_smallILi58EdPKPdEEv13rocblas_fill_17rocblas_diagonal_T1_iil.uses_vcc, 1
	.set _ZN9rocsolver6v33100L18trti2_kernel_smallILi58EdPKPdEEv13rocblas_fill_17rocblas_diagonal_T1_iil.uses_flat_scratch, 0
	.set _ZN9rocsolver6v33100L18trti2_kernel_smallILi58EdPKPdEEv13rocblas_fill_17rocblas_diagonal_T1_iil.has_dyn_sized_stack, 0
	.set _ZN9rocsolver6v33100L18trti2_kernel_smallILi58EdPKPdEEv13rocblas_fill_17rocblas_diagonal_T1_iil.has_recursion, 0
	.set _ZN9rocsolver6v33100L18trti2_kernel_smallILi58EdPKPdEEv13rocblas_fill_17rocblas_diagonal_T1_iil.has_indirect_call, 0
	.section	.AMDGPU.csdata,"",@progbits
; Kernel info:
; codeLenInByte = 28280
; TotalNumSgprs: 73
; NumVgprs: 130
; NumAgprs: 0
; TotalNumVgprs: 130
; ScratchSize: 480
; MemoryBound: 0
; FloatMode: 240
; IeeeMode: 1
; LDSByteSize: 928 bytes/workgroup (compile time only)
; SGPRBlocks: 9
; VGPRBlocks: 16
; NumSGPRsForWavesPerEU: 73
; NumVGPRsForWavesPerEU: 130
; AccumOffset: 132
; Occupancy: 3
; WaveLimiterHint : 1
; COMPUTE_PGM_RSRC2:SCRATCH_EN: 1
; COMPUTE_PGM_RSRC2:USER_SGPR: 2
; COMPUTE_PGM_RSRC2:TRAP_HANDLER: 0
; COMPUTE_PGM_RSRC2:TGID_X_EN: 1
; COMPUTE_PGM_RSRC2:TGID_Y_EN: 0
; COMPUTE_PGM_RSRC2:TGID_Z_EN: 0
; COMPUTE_PGM_RSRC2:TIDIG_COMP_CNT: 0
; COMPUTE_PGM_RSRC3_GFX90A:ACCUM_OFFSET: 32
; COMPUTE_PGM_RSRC3_GFX90A:TG_SPLIT: 0
	.section	.text._ZN9rocsolver6v33100L18trti2_kernel_smallILi59EdPKPdEEv13rocblas_fill_17rocblas_diagonal_T1_iil,"axG",@progbits,_ZN9rocsolver6v33100L18trti2_kernel_smallILi59EdPKPdEEv13rocblas_fill_17rocblas_diagonal_T1_iil,comdat
	.globl	_ZN9rocsolver6v33100L18trti2_kernel_smallILi59EdPKPdEEv13rocblas_fill_17rocblas_diagonal_T1_iil ; -- Begin function _ZN9rocsolver6v33100L18trti2_kernel_smallILi59EdPKPdEEv13rocblas_fill_17rocblas_diagonal_T1_iil
	.p2align	8
	.type	_ZN9rocsolver6v33100L18trti2_kernel_smallILi59EdPKPdEEv13rocblas_fill_17rocblas_diagonal_T1_iil,@function
_ZN9rocsolver6v33100L18trti2_kernel_smallILi59EdPKPdEEv13rocblas_fill_17rocblas_diagonal_T1_iil: ; @_ZN9rocsolver6v33100L18trti2_kernel_smallILi59EdPKPdEEv13rocblas_fill_17rocblas_diagonal_T1_iil
; %bb.0:
	v_cmp_gt_u32_e32 vcc, 59, v0
	s_and_saveexec_b64 s[4:5], vcc
	s_cbranch_execz .LBB122_1150
; %bb.1:
	s_load_dwordx2 s[8:9], s[0:1], 0x10
	s_load_dwordx4 s[4:7], s[0:1], 0x0
	s_ashr_i32 s3, s2, 31
	s_lshl_b64 s[0:1], s[2:3], 3
	v_lshlrev_b32_e32 v18, 3, v0
	s_waitcnt lgkmcnt(0)
	s_ashr_i32 s3, s8, 31
	s_add_u32 s0, s6, s0
	s_addc_u32 s1, s7, s1
	s_load_dwordx2 s[0:1], s[0:1], 0x0
	s_mov_b32 s2, s8
	s_lshl_b64 s[2:3], s[2:3], 3
	v_mov_b32_e32 v19, 0
	s_waitcnt lgkmcnt(0)
	s_add_u32 s0, s0, s2
	s_addc_u32 s1, s1, s3
	v_lshl_add_u64 v[2:3], s[0:1], 0, v[18:19]
	flat_load_dwordx2 v[6:7], v[2:3]
	s_mov_b32 s2, s9
	s_ashr_i32 s3, s9, 31
	v_lshl_add_u64 v[4:5], s[2:3], 3, v[2:3]
	s_add_i32 s2, s9, s9
	v_add_u32_e32 v10, s2, v0
	v_ashrrev_i32_e32 v11, 31, v10
	s_cmpk_lg_i32 s5, 0x84
	s_cselect_b64 s[6:7], -1, 0
	s_cmpk_eq_i32 s5, 0x84
	s_waitcnt vmcnt(0) lgkmcnt(0)
	scratch_store_dwordx2 off, v[6:7], off
	flat_load_dwordx2 v[8:9], v[4:5]
	v_lshl_add_u64 v[6:7], v[10:11], 3, s[0:1]
	v_add_u32_e32 v10, s9, v10
	v_ashrrev_i32_e32 v11, 31, v10
	v_add_u32_e32 v14, s9, v10
	v_ashrrev_i32_e32 v15, 31, v14
	s_waitcnt vmcnt(0) lgkmcnt(0)
	scratch_store_dwordx2 off, v[8:9], off offset:8
	flat_load_dwordx2 v[12:13], v[6:7]
	v_lshl_add_u64 v[8:9], v[10:11], 3, s[0:1]
	v_lshl_add_u64 v[10:11], v[14:15], 3, s[0:1]
	v_add_u32_e32 v14, s9, v14
	v_ashrrev_i32_e32 v15, 31, v14
	v_add_u32_e32 v20, s9, v14
	v_ashrrev_i32_e32 v21, 31, v20
	s_waitcnt vmcnt(0) lgkmcnt(0)
	scratch_store_dwordx2 off, v[12:13], off offset:16
	flat_load_dwordx2 v[12:13], v[8:9]
	s_waitcnt vmcnt(0) lgkmcnt(0)
	scratch_store_dwordx2 off, v[12:13], off offset:24
	flat_load_dwordx2 v[16:17], v[10:11]
	v_lshl_add_u64 v[12:13], v[14:15], 3, s[0:1]
	v_lshl_add_u64 v[14:15], v[20:21], 3, s[0:1]
	v_add_u32_e32 v20, s9, v20
	v_ashrrev_i32_e32 v21, 31, v20
	v_add_u32_e32 v24, s9, v20
	v_ashrrev_i32_e32 v25, 31, v24
	s_waitcnt vmcnt(0) lgkmcnt(0)
	scratch_store_dwordx2 off, v[16:17], off offset:32
	flat_load_dwordx2 v[16:17], v[12:13]
	;; [unrolled: 12-line block ×26, first 2 shown]
	s_waitcnt vmcnt(0) lgkmcnt(0)
	scratch_store_dwordx2 off, v[114:115], off offset:424
	flat_load_dwordx2 v[118:119], v[112:113]
	v_lshl_add_u64 v[114:115], v[116:117], 3, s[0:1]
	v_lshl_add_u64 v[116:117], v[120:121], 3, s[0:1]
	v_add_u32_e32 v120, s9, v120
	v_ashrrev_i32_e32 v121, 31, v120
	s_waitcnt vmcnt(0) lgkmcnt(0)
	scratch_store_dwordx2 off, v[118:119], off offset:432
	flat_load_dwordx2 v[118:119], v[114:115]
	s_waitcnt vmcnt(0) lgkmcnt(0)
	scratch_store_dwordx2 off, v[118:119], off offset:440
	flat_load_dwordx2 v[122:123], v[116:117]
	v_lshl_add_u64 v[118:119], v[120:121], 3, s[0:1]
	v_add_u32_e32 v120, s9, v120
	v_ashrrev_i32_e32 v121, 31, v120
	v_lshl_add_u64 v[120:121], v[120:121], 3, s[0:1]
	s_waitcnt vmcnt(0) lgkmcnt(0)
	scratch_store_dwordx2 off, v[122:123], off offset:448
	flat_load_dwordx2 v[122:123], v[118:119]
	s_waitcnt vmcnt(0) lgkmcnt(0)
	scratch_store_dwordx2 off, v[122:123], off offset:456
	flat_load_dwordx2 v[122:123], v[120:121]
	s_waitcnt vmcnt(0) lgkmcnt(0)
	scratch_store_dwordx2 off, v[122:123], off offset:464
	v_mov_b64_e32 v[122:123], -1.0
	s_cbranch_scc1 .LBB122_3
; %bb.2:
	scratch_load_dwordx2 v[122:123], v18, off
	s_waitcnt vmcnt(0)
	v_div_scale_f64 v[124:125], s[0:1], v[122:123], v[122:123], 1.0
	v_rcp_f64_e32 v[126:127], v[124:125]
	v_div_scale_f64 v[128:129], vcc, 1.0, v[122:123], 1.0
	v_fma_f64 v[130:131], -v[124:125], v[126:127], 1.0
	v_fmac_f64_e32 v[126:127], v[126:127], v[130:131]
	v_fma_f64 v[130:131], -v[124:125], v[126:127], 1.0
	v_fmac_f64_e32 v[126:127], v[126:127], v[130:131]
	v_mul_f64 v[130:131], v[128:129], v[126:127]
	v_fma_f64 v[124:125], -v[124:125], v[130:131], v[128:129]
	v_div_fmas_f64 v[124:125], v[124:125], v[126:127], v[130:131]
	v_div_fixup_f64 v[122:123], v[124:125], v[122:123], 1.0
	scratch_store_dwordx2 v18, v[122:123], off
	v_xor_b32_e32 v123, 0x80000000, v123
.LBB122_3:
	s_cmpk_eq_i32 s4, 0x79
	v_add_u32_e32 v1, 0x1e0, v18
	v_mov_b32_e32 v19, v18
	s_mov_b64 s[0:1], -1
	ds_write_b64 v18, v[122:123]
	s_cbranch_scc1 .LBB122_577
; %bb.4:
	scratch_load_dwordx2 v[122:123], off, off offset:456
	s_movk_i32 s8, 0x48
	s_movk_i32 s9, 0x50
	;; [unrolled: 1-line block ×48, first 2 shown]
	v_cmp_eq_u32_e64 s[0:1], 58, v0
	s_waitcnt vmcnt(0)
	ds_write_b64 v1, v[122:123]
	s_waitcnt lgkmcnt(0)
	; wave barrier
	s_and_saveexec_b64 s[2:3], s[0:1]
	s_cbranch_execz .LBB122_10
; %bb.5:
	s_and_b64 vcc, exec, s[6:7]
	s_cbranch_vccz .LBB122_7
; %bb.6:
	scratch_load_dwordx2 v[122:123], v19, off
	ds_read_b64 v[124:125], v1
	s_waitcnt vmcnt(0) lgkmcnt(0)
	v_mul_f64 v[122:123], v[122:123], v[124:125]
	s_cbranch_execz .LBB122_8
	s_branch .LBB122_9
.LBB122_7:
                                        ; implicit-def: $vgpr122_vgpr123
.LBB122_8:
	ds_read_b64 v[122:123], v1
.LBB122_9:
	v_mov_b32_e32 v124, 0
	ds_read_b64 v[124:125], v124 offset:456
	s_waitcnt lgkmcnt(0)
	v_mul_f64 v[122:123], v[122:123], v[124:125]
	scratch_store_dwordx2 off, v[122:123], off offset:456
.LBB122_10:
	s_or_b64 exec, exec, s[2:3]
	scratch_load_dwordx2 v[122:123], off, off offset:448
	s_or_b32 s10, 0, 8
	s_mov_b32 s11, 16
	s_mov_b32 s12, 24
	s_mov_b32 s13, 32
	s_mov_b32 s14, 40
	s_mov_b32 s15, 48
	s_mov_b32 s16, 56
	s_mov_b32 s17, 64
	s_mov_b32 s18, s8
	s_mov_b32 s19, s9
	v_cmp_lt_u32_e64 s[2:3], 56, v0
	s_waitcnt vmcnt(0)
	ds_write_b64 v1, v[122:123]
	s_waitcnt lgkmcnt(0)
	; wave barrier
	s_and_saveexec_b64 s[4:5], s[2:3]
	s_cbranch_execz .LBB122_16
; %bb.11:
	s_andn2_b64 vcc, exec, s[6:7]
	s_cbranch_vccnz .LBB122_13
; %bb.12:
	scratch_load_dwordx2 v[122:123], v19, off
	ds_read_b64 v[124:125], v1
	s_waitcnt vmcnt(0) lgkmcnt(0)
	v_mul_f64 v[122:123], v[122:123], v[124:125]
	s_cbranch_execz .LBB122_14
	s_branch .LBB122_15
.LBB122_13:
                                        ; implicit-def: $vgpr122_vgpr123
.LBB122_14:
	ds_read_b64 v[122:123], v1
.LBB122_15:
	scratch_load_dwordx2 v[128:129], off, off offset:456
	v_mov_b32_e32 v124, 0
	ds_read2_b64 v[124:127], v124 offset0:56 offset1:117
	s_waitcnt vmcnt(0) lgkmcnt(0)
	v_fma_f64 v[126:127], v[128:129], v[126:127], v[122:123]
	v_cndmask_b32_e64 v123, v123, v127, s[0:1]
	v_cndmask_b32_e64 v122, v122, v126, s[0:1]
	v_mul_f64 v[122:123], v[122:123], v[124:125]
	scratch_store_dwordx2 off, v[122:123], off offset:448
.LBB122_16:
	s_or_b64 exec, exec, s[4:5]
	scratch_load_dwordx2 v[122:123], off, off offset:440
	v_cmp_lt_u32_e64 s[0:1], 55, v0
	s_waitcnt vmcnt(0)
	ds_write_b64 v1, v[122:123]
	s_waitcnt lgkmcnt(0)
	; wave barrier
	s_and_saveexec_b64 s[4:5], s[0:1]
	s_cbranch_execz .LBB122_26
; %bb.17:
	s_andn2_b64 vcc, exec, s[6:7]
	s_cbranch_vccnz .LBB122_19
; %bb.18:
	scratch_load_dwordx2 v[122:123], v19, off
	ds_read_b64 v[124:125], v1
	s_waitcnt vmcnt(0) lgkmcnt(0)
	v_mul_f64 v[122:123], v[122:123], v[124:125]
	s_cbranch_execz .LBB122_20
	s_branch .LBB122_21
.LBB122_19:
                                        ; implicit-def: $vgpr122_vgpr123
.LBB122_20:
	ds_read_b64 v[122:123], v1
.LBB122_21:
	s_and_saveexec_b64 s[8:9], s[2:3]
	s_cbranch_execz .LBB122_25
; %bb.22:
	v_subrev_u32_e32 v124, 56, v0
	s_movk_i32 s67, 0x3a0
	s_mov_b64 s[2:3], 0
.LBB122_23:                             ; =>This Inner Loop Header: Depth=1
	scratch_load_dwordx2 v[126:127], off, s66
	v_mov_b32_e32 v125, s67
	ds_read_b64 v[128:129], v125
	v_add_u32_e32 v124, -1, v124
	s_add_i32 s67, s67, 8
	s_add_i32 s66, s66, 8
	v_cmp_eq_u32_e32 vcc, 0, v124
	s_or_b64 s[2:3], vcc, s[2:3]
	s_waitcnt vmcnt(0) lgkmcnt(0)
	v_fmac_f64_e32 v[122:123], v[126:127], v[128:129]
	s_andn2_b64 exec, exec, s[2:3]
	s_cbranch_execnz .LBB122_23
; %bb.24:
	s_or_b64 exec, exec, s[2:3]
.LBB122_25:
	s_or_b64 exec, exec, s[8:9]
	v_mov_b32_e32 v124, 0
	ds_read_b64 v[124:125], v124 offset:440
	s_waitcnt lgkmcnt(0)
	v_mul_f64 v[122:123], v[122:123], v[124:125]
	scratch_store_dwordx2 off, v[122:123], off offset:440
.LBB122_26:
	s_or_b64 exec, exec, s[4:5]
	scratch_load_dwordx2 v[122:123], off, off offset:432
	v_cmp_lt_u32_e64 s[2:3], 54, v0
	s_waitcnt vmcnt(0)
	ds_write_b64 v1, v[122:123]
	s_waitcnt lgkmcnt(0)
	; wave barrier
	s_and_saveexec_b64 s[4:5], s[2:3]
	s_cbranch_execz .LBB122_36
; %bb.27:
	s_andn2_b64 vcc, exec, s[6:7]
	s_cbranch_vccnz .LBB122_29
; %bb.28:
	scratch_load_dwordx2 v[122:123], v19, off
	ds_read_b64 v[124:125], v1
	s_waitcnt vmcnt(0) lgkmcnt(0)
	v_mul_f64 v[122:123], v[122:123], v[124:125]
	s_cbranch_execz .LBB122_30
	s_branch .LBB122_31
.LBB122_29:
                                        ; implicit-def: $vgpr122_vgpr123
.LBB122_30:
	ds_read_b64 v[122:123], v1
.LBB122_31:
	s_and_saveexec_b64 s[8:9], s[0:1]
	s_cbranch_execz .LBB122_35
; %bb.32:
	v_subrev_u32_e32 v124, 55, v0
	s_movk_i32 s66, 0x398
	s_mov_b64 s[0:1], 0
.LBB122_33:                             ; =>This Inner Loop Header: Depth=1
	scratch_load_dwordx2 v[126:127], off, s65
	v_mov_b32_e32 v125, s66
	ds_read_b64 v[128:129], v125
	v_add_u32_e32 v124, -1, v124
	s_add_i32 s66, s66, 8
	s_add_i32 s65, s65, 8
	v_cmp_eq_u32_e32 vcc, 0, v124
	s_or_b64 s[0:1], vcc, s[0:1]
	s_waitcnt vmcnt(0) lgkmcnt(0)
	v_fmac_f64_e32 v[122:123], v[126:127], v[128:129]
	s_andn2_b64 exec, exec, s[0:1]
	s_cbranch_execnz .LBB122_33
; %bb.34:
	s_or_b64 exec, exec, s[0:1]
.LBB122_35:
	s_or_b64 exec, exec, s[8:9]
	v_mov_b32_e32 v124, 0
	ds_read_b64 v[124:125], v124 offset:432
	s_waitcnt lgkmcnt(0)
	v_mul_f64 v[122:123], v[122:123], v[124:125]
	scratch_store_dwordx2 off, v[122:123], off offset:432
.LBB122_36:
	;; [unrolled: 53-line block ×8, first 2 shown]
	s_or_b64 exec, exec, s[4:5]
	scratch_load_dwordx2 v[122:123], off, off offset:376
	v_cmp_lt_u32_e64 s[0:1], 47, v0
	s_waitcnt vmcnt(0)
	ds_write_b64 v1, v[122:123]
	s_waitcnt lgkmcnt(0)
	; wave barrier
	s_and_saveexec_b64 s[4:5], s[0:1]
	s_cbranch_execz .LBB122_106
; %bb.97:
	s_andn2_b64 vcc, exec, s[6:7]
	s_cbranch_vccnz .LBB122_99
; %bb.98:
	scratch_load_dwordx2 v[122:123], v19, off
	ds_read_b64 v[124:125], v1
	s_waitcnt vmcnt(0) lgkmcnt(0)
	v_mul_f64 v[122:123], v[122:123], v[124:125]
	s_cbranch_execz .LBB122_100
	s_branch .LBB122_101
.LBB122_99:
                                        ; implicit-def: $vgpr122_vgpr123
.LBB122_100:
	ds_read_b64 v[122:123], v1
.LBB122_101:
	s_and_saveexec_b64 s[8:9], s[2:3]
	s_cbranch_execz .LBB122_105
; %bb.102:
	v_subrev_u32_e32 v124, 48, v0
	s_movk_i32 s59, 0x360
	s_mov_b64 s[2:3], 0
.LBB122_103:                            ; =>This Inner Loop Header: Depth=1
	scratch_load_dwordx2 v[126:127], off, s58
	v_mov_b32_e32 v125, s59
	ds_read_b64 v[128:129], v125
	v_add_u32_e32 v124, -1, v124
	s_add_i32 s59, s59, 8
	s_add_i32 s58, s58, 8
	v_cmp_eq_u32_e32 vcc, 0, v124
	s_or_b64 s[2:3], vcc, s[2:3]
	s_waitcnt vmcnt(0) lgkmcnt(0)
	v_fmac_f64_e32 v[122:123], v[126:127], v[128:129]
	s_andn2_b64 exec, exec, s[2:3]
	s_cbranch_execnz .LBB122_103
; %bb.104:
	s_or_b64 exec, exec, s[2:3]
.LBB122_105:
	s_or_b64 exec, exec, s[8:9]
	v_mov_b32_e32 v124, 0
	ds_read_b64 v[124:125], v124 offset:376
	s_waitcnt lgkmcnt(0)
	v_mul_f64 v[122:123], v[122:123], v[124:125]
	scratch_store_dwordx2 off, v[122:123], off offset:376
.LBB122_106:
	s_or_b64 exec, exec, s[4:5]
	scratch_load_dwordx2 v[122:123], off, off offset:368
	v_cmp_lt_u32_e64 s[2:3], 46, v0
	s_waitcnt vmcnt(0)
	ds_write_b64 v1, v[122:123]
	s_waitcnt lgkmcnt(0)
	; wave barrier
	s_and_saveexec_b64 s[4:5], s[2:3]
	s_cbranch_execz .LBB122_116
; %bb.107:
	s_andn2_b64 vcc, exec, s[6:7]
	s_cbranch_vccnz .LBB122_109
; %bb.108:
	scratch_load_dwordx2 v[122:123], v19, off
	ds_read_b64 v[124:125], v1
	s_waitcnt vmcnt(0) lgkmcnt(0)
	v_mul_f64 v[122:123], v[122:123], v[124:125]
	s_cbranch_execz .LBB122_110
	s_branch .LBB122_111
.LBB122_109:
                                        ; implicit-def: $vgpr122_vgpr123
.LBB122_110:
	ds_read_b64 v[122:123], v1
.LBB122_111:
	s_and_saveexec_b64 s[8:9], s[0:1]
	s_cbranch_execz .LBB122_115
; %bb.112:
	v_subrev_u32_e32 v124, 47, v0
	s_movk_i32 s58, 0x358
	s_mov_b64 s[0:1], 0
.LBB122_113:                            ; =>This Inner Loop Header: Depth=1
	scratch_load_dwordx2 v[126:127], off, s57
	v_mov_b32_e32 v125, s58
	ds_read_b64 v[128:129], v125
	v_add_u32_e32 v124, -1, v124
	s_add_i32 s58, s58, 8
	s_add_i32 s57, s57, 8
	v_cmp_eq_u32_e32 vcc, 0, v124
	s_or_b64 s[0:1], vcc, s[0:1]
	s_waitcnt vmcnt(0) lgkmcnt(0)
	v_fmac_f64_e32 v[122:123], v[126:127], v[128:129]
	s_andn2_b64 exec, exec, s[0:1]
	s_cbranch_execnz .LBB122_113
; %bb.114:
	s_or_b64 exec, exec, s[0:1]
.LBB122_115:
	s_or_b64 exec, exec, s[8:9]
	v_mov_b32_e32 v124, 0
	ds_read_b64 v[124:125], v124 offset:368
	s_waitcnt lgkmcnt(0)
	v_mul_f64 v[122:123], v[122:123], v[124:125]
	scratch_store_dwordx2 off, v[122:123], off offset:368
.LBB122_116:
	s_or_b64 exec, exec, s[4:5]
	scratch_load_dwordx2 v[122:123], off, off offset:360
	v_cmp_lt_u32_e64 s[0:1], 45, v0
	s_waitcnt vmcnt(0)
	ds_write_b64 v1, v[122:123]
	s_waitcnt lgkmcnt(0)
	; wave barrier
	s_and_saveexec_b64 s[4:5], s[0:1]
	s_cbranch_execz .LBB122_126
; %bb.117:
	s_andn2_b64 vcc, exec, s[6:7]
	s_cbranch_vccnz .LBB122_119
; %bb.118:
	scratch_load_dwordx2 v[122:123], v19, off
	ds_read_b64 v[124:125], v1
	s_waitcnt vmcnt(0) lgkmcnt(0)
	v_mul_f64 v[122:123], v[122:123], v[124:125]
	s_cbranch_execz .LBB122_120
	s_branch .LBB122_121
.LBB122_119:
                                        ; implicit-def: $vgpr122_vgpr123
.LBB122_120:
	ds_read_b64 v[122:123], v1
.LBB122_121:
	s_and_saveexec_b64 s[8:9], s[2:3]
	s_cbranch_execz .LBB122_125
; %bb.122:
	v_subrev_u32_e32 v124, 46, v0
	s_movk_i32 s57, 0x350
	s_mov_b64 s[2:3], 0
.LBB122_123:                            ; =>This Inner Loop Header: Depth=1
	scratch_load_dwordx2 v[126:127], off, s56
	v_mov_b32_e32 v125, s57
	ds_read_b64 v[128:129], v125
	v_add_u32_e32 v124, -1, v124
	s_add_i32 s57, s57, 8
	s_add_i32 s56, s56, 8
	v_cmp_eq_u32_e32 vcc, 0, v124
	s_or_b64 s[2:3], vcc, s[2:3]
	s_waitcnt vmcnt(0) lgkmcnt(0)
	v_fmac_f64_e32 v[122:123], v[126:127], v[128:129]
	s_andn2_b64 exec, exec, s[2:3]
	s_cbranch_execnz .LBB122_123
; %bb.124:
	s_or_b64 exec, exec, s[2:3]
.LBB122_125:
	s_or_b64 exec, exec, s[8:9]
	v_mov_b32_e32 v124, 0
	ds_read_b64 v[124:125], v124 offset:360
	s_waitcnt lgkmcnt(0)
	v_mul_f64 v[122:123], v[122:123], v[124:125]
	scratch_store_dwordx2 off, v[122:123], off offset:360
.LBB122_126:
	s_or_b64 exec, exec, s[4:5]
	scratch_load_dwordx2 v[122:123], off, off offset:352
	v_cmp_lt_u32_e64 s[2:3], 44, v0
	s_waitcnt vmcnt(0)
	ds_write_b64 v1, v[122:123]
	s_waitcnt lgkmcnt(0)
	; wave barrier
	s_and_saveexec_b64 s[4:5], s[2:3]
	s_cbranch_execz .LBB122_136
; %bb.127:
	s_andn2_b64 vcc, exec, s[6:7]
	s_cbranch_vccnz .LBB122_129
; %bb.128:
	scratch_load_dwordx2 v[122:123], v19, off
	ds_read_b64 v[124:125], v1
	s_waitcnt vmcnt(0) lgkmcnt(0)
	v_mul_f64 v[122:123], v[122:123], v[124:125]
	s_cbranch_execz .LBB122_130
	s_branch .LBB122_131
.LBB122_129:
                                        ; implicit-def: $vgpr122_vgpr123
.LBB122_130:
	ds_read_b64 v[122:123], v1
.LBB122_131:
	s_and_saveexec_b64 s[8:9], s[0:1]
	s_cbranch_execz .LBB122_135
; %bb.132:
	v_subrev_u32_e32 v124, 45, v0
	s_movk_i32 s56, 0x348
	s_mov_b64 s[0:1], 0
.LBB122_133:                            ; =>This Inner Loop Header: Depth=1
	scratch_load_dwordx2 v[126:127], off, s55
	v_mov_b32_e32 v125, s56
	ds_read_b64 v[128:129], v125
	v_add_u32_e32 v124, -1, v124
	s_add_i32 s56, s56, 8
	s_add_i32 s55, s55, 8
	v_cmp_eq_u32_e32 vcc, 0, v124
	s_or_b64 s[0:1], vcc, s[0:1]
	s_waitcnt vmcnt(0) lgkmcnt(0)
	v_fmac_f64_e32 v[122:123], v[126:127], v[128:129]
	s_andn2_b64 exec, exec, s[0:1]
	s_cbranch_execnz .LBB122_133
; %bb.134:
	s_or_b64 exec, exec, s[0:1]
.LBB122_135:
	s_or_b64 exec, exec, s[8:9]
	v_mov_b32_e32 v124, 0
	ds_read_b64 v[124:125], v124 offset:352
	s_waitcnt lgkmcnt(0)
	v_mul_f64 v[122:123], v[122:123], v[124:125]
	scratch_store_dwordx2 off, v[122:123], off offset:352
.LBB122_136:
	s_or_b64 exec, exec, s[4:5]
	scratch_load_dwordx2 v[122:123], off, off offset:344
	v_cmp_lt_u32_e64 s[0:1], 43, v0
	s_waitcnt vmcnt(0)
	ds_write_b64 v1, v[122:123]
	s_waitcnt lgkmcnt(0)
	; wave barrier
	s_and_saveexec_b64 s[4:5], s[0:1]
	s_cbranch_execz .LBB122_146
; %bb.137:
	s_andn2_b64 vcc, exec, s[6:7]
	s_cbranch_vccnz .LBB122_139
; %bb.138:
	scratch_load_dwordx2 v[122:123], v19, off
	ds_read_b64 v[124:125], v1
	s_waitcnt vmcnt(0) lgkmcnt(0)
	v_mul_f64 v[122:123], v[122:123], v[124:125]
	s_cbranch_execz .LBB122_140
	s_branch .LBB122_141
.LBB122_139:
                                        ; implicit-def: $vgpr122_vgpr123
.LBB122_140:
	ds_read_b64 v[122:123], v1
.LBB122_141:
	s_and_saveexec_b64 s[8:9], s[2:3]
	s_cbranch_execz .LBB122_145
; %bb.142:
	v_subrev_u32_e32 v124, 44, v0
	s_movk_i32 s55, 0x340
	s_mov_b64 s[2:3], 0
.LBB122_143:                            ; =>This Inner Loop Header: Depth=1
	scratch_load_dwordx2 v[126:127], off, s54
	v_mov_b32_e32 v125, s55
	ds_read_b64 v[128:129], v125
	v_add_u32_e32 v124, -1, v124
	s_add_i32 s55, s55, 8
	s_add_i32 s54, s54, 8
	v_cmp_eq_u32_e32 vcc, 0, v124
	s_or_b64 s[2:3], vcc, s[2:3]
	s_waitcnt vmcnt(0) lgkmcnt(0)
	v_fmac_f64_e32 v[122:123], v[126:127], v[128:129]
	s_andn2_b64 exec, exec, s[2:3]
	s_cbranch_execnz .LBB122_143
; %bb.144:
	s_or_b64 exec, exec, s[2:3]
.LBB122_145:
	s_or_b64 exec, exec, s[8:9]
	v_mov_b32_e32 v124, 0
	ds_read_b64 v[124:125], v124 offset:344
	s_waitcnt lgkmcnt(0)
	v_mul_f64 v[122:123], v[122:123], v[124:125]
	scratch_store_dwordx2 off, v[122:123], off offset:344
.LBB122_146:
	s_or_b64 exec, exec, s[4:5]
	scratch_load_dwordx2 v[122:123], off, off offset:336
	v_cmp_lt_u32_e64 s[2:3], 42, v0
	s_waitcnt vmcnt(0)
	ds_write_b64 v1, v[122:123]
	s_waitcnt lgkmcnt(0)
	; wave barrier
	s_and_saveexec_b64 s[4:5], s[2:3]
	s_cbranch_execz .LBB122_156
; %bb.147:
	s_andn2_b64 vcc, exec, s[6:7]
	s_cbranch_vccnz .LBB122_149
; %bb.148:
	scratch_load_dwordx2 v[122:123], v19, off
	ds_read_b64 v[124:125], v1
	s_waitcnt vmcnt(0) lgkmcnt(0)
	v_mul_f64 v[122:123], v[122:123], v[124:125]
	s_cbranch_execz .LBB122_150
	s_branch .LBB122_151
.LBB122_149:
                                        ; implicit-def: $vgpr122_vgpr123
.LBB122_150:
	ds_read_b64 v[122:123], v1
.LBB122_151:
	s_and_saveexec_b64 s[8:9], s[0:1]
	s_cbranch_execz .LBB122_155
; %bb.152:
	v_subrev_u32_e32 v124, 43, v0
	s_movk_i32 s54, 0x338
	s_mov_b64 s[0:1], 0
.LBB122_153:                            ; =>This Inner Loop Header: Depth=1
	scratch_load_dwordx2 v[126:127], off, s53
	v_mov_b32_e32 v125, s54
	ds_read_b64 v[128:129], v125
	v_add_u32_e32 v124, -1, v124
	s_add_i32 s54, s54, 8
	s_add_i32 s53, s53, 8
	v_cmp_eq_u32_e32 vcc, 0, v124
	s_or_b64 s[0:1], vcc, s[0:1]
	s_waitcnt vmcnt(0) lgkmcnt(0)
	v_fmac_f64_e32 v[122:123], v[126:127], v[128:129]
	s_andn2_b64 exec, exec, s[0:1]
	s_cbranch_execnz .LBB122_153
; %bb.154:
	s_or_b64 exec, exec, s[0:1]
.LBB122_155:
	s_or_b64 exec, exec, s[8:9]
	v_mov_b32_e32 v124, 0
	ds_read_b64 v[124:125], v124 offset:336
	s_waitcnt lgkmcnt(0)
	v_mul_f64 v[122:123], v[122:123], v[124:125]
	scratch_store_dwordx2 off, v[122:123], off offset:336
.LBB122_156:
	s_or_b64 exec, exec, s[4:5]
	scratch_load_dwordx2 v[122:123], off, off offset:328
	v_cmp_lt_u32_e64 s[0:1], 41, v0
	s_waitcnt vmcnt(0)
	ds_write_b64 v1, v[122:123]
	s_waitcnt lgkmcnt(0)
	; wave barrier
	s_and_saveexec_b64 s[4:5], s[0:1]
	s_cbranch_execz .LBB122_166
; %bb.157:
	s_andn2_b64 vcc, exec, s[6:7]
	s_cbranch_vccnz .LBB122_159
; %bb.158:
	scratch_load_dwordx2 v[122:123], v19, off
	ds_read_b64 v[124:125], v1
	s_waitcnt vmcnt(0) lgkmcnt(0)
	v_mul_f64 v[122:123], v[122:123], v[124:125]
	s_cbranch_execz .LBB122_160
	s_branch .LBB122_161
.LBB122_159:
                                        ; implicit-def: $vgpr122_vgpr123
.LBB122_160:
	ds_read_b64 v[122:123], v1
.LBB122_161:
	s_and_saveexec_b64 s[8:9], s[2:3]
	s_cbranch_execz .LBB122_165
; %bb.162:
	v_subrev_u32_e32 v124, 42, v0
	s_movk_i32 s53, 0x330
	s_mov_b64 s[2:3], 0
.LBB122_163:                            ; =>This Inner Loop Header: Depth=1
	scratch_load_dwordx2 v[126:127], off, s52
	v_mov_b32_e32 v125, s53
	ds_read_b64 v[128:129], v125
	v_add_u32_e32 v124, -1, v124
	s_add_i32 s53, s53, 8
	s_add_i32 s52, s52, 8
	v_cmp_eq_u32_e32 vcc, 0, v124
	s_or_b64 s[2:3], vcc, s[2:3]
	s_waitcnt vmcnt(0) lgkmcnt(0)
	v_fmac_f64_e32 v[122:123], v[126:127], v[128:129]
	s_andn2_b64 exec, exec, s[2:3]
	s_cbranch_execnz .LBB122_163
; %bb.164:
	s_or_b64 exec, exec, s[2:3]
.LBB122_165:
	s_or_b64 exec, exec, s[8:9]
	v_mov_b32_e32 v124, 0
	ds_read_b64 v[124:125], v124 offset:328
	s_waitcnt lgkmcnt(0)
	v_mul_f64 v[122:123], v[122:123], v[124:125]
	scratch_store_dwordx2 off, v[122:123], off offset:328
.LBB122_166:
	s_or_b64 exec, exec, s[4:5]
	scratch_load_dwordx2 v[122:123], off, off offset:320
	v_cmp_lt_u32_e64 s[2:3], 40, v0
	s_waitcnt vmcnt(0)
	ds_write_b64 v1, v[122:123]
	s_waitcnt lgkmcnt(0)
	; wave barrier
	s_and_saveexec_b64 s[4:5], s[2:3]
	s_cbranch_execz .LBB122_176
; %bb.167:
	s_andn2_b64 vcc, exec, s[6:7]
	s_cbranch_vccnz .LBB122_169
; %bb.168:
	scratch_load_dwordx2 v[122:123], v19, off
	ds_read_b64 v[124:125], v1
	s_waitcnt vmcnt(0) lgkmcnt(0)
	v_mul_f64 v[122:123], v[122:123], v[124:125]
	s_cbranch_execz .LBB122_170
	s_branch .LBB122_171
.LBB122_169:
                                        ; implicit-def: $vgpr122_vgpr123
.LBB122_170:
	ds_read_b64 v[122:123], v1
.LBB122_171:
	s_and_saveexec_b64 s[8:9], s[0:1]
	s_cbranch_execz .LBB122_175
; %bb.172:
	v_subrev_u32_e32 v124, 41, v0
	s_movk_i32 s52, 0x328
	s_mov_b64 s[0:1], 0
.LBB122_173:                            ; =>This Inner Loop Header: Depth=1
	scratch_load_dwordx2 v[126:127], off, s51
	v_mov_b32_e32 v125, s52
	ds_read_b64 v[128:129], v125
	v_add_u32_e32 v124, -1, v124
	s_add_i32 s52, s52, 8
	s_add_i32 s51, s51, 8
	v_cmp_eq_u32_e32 vcc, 0, v124
	s_or_b64 s[0:1], vcc, s[0:1]
	s_waitcnt vmcnt(0) lgkmcnt(0)
	v_fmac_f64_e32 v[122:123], v[126:127], v[128:129]
	s_andn2_b64 exec, exec, s[0:1]
	s_cbranch_execnz .LBB122_173
; %bb.174:
	s_or_b64 exec, exec, s[0:1]
.LBB122_175:
	s_or_b64 exec, exec, s[8:9]
	v_mov_b32_e32 v124, 0
	ds_read_b64 v[124:125], v124 offset:320
	s_waitcnt lgkmcnt(0)
	v_mul_f64 v[122:123], v[122:123], v[124:125]
	scratch_store_dwordx2 off, v[122:123], off offset:320
.LBB122_176:
	s_or_b64 exec, exec, s[4:5]
	scratch_load_dwordx2 v[122:123], off, off offset:312
	v_cmp_lt_u32_e64 s[0:1], 39, v0
	s_waitcnt vmcnt(0)
	ds_write_b64 v1, v[122:123]
	s_waitcnt lgkmcnt(0)
	; wave barrier
	s_and_saveexec_b64 s[4:5], s[0:1]
	s_cbranch_execz .LBB122_186
; %bb.177:
	s_andn2_b64 vcc, exec, s[6:7]
	s_cbranch_vccnz .LBB122_179
; %bb.178:
	scratch_load_dwordx2 v[122:123], v19, off
	ds_read_b64 v[124:125], v1
	s_waitcnt vmcnt(0) lgkmcnt(0)
	v_mul_f64 v[122:123], v[122:123], v[124:125]
	s_cbranch_execz .LBB122_180
	s_branch .LBB122_181
.LBB122_179:
                                        ; implicit-def: $vgpr122_vgpr123
.LBB122_180:
	ds_read_b64 v[122:123], v1
.LBB122_181:
	s_and_saveexec_b64 s[8:9], s[2:3]
	s_cbranch_execz .LBB122_185
; %bb.182:
	v_subrev_u32_e32 v124, 40, v0
	s_movk_i32 s51, 0x320
	s_mov_b64 s[2:3], 0
.LBB122_183:                            ; =>This Inner Loop Header: Depth=1
	scratch_load_dwordx2 v[126:127], off, s50
	v_mov_b32_e32 v125, s51
	ds_read_b64 v[128:129], v125
	v_add_u32_e32 v124, -1, v124
	s_add_i32 s51, s51, 8
	s_add_i32 s50, s50, 8
	v_cmp_eq_u32_e32 vcc, 0, v124
	s_or_b64 s[2:3], vcc, s[2:3]
	s_waitcnt vmcnt(0) lgkmcnt(0)
	v_fmac_f64_e32 v[122:123], v[126:127], v[128:129]
	s_andn2_b64 exec, exec, s[2:3]
	s_cbranch_execnz .LBB122_183
; %bb.184:
	s_or_b64 exec, exec, s[2:3]
.LBB122_185:
	s_or_b64 exec, exec, s[8:9]
	v_mov_b32_e32 v124, 0
	ds_read_b64 v[124:125], v124 offset:312
	s_waitcnt lgkmcnt(0)
	v_mul_f64 v[122:123], v[122:123], v[124:125]
	scratch_store_dwordx2 off, v[122:123], off offset:312
.LBB122_186:
	s_or_b64 exec, exec, s[4:5]
	scratch_load_dwordx2 v[122:123], off, off offset:304
	v_cmp_lt_u32_e64 s[2:3], 38, v0
	s_waitcnt vmcnt(0)
	ds_write_b64 v1, v[122:123]
	s_waitcnt lgkmcnt(0)
	; wave barrier
	s_and_saveexec_b64 s[4:5], s[2:3]
	s_cbranch_execz .LBB122_196
; %bb.187:
	s_andn2_b64 vcc, exec, s[6:7]
	s_cbranch_vccnz .LBB122_189
; %bb.188:
	scratch_load_dwordx2 v[122:123], v19, off
	ds_read_b64 v[124:125], v1
	s_waitcnt vmcnt(0) lgkmcnt(0)
	v_mul_f64 v[122:123], v[122:123], v[124:125]
	s_cbranch_execz .LBB122_190
	s_branch .LBB122_191
.LBB122_189:
                                        ; implicit-def: $vgpr122_vgpr123
.LBB122_190:
	ds_read_b64 v[122:123], v1
.LBB122_191:
	s_and_saveexec_b64 s[8:9], s[0:1]
	s_cbranch_execz .LBB122_195
; %bb.192:
	v_subrev_u32_e32 v124, 39, v0
	s_movk_i32 s50, 0x318
	s_mov_b64 s[0:1], 0
.LBB122_193:                            ; =>This Inner Loop Header: Depth=1
	scratch_load_dwordx2 v[126:127], off, s49
	v_mov_b32_e32 v125, s50
	ds_read_b64 v[128:129], v125
	v_add_u32_e32 v124, -1, v124
	s_add_i32 s50, s50, 8
	s_add_i32 s49, s49, 8
	v_cmp_eq_u32_e32 vcc, 0, v124
	s_or_b64 s[0:1], vcc, s[0:1]
	s_waitcnt vmcnt(0) lgkmcnt(0)
	v_fmac_f64_e32 v[122:123], v[126:127], v[128:129]
	s_andn2_b64 exec, exec, s[0:1]
	s_cbranch_execnz .LBB122_193
; %bb.194:
	s_or_b64 exec, exec, s[0:1]
.LBB122_195:
	s_or_b64 exec, exec, s[8:9]
	v_mov_b32_e32 v124, 0
	ds_read_b64 v[124:125], v124 offset:304
	s_waitcnt lgkmcnt(0)
	v_mul_f64 v[122:123], v[122:123], v[124:125]
	scratch_store_dwordx2 off, v[122:123], off offset:304
.LBB122_196:
	s_or_b64 exec, exec, s[4:5]
	scratch_load_dwordx2 v[122:123], off, off offset:296
	v_cmp_lt_u32_e64 s[0:1], 37, v0
	s_waitcnt vmcnt(0)
	ds_write_b64 v1, v[122:123]
	s_waitcnt lgkmcnt(0)
	; wave barrier
	s_and_saveexec_b64 s[4:5], s[0:1]
	s_cbranch_execz .LBB122_206
; %bb.197:
	s_andn2_b64 vcc, exec, s[6:7]
	s_cbranch_vccnz .LBB122_199
; %bb.198:
	scratch_load_dwordx2 v[122:123], v19, off
	ds_read_b64 v[124:125], v1
	s_waitcnt vmcnt(0) lgkmcnt(0)
	v_mul_f64 v[122:123], v[122:123], v[124:125]
	s_cbranch_execz .LBB122_200
	s_branch .LBB122_201
.LBB122_199:
                                        ; implicit-def: $vgpr122_vgpr123
.LBB122_200:
	ds_read_b64 v[122:123], v1
.LBB122_201:
	s_and_saveexec_b64 s[8:9], s[2:3]
	s_cbranch_execz .LBB122_205
; %bb.202:
	v_subrev_u32_e32 v124, 38, v0
	s_movk_i32 s49, 0x310
	s_mov_b64 s[2:3], 0
.LBB122_203:                            ; =>This Inner Loop Header: Depth=1
	scratch_load_dwordx2 v[126:127], off, s48
	v_mov_b32_e32 v125, s49
	ds_read_b64 v[128:129], v125
	v_add_u32_e32 v124, -1, v124
	s_add_i32 s49, s49, 8
	s_add_i32 s48, s48, 8
	v_cmp_eq_u32_e32 vcc, 0, v124
	s_or_b64 s[2:3], vcc, s[2:3]
	s_waitcnt vmcnt(0) lgkmcnt(0)
	v_fmac_f64_e32 v[122:123], v[126:127], v[128:129]
	s_andn2_b64 exec, exec, s[2:3]
	s_cbranch_execnz .LBB122_203
; %bb.204:
	s_or_b64 exec, exec, s[2:3]
.LBB122_205:
	s_or_b64 exec, exec, s[8:9]
	v_mov_b32_e32 v124, 0
	ds_read_b64 v[124:125], v124 offset:296
	s_waitcnt lgkmcnt(0)
	v_mul_f64 v[122:123], v[122:123], v[124:125]
	scratch_store_dwordx2 off, v[122:123], off offset:296
.LBB122_206:
	s_or_b64 exec, exec, s[4:5]
	scratch_load_dwordx2 v[122:123], off, off offset:288
	v_cmp_lt_u32_e64 s[2:3], 36, v0
	s_waitcnt vmcnt(0)
	ds_write_b64 v1, v[122:123]
	s_waitcnt lgkmcnt(0)
	; wave barrier
	s_and_saveexec_b64 s[4:5], s[2:3]
	s_cbranch_execz .LBB122_216
; %bb.207:
	s_andn2_b64 vcc, exec, s[6:7]
	s_cbranch_vccnz .LBB122_209
; %bb.208:
	scratch_load_dwordx2 v[122:123], v19, off
	ds_read_b64 v[124:125], v1
	s_waitcnt vmcnt(0) lgkmcnt(0)
	v_mul_f64 v[122:123], v[122:123], v[124:125]
	s_cbranch_execz .LBB122_210
	s_branch .LBB122_211
.LBB122_209:
                                        ; implicit-def: $vgpr122_vgpr123
.LBB122_210:
	ds_read_b64 v[122:123], v1
.LBB122_211:
	s_and_saveexec_b64 s[8:9], s[0:1]
	s_cbranch_execz .LBB122_215
; %bb.212:
	v_subrev_u32_e32 v124, 37, v0
	s_movk_i32 s48, 0x308
	s_mov_b64 s[0:1], 0
.LBB122_213:                            ; =>This Inner Loop Header: Depth=1
	scratch_load_dwordx2 v[126:127], off, s47
	v_mov_b32_e32 v125, s48
	ds_read_b64 v[128:129], v125
	v_add_u32_e32 v124, -1, v124
	s_add_i32 s48, s48, 8
	s_add_i32 s47, s47, 8
	v_cmp_eq_u32_e32 vcc, 0, v124
	s_or_b64 s[0:1], vcc, s[0:1]
	s_waitcnt vmcnt(0) lgkmcnt(0)
	v_fmac_f64_e32 v[122:123], v[126:127], v[128:129]
	s_andn2_b64 exec, exec, s[0:1]
	s_cbranch_execnz .LBB122_213
; %bb.214:
	s_or_b64 exec, exec, s[0:1]
.LBB122_215:
	s_or_b64 exec, exec, s[8:9]
	v_mov_b32_e32 v124, 0
	ds_read_b64 v[124:125], v124 offset:288
	s_waitcnt lgkmcnt(0)
	v_mul_f64 v[122:123], v[122:123], v[124:125]
	scratch_store_dwordx2 off, v[122:123], off offset:288
.LBB122_216:
	s_or_b64 exec, exec, s[4:5]
	scratch_load_dwordx2 v[122:123], off, off offset:280
	v_cmp_lt_u32_e64 s[0:1], 35, v0
	s_waitcnt vmcnt(0)
	ds_write_b64 v1, v[122:123]
	s_waitcnt lgkmcnt(0)
	; wave barrier
	s_and_saveexec_b64 s[4:5], s[0:1]
	s_cbranch_execz .LBB122_226
; %bb.217:
	s_andn2_b64 vcc, exec, s[6:7]
	s_cbranch_vccnz .LBB122_219
; %bb.218:
	scratch_load_dwordx2 v[122:123], v19, off
	ds_read_b64 v[124:125], v1
	s_waitcnt vmcnt(0) lgkmcnt(0)
	v_mul_f64 v[122:123], v[122:123], v[124:125]
	s_cbranch_execz .LBB122_220
	s_branch .LBB122_221
.LBB122_219:
                                        ; implicit-def: $vgpr122_vgpr123
.LBB122_220:
	ds_read_b64 v[122:123], v1
.LBB122_221:
	s_and_saveexec_b64 s[8:9], s[2:3]
	s_cbranch_execz .LBB122_225
; %bb.222:
	v_subrev_u32_e32 v124, 36, v0
	s_movk_i32 s47, 0x300
	s_mov_b64 s[2:3], 0
.LBB122_223:                            ; =>This Inner Loop Header: Depth=1
	scratch_load_dwordx2 v[126:127], off, s46
	v_mov_b32_e32 v125, s47
	ds_read_b64 v[128:129], v125
	v_add_u32_e32 v124, -1, v124
	s_add_i32 s47, s47, 8
	s_add_i32 s46, s46, 8
	v_cmp_eq_u32_e32 vcc, 0, v124
	s_or_b64 s[2:3], vcc, s[2:3]
	s_waitcnt vmcnt(0) lgkmcnt(0)
	v_fmac_f64_e32 v[122:123], v[126:127], v[128:129]
	s_andn2_b64 exec, exec, s[2:3]
	s_cbranch_execnz .LBB122_223
; %bb.224:
	s_or_b64 exec, exec, s[2:3]
.LBB122_225:
	s_or_b64 exec, exec, s[8:9]
	v_mov_b32_e32 v124, 0
	ds_read_b64 v[124:125], v124 offset:280
	s_waitcnt lgkmcnt(0)
	v_mul_f64 v[122:123], v[122:123], v[124:125]
	scratch_store_dwordx2 off, v[122:123], off offset:280
.LBB122_226:
	s_or_b64 exec, exec, s[4:5]
	scratch_load_dwordx2 v[122:123], off, off offset:272
	v_cmp_lt_u32_e64 s[2:3], 34, v0
	s_waitcnt vmcnt(0)
	ds_write_b64 v1, v[122:123]
	s_waitcnt lgkmcnt(0)
	; wave barrier
	s_and_saveexec_b64 s[4:5], s[2:3]
	s_cbranch_execz .LBB122_236
; %bb.227:
	s_andn2_b64 vcc, exec, s[6:7]
	s_cbranch_vccnz .LBB122_229
; %bb.228:
	scratch_load_dwordx2 v[122:123], v19, off
	ds_read_b64 v[124:125], v1
	s_waitcnt vmcnt(0) lgkmcnt(0)
	v_mul_f64 v[122:123], v[122:123], v[124:125]
	s_cbranch_execz .LBB122_230
	s_branch .LBB122_231
.LBB122_229:
                                        ; implicit-def: $vgpr122_vgpr123
.LBB122_230:
	ds_read_b64 v[122:123], v1
.LBB122_231:
	s_and_saveexec_b64 s[8:9], s[0:1]
	s_cbranch_execz .LBB122_235
; %bb.232:
	v_subrev_u32_e32 v124, 35, v0
	s_movk_i32 s46, 0x2f8
	s_mov_b64 s[0:1], 0
.LBB122_233:                            ; =>This Inner Loop Header: Depth=1
	scratch_load_dwordx2 v[126:127], off, s45
	v_mov_b32_e32 v125, s46
	ds_read_b64 v[128:129], v125
	v_add_u32_e32 v124, -1, v124
	s_add_i32 s46, s46, 8
	s_add_i32 s45, s45, 8
	v_cmp_eq_u32_e32 vcc, 0, v124
	s_or_b64 s[0:1], vcc, s[0:1]
	s_waitcnt vmcnt(0) lgkmcnt(0)
	v_fmac_f64_e32 v[122:123], v[126:127], v[128:129]
	s_andn2_b64 exec, exec, s[0:1]
	s_cbranch_execnz .LBB122_233
; %bb.234:
	s_or_b64 exec, exec, s[0:1]
.LBB122_235:
	s_or_b64 exec, exec, s[8:9]
	v_mov_b32_e32 v124, 0
	ds_read_b64 v[124:125], v124 offset:272
	s_waitcnt lgkmcnt(0)
	v_mul_f64 v[122:123], v[122:123], v[124:125]
	scratch_store_dwordx2 off, v[122:123], off offset:272
.LBB122_236:
	s_or_b64 exec, exec, s[4:5]
	scratch_load_dwordx2 v[122:123], off, off offset:264
	v_cmp_lt_u32_e64 s[0:1], 33, v0
	s_waitcnt vmcnt(0)
	ds_write_b64 v1, v[122:123]
	s_waitcnt lgkmcnt(0)
	; wave barrier
	s_and_saveexec_b64 s[4:5], s[0:1]
	s_cbranch_execz .LBB122_246
; %bb.237:
	s_andn2_b64 vcc, exec, s[6:7]
	s_cbranch_vccnz .LBB122_239
; %bb.238:
	scratch_load_dwordx2 v[122:123], v19, off
	ds_read_b64 v[124:125], v1
	s_waitcnt vmcnt(0) lgkmcnt(0)
	v_mul_f64 v[122:123], v[122:123], v[124:125]
	s_cbranch_execz .LBB122_240
	s_branch .LBB122_241
.LBB122_239:
                                        ; implicit-def: $vgpr122_vgpr123
.LBB122_240:
	ds_read_b64 v[122:123], v1
.LBB122_241:
	s_and_saveexec_b64 s[8:9], s[2:3]
	s_cbranch_execz .LBB122_245
; %bb.242:
	v_subrev_u32_e32 v124, 34, v0
	s_movk_i32 s45, 0x2f0
	s_mov_b64 s[2:3], 0
.LBB122_243:                            ; =>This Inner Loop Header: Depth=1
	scratch_load_dwordx2 v[126:127], off, s44
	v_mov_b32_e32 v125, s45
	ds_read_b64 v[128:129], v125
	v_add_u32_e32 v124, -1, v124
	s_add_i32 s45, s45, 8
	s_add_i32 s44, s44, 8
	v_cmp_eq_u32_e32 vcc, 0, v124
	s_or_b64 s[2:3], vcc, s[2:3]
	s_waitcnt vmcnt(0) lgkmcnt(0)
	v_fmac_f64_e32 v[122:123], v[126:127], v[128:129]
	s_andn2_b64 exec, exec, s[2:3]
	s_cbranch_execnz .LBB122_243
; %bb.244:
	s_or_b64 exec, exec, s[2:3]
.LBB122_245:
	s_or_b64 exec, exec, s[8:9]
	v_mov_b32_e32 v124, 0
	ds_read_b64 v[124:125], v124 offset:264
	s_waitcnt lgkmcnt(0)
	v_mul_f64 v[122:123], v[122:123], v[124:125]
	scratch_store_dwordx2 off, v[122:123], off offset:264
.LBB122_246:
	s_or_b64 exec, exec, s[4:5]
	scratch_load_dwordx2 v[122:123], off, off offset:256
	v_cmp_lt_u32_e64 s[2:3], 32, v0
	s_waitcnt vmcnt(0)
	ds_write_b64 v1, v[122:123]
	s_waitcnt lgkmcnt(0)
	; wave barrier
	s_and_saveexec_b64 s[4:5], s[2:3]
	s_cbranch_execz .LBB122_256
; %bb.247:
	s_andn2_b64 vcc, exec, s[6:7]
	s_cbranch_vccnz .LBB122_249
; %bb.248:
	scratch_load_dwordx2 v[122:123], v19, off
	ds_read_b64 v[124:125], v1
	s_waitcnt vmcnt(0) lgkmcnt(0)
	v_mul_f64 v[122:123], v[122:123], v[124:125]
	s_cbranch_execz .LBB122_250
	s_branch .LBB122_251
.LBB122_249:
                                        ; implicit-def: $vgpr122_vgpr123
.LBB122_250:
	ds_read_b64 v[122:123], v1
.LBB122_251:
	s_and_saveexec_b64 s[8:9], s[0:1]
	s_cbranch_execz .LBB122_255
; %bb.252:
	v_subrev_u32_e32 v124, 33, v0
	s_movk_i32 s44, 0x2e8
	s_mov_b64 s[0:1], 0
.LBB122_253:                            ; =>This Inner Loop Header: Depth=1
	scratch_load_dwordx2 v[126:127], off, s43
	v_mov_b32_e32 v125, s44
	ds_read_b64 v[128:129], v125
	v_add_u32_e32 v124, -1, v124
	s_add_i32 s44, s44, 8
	s_add_i32 s43, s43, 8
	v_cmp_eq_u32_e32 vcc, 0, v124
	s_or_b64 s[0:1], vcc, s[0:1]
	s_waitcnt vmcnt(0) lgkmcnt(0)
	v_fmac_f64_e32 v[122:123], v[126:127], v[128:129]
	s_andn2_b64 exec, exec, s[0:1]
	s_cbranch_execnz .LBB122_253
; %bb.254:
	s_or_b64 exec, exec, s[0:1]
.LBB122_255:
	s_or_b64 exec, exec, s[8:9]
	v_mov_b32_e32 v124, 0
	ds_read_b64 v[124:125], v124 offset:256
	s_waitcnt lgkmcnt(0)
	v_mul_f64 v[122:123], v[122:123], v[124:125]
	scratch_store_dwordx2 off, v[122:123], off offset:256
.LBB122_256:
	s_or_b64 exec, exec, s[4:5]
	scratch_load_dwordx2 v[122:123], off, off offset:248
	v_cmp_lt_u32_e64 s[0:1], 31, v0
	s_waitcnt vmcnt(0)
	ds_write_b64 v1, v[122:123]
	s_waitcnt lgkmcnt(0)
	; wave barrier
	s_and_saveexec_b64 s[4:5], s[0:1]
	s_cbranch_execz .LBB122_266
; %bb.257:
	s_andn2_b64 vcc, exec, s[6:7]
	s_cbranch_vccnz .LBB122_259
; %bb.258:
	scratch_load_dwordx2 v[122:123], v19, off
	ds_read_b64 v[124:125], v1
	s_waitcnt vmcnt(0) lgkmcnt(0)
	v_mul_f64 v[122:123], v[122:123], v[124:125]
	s_cbranch_execz .LBB122_260
	s_branch .LBB122_261
.LBB122_259:
                                        ; implicit-def: $vgpr122_vgpr123
.LBB122_260:
	ds_read_b64 v[122:123], v1
.LBB122_261:
	s_and_saveexec_b64 s[8:9], s[2:3]
	s_cbranch_execz .LBB122_265
; %bb.262:
	v_subrev_u32_e32 v124, 32, v0
	s_movk_i32 s43, 0x2e0
	s_mov_b64 s[2:3], 0
.LBB122_263:                            ; =>This Inner Loop Header: Depth=1
	scratch_load_dwordx2 v[126:127], off, s42
	v_mov_b32_e32 v125, s43
	ds_read_b64 v[128:129], v125
	v_add_u32_e32 v124, -1, v124
	s_add_i32 s43, s43, 8
	s_add_i32 s42, s42, 8
	v_cmp_eq_u32_e32 vcc, 0, v124
	s_or_b64 s[2:3], vcc, s[2:3]
	s_waitcnt vmcnt(0) lgkmcnt(0)
	v_fmac_f64_e32 v[122:123], v[126:127], v[128:129]
	s_andn2_b64 exec, exec, s[2:3]
	s_cbranch_execnz .LBB122_263
; %bb.264:
	s_or_b64 exec, exec, s[2:3]
.LBB122_265:
	s_or_b64 exec, exec, s[8:9]
	v_mov_b32_e32 v124, 0
	ds_read_b64 v[124:125], v124 offset:248
	s_waitcnt lgkmcnt(0)
	v_mul_f64 v[122:123], v[122:123], v[124:125]
	scratch_store_dwordx2 off, v[122:123], off offset:248
.LBB122_266:
	s_or_b64 exec, exec, s[4:5]
	scratch_load_dwordx2 v[122:123], off, off offset:240
	v_cmp_lt_u32_e64 s[2:3], 30, v0
	s_waitcnt vmcnt(0)
	ds_write_b64 v1, v[122:123]
	s_waitcnt lgkmcnt(0)
	; wave barrier
	s_and_saveexec_b64 s[4:5], s[2:3]
	s_cbranch_execz .LBB122_276
; %bb.267:
	s_andn2_b64 vcc, exec, s[6:7]
	s_cbranch_vccnz .LBB122_269
; %bb.268:
	scratch_load_dwordx2 v[122:123], v19, off
	ds_read_b64 v[124:125], v1
	s_waitcnt vmcnt(0) lgkmcnt(0)
	v_mul_f64 v[122:123], v[122:123], v[124:125]
	s_cbranch_execz .LBB122_270
	s_branch .LBB122_271
.LBB122_269:
                                        ; implicit-def: $vgpr122_vgpr123
.LBB122_270:
	ds_read_b64 v[122:123], v1
.LBB122_271:
	s_and_saveexec_b64 s[8:9], s[0:1]
	s_cbranch_execz .LBB122_275
; %bb.272:
	v_subrev_u32_e32 v124, 31, v0
	s_movk_i32 s42, 0x2d8
	s_mov_b64 s[0:1], 0
.LBB122_273:                            ; =>This Inner Loop Header: Depth=1
	scratch_load_dwordx2 v[126:127], off, s41
	v_mov_b32_e32 v125, s42
	ds_read_b64 v[128:129], v125
	v_add_u32_e32 v124, -1, v124
	s_add_i32 s42, s42, 8
	s_add_i32 s41, s41, 8
	v_cmp_eq_u32_e32 vcc, 0, v124
	s_or_b64 s[0:1], vcc, s[0:1]
	s_waitcnt vmcnt(0) lgkmcnt(0)
	v_fmac_f64_e32 v[122:123], v[126:127], v[128:129]
	s_andn2_b64 exec, exec, s[0:1]
	s_cbranch_execnz .LBB122_273
; %bb.274:
	s_or_b64 exec, exec, s[0:1]
.LBB122_275:
	s_or_b64 exec, exec, s[8:9]
	v_mov_b32_e32 v124, 0
	ds_read_b64 v[124:125], v124 offset:240
	s_waitcnt lgkmcnt(0)
	v_mul_f64 v[122:123], v[122:123], v[124:125]
	scratch_store_dwordx2 off, v[122:123], off offset:240
.LBB122_276:
	s_or_b64 exec, exec, s[4:5]
	scratch_load_dwordx2 v[122:123], off, off offset:232
	v_cmp_lt_u32_e64 s[0:1], 29, v0
	s_waitcnt vmcnt(0)
	ds_write_b64 v1, v[122:123]
	s_waitcnt lgkmcnt(0)
	; wave barrier
	s_and_saveexec_b64 s[4:5], s[0:1]
	s_cbranch_execz .LBB122_286
; %bb.277:
	s_andn2_b64 vcc, exec, s[6:7]
	s_cbranch_vccnz .LBB122_279
; %bb.278:
	scratch_load_dwordx2 v[122:123], v19, off
	ds_read_b64 v[124:125], v1
	s_waitcnt vmcnt(0) lgkmcnt(0)
	v_mul_f64 v[122:123], v[122:123], v[124:125]
	s_cbranch_execz .LBB122_280
	s_branch .LBB122_281
.LBB122_279:
                                        ; implicit-def: $vgpr122_vgpr123
.LBB122_280:
	ds_read_b64 v[122:123], v1
.LBB122_281:
	s_and_saveexec_b64 s[8:9], s[2:3]
	s_cbranch_execz .LBB122_285
; %bb.282:
	v_subrev_u32_e32 v124, 30, v0
	s_movk_i32 s41, 0x2d0
	s_mov_b64 s[2:3], 0
.LBB122_283:                            ; =>This Inner Loop Header: Depth=1
	scratch_load_dwordx2 v[126:127], off, s40
	v_mov_b32_e32 v125, s41
	ds_read_b64 v[128:129], v125
	v_add_u32_e32 v124, -1, v124
	s_add_i32 s41, s41, 8
	s_add_i32 s40, s40, 8
	v_cmp_eq_u32_e32 vcc, 0, v124
	s_or_b64 s[2:3], vcc, s[2:3]
	s_waitcnt vmcnt(0) lgkmcnt(0)
	v_fmac_f64_e32 v[122:123], v[126:127], v[128:129]
	s_andn2_b64 exec, exec, s[2:3]
	s_cbranch_execnz .LBB122_283
; %bb.284:
	s_or_b64 exec, exec, s[2:3]
.LBB122_285:
	s_or_b64 exec, exec, s[8:9]
	v_mov_b32_e32 v124, 0
	ds_read_b64 v[124:125], v124 offset:232
	s_waitcnt lgkmcnt(0)
	v_mul_f64 v[122:123], v[122:123], v[124:125]
	scratch_store_dwordx2 off, v[122:123], off offset:232
.LBB122_286:
	s_or_b64 exec, exec, s[4:5]
	scratch_load_dwordx2 v[122:123], off, off offset:224
	v_cmp_lt_u32_e64 s[2:3], 28, v0
	s_waitcnt vmcnt(0)
	ds_write_b64 v1, v[122:123]
	s_waitcnt lgkmcnt(0)
	; wave barrier
	s_and_saveexec_b64 s[4:5], s[2:3]
	s_cbranch_execz .LBB122_296
; %bb.287:
	s_andn2_b64 vcc, exec, s[6:7]
	s_cbranch_vccnz .LBB122_289
; %bb.288:
	scratch_load_dwordx2 v[122:123], v19, off
	ds_read_b64 v[124:125], v1
	s_waitcnt vmcnt(0) lgkmcnt(0)
	v_mul_f64 v[122:123], v[122:123], v[124:125]
	s_cbranch_execz .LBB122_290
	s_branch .LBB122_291
.LBB122_289:
                                        ; implicit-def: $vgpr122_vgpr123
.LBB122_290:
	ds_read_b64 v[122:123], v1
.LBB122_291:
	s_and_saveexec_b64 s[8:9], s[0:1]
	s_cbranch_execz .LBB122_295
; %bb.292:
	v_subrev_u32_e32 v124, 29, v0
	s_movk_i32 s40, 0x2c8
	s_mov_b64 s[0:1], 0
.LBB122_293:                            ; =>This Inner Loop Header: Depth=1
	scratch_load_dwordx2 v[126:127], off, s39
	v_mov_b32_e32 v125, s40
	ds_read_b64 v[128:129], v125
	v_add_u32_e32 v124, -1, v124
	s_add_i32 s40, s40, 8
	s_add_i32 s39, s39, 8
	v_cmp_eq_u32_e32 vcc, 0, v124
	s_or_b64 s[0:1], vcc, s[0:1]
	s_waitcnt vmcnt(0) lgkmcnt(0)
	v_fmac_f64_e32 v[122:123], v[126:127], v[128:129]
	s_andn2_b64 exec, exec, s[0:1]
	s_cbranch_execnz .LBB122_293
; %bb.294:
	s_or_b64 exec, exec, s[0:1]
.LBB122_295:
	s_or_b64 exec, exec, s[8:9]
	v_mov_b32_e32 v124, 0
	ds_read_b64 v[124:125], v124 offset:224
	s_waitcnt lgkmcnt(0)
	v_mul_f64 v[122:123], v[122:123], v[124:125]
	scratch_store_dwordx2 off, v[122:123], off offset:224
.LBB122_296:
	s_or_b64 exec, exec, s[4:5]
	scratch_load_dwordx2 v[122:123], off, off offset:216
	v_cmp_lt_u32_e64 s[0:1], 27, v0
	s_waitcnt vmcnt(0)
	ds_write_b64 v1, v[122:123]
	s_waitcnt lgkmcnt(0)
	; wave barrier
	s_and_saveexec_b64 s[4:5], s[0:1]
	s_cbranch_execz .LBB122_306
; %bb.297:
	s_andn2_b64 vcc, exec, s[6:7]
	s_cbranch_vccnz .LBB122_299
; %bb.298:
	scratch_load_dwordx2 v[122:123], v19, off
	ds_read_b64 v[124:125], v1
	s_waitcnt vmcnt(0) lgkmcnt(0)
	v_mul_f64 v[122:123], v[122:123], v[124:125]
	s_cbranch_execz .LBB122_300
	s_branch .LBB122_301
.LBB122_299:
                                        ; implicit-def: $vgpr122_vgpr123
.LBB122_300:
	ds_read_b64 v[122:123], v1
.LBB122_301:
	s_and_saveexec_b64 s[8:9], s[2:3]
	s_cbranch_execz .LBB122_305
; %bb.302:
	v_subrev_u32_e32 v124, 28, v0
	s_movk_i32 s39, 0x2c0
	s_mov_b64 s[2:3], 0
.LBB122_303:                            ; =>This Inner Loop Header: Depth=1
	scratch_load_dwordx2 v[126:127], off, s38
	v_mov_b32_e32 v125, s39
	ds_read_b64 v[128:129], v125
	v_add_u32_e32 v124, -1, v124
	s_add_i32 s39, s39, 8
	s_add_i32 s38, s38, 8
	v_cmp_eq_u32_e32 vcc, 0, v124
	s_or_b64 s[2:3], vcc, s[2:3]
	s_waitcnt vmcnt(0) lgkmcnt(0)
	v_fmac_f64_e32 v[122:123], v[126:127], v[128:129]
	s_andn2_b64 exec, exec, s[2:3]
	s_cbranch_execnz .LBB122_303
; %bb.304:
	s_or_b64 exec, exec, s[2:3]
.LBB122_305:
	s_or_b64 exec, exec, s[8:9]
	v_mov_b32_e32 v124, 0
	ds_read_b64 v[124:125], v124 offset:216
	s_waitcnt lgkmcnt(0)
	v_mul_f64 v[122:123], v[122:123], v[124:125]
	scratch_store_dwordx2 off, v[122:123], off offset:216
.LBB122_306:
	s_or_b64 exec, exec, s[4:5]
	scratch_load_dwordx2 v[122:123], off, off offset:208
	v_cmp_lt_u32_e64 s[2:3], 26, v0
	s_waitcnt vmcnt(0)
	ds_write_b64 v1, v[122:123]
	s_waitcnt lgkmcnt(0)
	; wave barrier
	s_and_saveexec_b64 s[4:5], s[2:3]
	s_cbranch_execz .LBB122_316
; %bb.307:
	s_andn2_b64 vcc, exec, s[6:7]
	s_cbranch_vccnz .LBB122_309
; %bb.308:
	scratch_load_dwordx2 v[122:123], v19, off
	ds_read_b64 v[124:125], v1
	s_waitcnt vmcnt(0) lgkmcnt(0)
	v_mul_f64 v[122:123], v[122:123], v[124:125]
	s_cbranch_execz .LBB122_310
	s_branch .LBB122_311
.LBB122_309:
                                        ; implicit-def: $vgpr122_vgpr123
.LBB122_310:
	ds_read_b64 v[122:123], v1
.LBB122_311:
	s_and_saveexec_b64 s[8:9], s[0:1]
	s_cbranch_execz .LBB122_315
; %bb.312:
	v_subrev_u32_e32 v124, 27, v0
	s_movk_i32 s38, 0x2b8
	s_mov_b64 s[0:1], 0
.LBB122_313:                            ; =>This Inner Loop Header: Depth=1
	scratch_load_dwordx2 v[126:127], off, s37
	v_mov_b32_e32 v125, s38
	ds_read_b64 v[128:129], v125
	v_add_u32_e32 v124, -1, v124
	s_add_i32 s38, s38, 8
	s_add_i32 s37, s37, 8
	v_cmp_eq_u32_e32 vcc, 0, v124
	s_or_b64 s[0:1], vcc, s[0:1]
	s_waitcnt vmcnt(0) lgkmcnt(0)
	v_fmac_f64_e32 v[122:123], v[126:127], v[128:129]
	s_andn2_b64 exec, exec, s[0:1]
	s_cbranch_execnz .LBB122_313
; %bb.314:
	s_or_b64 exec, exec, s[0:1]
.LBB122_315:
	s_or_b64 exec, exec, s[8:9]
	v_mov_b32_e32 v124, 0
	ds_read_b64 v[124:125], v124 offset:208
	s_waitcnt lgkmcnt(0)
	v_mul_f64 v[122:123], v[122:123], v[124:125]
	scratch_store_dwordx2 off, v[122:123], off offset:208
.LBB122_316:
	s_or_b64 exec, exec, s[4:5]
	scratch_load_dwordx2 v[122:123], off, off offset:200
	v_cmp_lt_u32_e64 s[0:1], 25, v0
	s_waitcnt vmcnt(0)
	ds_write_b64 v1, v[122:123]
	s_waitcnt lgkmcnt(0)
	; wave barrier
	s_and_saveexec_b64 s[4:5], s[0:1]
	s_cbranch_execz .LBB122_326
; %bb.317:
	s_andn2_b64 vcc, exec, s[6:7]
	s_cbranch_vccnz .LBB122_319
; %bb.318:
	scratch_load_dwordx2 v[122:123], v19, off
	ds_read_b64 v[124:125], v1
	s_waitcnt vmcnt(0) lgkmcnt(0)
	v_mul_f64 v[122:123], v[122:123], v[124:125]
	s_cbranch_execz .LBB122_320
	s_branch .LBB122_321
.LBB122_319:
                                        ; implicit-def: $vgpr122_vgpr123
.LBB122_320:
	ds_read_b64 v[122:123], v1
.LBB122_321:
	s_and_saveexec_b64 s[8:9], s[2:3]
	s_cbranch_execz .LBB122_325
; %bb.322:
	v_subrev_u32_e32 v124, 26, v0
	s_movk_i32 s37, 0x2b0
	s_mov_b64 s[2:3], 0
.LBB122_323:                            ; =>This Inner Loop Header: Depth=1
	scratch_load_dwordx2 v[126:127], off, s36
	v_mov_b32_e32 v125, s37
	ds_read_b64 v[128:129], v125
	v_add_u32_e32 v124, -1, v124
	s_add_i32 s37, s37, 8
	s_add_i32 s36, s36, 8
	v_cmp_eq_u32_e32 vcc, 0, v124
	s_or_b64 s[2:3], vcc, s[2:3]
	s_waitcnt vmcnt(0) lgkmcnt(0)
	v_fmac_f64_e32 v[122:123], v[126:127], v[128:129]
	s_andn2_b64 exec, exec, s[2:3]
	s_cbranch_execnz .LBB122_323
; %bb.324:
	s_or_b64 exec, exec, s[2:3]
.LBB122_325:
	s_or_b64 exec, exec, s[8:9]
	v_mov_b32_e32 v124, 0
	ds_read_b64 v[124:125], v124 offset:200
	s_waitcnt lgkmcnt(0)
	v_mul_f64 v[122:123], v[122:123], v[124:125]
	scratch_store_dwordx2 off, v[122:123], off offset:200
.LBB122_326:
	s_or_b64 exec, exec, s[4:5]
	scratch_load_dwordx2 v[122:123], off, off offset:192
	v_cmp_lt_u32_e64 s[2:3], 24, v0
	s_waitcnt vmcnt(0)
	ds_write_b64 v1, v[122:123]
	s_waitcnt lgkmcnt(0)
	; wave barrier
	s_and_saveexec_b64 s[4:5], s[2:3]
	s_cbranch_execz .LBB122_336
; %bb.327:
	s_andn2_b64 vcc, exec, s[6:7]
	s_cbranch_vccnz .LBB122_329
; %bb.328:
	scratch_load_dwordx2 v[122:123], v19, off
	ds_read_b64 v[124:125], v1
	s_waitcnt vmcnt(0) lgkmcnt(0)
	v_mul_f64 v[122:123], v[122:123], v[124:125]
	s_cbranch_execz .LBB122_330
	s_branch .LBB122_331
.LBB122_329:
                                        ; implicit-def: $vgpr122_vgpr123
.LBB122_330:
	ds_read_b64 v[122:123], v1
.LBB122_331:
	s_and_saveexec_b64 s[8:9], s[0:1]
	s_cbranch_execz .LBB122_335
; %bb.332:
	v_subrev_u32_e32 v124, 25, v0
	s_movk_i32 s36, 0x2a8
	s_mov_b64 s[0:1], 0
.LBB122_333:                            ; =>This Inner Loop Header: Depth=1
	scratch_load_dwordx2 v[126:127], off, s35
	v_mov_b32_e32 v125, s36
	ds_read_b64 v[128:129], v125
	v_add_u32_e32 v124, -1, v124
	s_add_i32 s36, s36, 8
	s_add_i32 s35, s35, 8
	v_cmp_eq_u32_e32 vcc, 0, v124
	s_or_b64 s[0:1], vcc, s[0:1]
	s_waitcnt vmcnt(0) lgkmcnt(0)
	v_fmac_f64_e32 v[122:123], v[126:127], v[128:129]
	s_andn2_b64 exec, exec, s[0:1]
	s_cbranch_execnz .LBB122_333
; %bb.334:
	s_or_b64 exec, exec, s[0:1]
.LBB122_335:
	s_or_b64 exec, exec, s[8:9]
	v_mov_b32_e32 v124, 0
	ds_read_b64 v[124:125], v124 offset:192
	s_waitcnt lgkmcnt(0)
	v_mul_f64 v[122:123], v[122:123], v[124:125]
	scratch_store_dwordx2 off, v[122:123], off offset:192
.LBB122_336:
	s_or_b64 exec, exec, s[4:5]
	scratch_load_dwordx2 v[122:123], off, off offset:184
	v_cmp_lt_u32_e64 s[0:1], 23, v0
	s_waitcnt vmcnt(0)
	ds_write_b64 v1, v[122:123]
	s_waitcnt lgkmcnt(0)
	; wave barrier
	s_and_saveexec_b64 s[4:5], s[0:1]
	s_cbranch_execz .LBB122_346
; %bb.337:
	s_andn2_b64 vcc, exec, s[6:7]
	s_cbranch_vccnz .LBB122_339
; %bb.338:
	scratch_load_dwordx2 v[122:123], v19, off
	ds_read_b64 v[124:125], v1
	s_waitcnt vmcnt(0) lgkmcnt(0)
	v_mul_f64 v[122:123], v[122:123], v[124:125]
	s_cbranch_execz .LBB122_340
	s_branch .LBB122_341
.LBB122_339:
                                        ; implicit-def: $vgpr122_vgpr123
.LBB122_340:
	ds_read_b64 v[122:123], v1
.LBB122_341:
	s_and_saveexec_b64 s[8:9], s[2:3]
	s_cbranch_execz .LBB122_345
; %bb.342:
	v_subrev_u32_e32 v124, 24, v0
	s_movk_i32 s35, 0x2a0
	s_mov_b64 s[2:3], 0
.LBB122_343:                            ; =>This Inner Loop Header: Depth=1
	scratch_load_dwordx2 v[126:127], off, s34
	v_mov_b32_e32 v125, s35
	ds_read_b64 v[128:129], v125
	v_add_u32_e32 v124, -1, v124
	s_add_i32 s35, s35, 8
	s_add_i32 s34, s34, 8
	v_cmp_eq_u32_e32 vcc, 0, v124
	s_or_b64 s[2:3], vcc, s[2:3]
	s_waitcnt vmcnt(0) lgkmcnt(0)
	v_fmac_f64_e32 v[122:123], v[126:127], v[128:129]
	s_andn2_b64 exec, exec, s[2:3]
	s_cbranch_execnz .LBB122_343
; %bb.344:
	s_or_b64 exec, exec, s[2:3]
.LBB122_345:
	s_or_b64 exec, exec, s[8:9]
	v_mov_b32_e32 v124, 0
	ds_read_b64 v[124:125], v124 offset:184
	s_waitcnt lgkmcnt(0)
	v_mul_f64 v[122:123], v[122:123], v[124:125]
	scratch_store_dwordx2 off, v[122:123], off offset:184
.LBB122_346:
	s_or_b64 exec, exec, s[4:5]
	scratch_load_dwordx2 v[122:123], off, off offset:176
	v_cmp_lt_u32_e64 s[2:3], 22, v0
	s_waitcnt vmcnt(0)
	ds_write_b64 v1, v[122:123]
	s_waitcnt lgkmcnt(0)
	; wave barrier
	s_and_saveexec_b64 s[4:5], s[2:3]
	s_cbranch_execz .LBB122_356
; %bb.347:
	s_andn2_b64 vcc, exec, s[6:7]
	s_cbranch_vccnz .LBB122_349
; %bb.348:
	scratch_load_dwordx2 v[122:123], v19, off
	ds_read_b64 v[124:125], v1
	s_waitcnt vmcnt(0) lgkmcnt(0)
	v_mul_f64 v[122:123], v[122:123], v[124:125]
	s_cbranch_execz .LBB122_350
	s_branch .LBB122_351
.LBB122_349:
                                        ; implicit-def: $vgpr122_vgpr123
.LBB122_350:
	ds_read_b64 v[122:123], v1
.LBB122_351:
	s_and_saveexec_b64 s[8:9], s[0:1]
	s_cbranch_execz .LBB122_355
; %bb.352:
	v_subrev_u32_e32 v124, 23, v0
	s_movk_i32 s34, 0x298
	s_mov_b64 s[0:1], 0
.LBB122_353:                            ; =>This Inner Loop Header: Depth=1
	scratch_load_dwordx2 v[126:127], off, s33
	v_mov_b32_e32 v125, s34
	ds_read_b64 v[128:129], v125
	v_add_u32_e32 v124, -1, v124
	s_add_i32 s34, s34, 8
	s_add_i32 s33, s33, 8
	v_cmp_eq_u32_e32 vcc, 0, v124
	s_or_b64 s[0:1], vcc, s[0:1]
	s_waitcnt vmcnt(0) lgkmcnt(0)
	v_fmac_f64_e32 v[122:123], v[126:127], v[128:129]
	s_andn2_b64 exec, exec, s[0:1]
	s_cbranch_execnz .LBB122_353
; %bb.354:
	s_or_b64 exec, exec, s[0:1]
.LBB122_355:
	s_or_b64 exec, exec, s[8:9]
	v_mov_b32_e32 v124, 0
	ds_read_b64 v[124:125], v124 offset:176
	s_waitcnt lgkmcnt(0)
	v_mul_f64 v[122:123], v[122:123], v[124:125]
	scratch_store_dwordx2 off, v[122:123], off offset:176
.LBB122_356:
	s_or_b64 exec, exec, s[4:5]
	scratch_load_dwordx2 v[122:123], off, off offset:168
	v_cmp_lt_u32_e64 s[0:1], 21, v0
	s_waitcnt vmcnt(0)
	ds_write_b64 v1, v[122:123]
	s_waitcnt lgkmcnt(0)
	; wave barrier
	s_and_saveexec_b64 s[4:5], s[0:1]
	s_cbranch_execz .LBB122_366
; %bb.357:
	s_andn2_b64 vcc, exec, s[6:7]
	s_cbranch_vccnz .LBB122_359
; %bb.358:
	scratch_load_dwordx2 v[122:123], v19, off
	ds_read_b64 v[124:125], v1
	s_waitcnt vmcnt(0) lgkmcnt(0)
	v_mul_f64 v[122:123], v[122:123], v[124:125]
	s_cbranch_execz .LBB122_360
	s_branch .LBB122_361
.LBB122_359:
                                        ; implicit-def: $vgpr122_vgpr123
.LBB122_360:
	ds_read_b64 v[122:123], v1
.LBB122_361:
	s_and_saveexec_b64 s[8:9], s[2:3]
	s_cbranch_execz .LBB122_365
; %bb.362:
	v_subrev_u32_e32 v124, 22, v0
	s_movk_i32 s33, 0x290
	s_mov_b64 s[2:3], 0
.LBB122_363:                            ; =>This Inner Loop Header: Depth=1
	scratch_load_dwordx2 v[126:127], off, s31
	v_mov_b32_e32 v125, s33
	ds_read_b64 v[128:129], v125
	v_add_u32_e32 v124, -1, v124
	s_add_i32 s33, s33, 8
	s_add_i32 s31, s31, 8
	v_cmp_eq_u32_e32 vcc, 0, v124
	s_or_b64 s[2:3], vcc, s[2:3]
	s_waitcnt vmcnt(0) lgkmcnt(0)
	v_fmac_f64_e32 v[122:123], v[126:127], v[128:129]
	s_andn2_b64 exec, exec, s[2:3]
	s_cbranch_execnz .LBB122_363
; %bb.364:
	s_or_b64 exec, exec, s[2:3]
.LBB122_365:
	s_or_b64 exec, exec, s[8:9]
	v_mov_b32_e32 v124, 0
	ds_read_b64 v[124:125], v124 offset:168
	s_waitcnt lgkmcnt(0)
	v_mul_f64 v[122:123], v[122:123], v[124:125]
	scratch_store_dwordx2 off, v[122:123], off offset:168
.LBB122_366:
	s_or_b64 exec, exec, s[4:5]
	scratch_load_dwordx2 v[122:123], off, off offset:160
	v_cmp_lt_u32_e64 s[2:3], 20, v0
	s_waitcnt vmcnt(0)
	ds_write_b64 v1, v[122:123]
	s_waitcnt lgkmcnt(0)
	; wave barrier
	s_and_saveexec_b64 s[4:5], s[2:3]
	s_cbranch_execz .LBB122_376
; %bb.367:
	s_andn2_b64 vcc, exec, s[6:7]
	s_cbranch_vccnz .LBB122_369
; %bb.368:
	scratch_load_dwordx2 v[122:123], v19, off
	ds_read_b64 v[124:125], v1
	s_waitcnt vmcnt(0) lgkmcnt(0)
	v_mul_f64 v[122:123], v[122:123], v[124:125]
	s_cbranch_execz .LBB122_370
	s_branch .LBB122_371
.LBB122_369:
                                        ; implicit-def: $vgpr122_vgpr123
.LBB122_370:
	ds_read_b64 v[122:123], v1
.LBB122_371:
	s_and_saveexec_b64 s[8:9], s[0:1]
	s_cbranch_execz .LBB122_375
; %bb.372:
	v_subrev_u32_e32 v124, 21, v0
	s_movk_i32 s31, 0x288
	s_mov_b64 s[0:1], 0
.LBB122_373:                            ; =>This Inner Loop Header: Depth=1
	scratch_load_dwordx2 v[126:127], off, s30
	v_mov_b32_e32 v125, s31
	ds_read_b64 v[128:129], v125
	v_add_u32_e32 v124, -1, v124
	s_add_i32 s31, s31, 8
	s_add_i32 s30, s30, 8
	v_cmp_eq_u32_e32 vcc, 0, v124
	s_or_b64 s[0:1], vcc, s[0:1]
	s_waitcnt vmcnt(0) lgkmcnt(0)
	v_fmac_f64_e32 v[122:123], v[126:127], v[128:129]
	s_andn2_b64 exec, exec, s[0:1]
	s_cbranch_execnz .LBB122_373
; %bb.374:
	s_or_b64 exec, exec, s[0:1]
.LBB122_375:
	s_or_b64 exec, exec, s[8:9]
	v_mov_b32_e32 v124, 0
	ds_read_b64 v[124:125], v124 offset:160
	s_waitcnt lgkmcnt(0)
	v_mul_f64 v[122:123], v[122:123], v[124:125]
	scratch_store_dwordx2 off, v[122:123], off offset:160
.LBB122_376:
	s_or_b64 exec, exec, s[4:5]
	scratch_load_dwordx2 v[122:123], off, off offset:152
	v_cmp_lt_u32_e64 s[0:1], 19, v0
	s_waitcnt vmcnt(0)
	ds_write_b64 v1, v[122:123]
	s_waitcnt lgkmcnt(0)
	; wave barrier
	s_and_saveexec_b64 s[4:5], s[0:1]
	s_cbranch_execz .LBB122_386
; %bb.377:
	s_andn2_b64 vcc, exec, s[6:7]
	s_cbranch_vccnz .LBB122_379
; %bb.378:
	scratch_load_dwordx2 v[122:123], v19, off
	ds_read_b64 v[124:125], v1
	s_waitcnt vmcnt(0) lgkmcnt(0)
	v_mul_f64 v[122:123], v[122:123], v[124:125]
	s_cbranch_execz .LBB122_380
	s_branch .LBB122_381
.LBB122_379:
                                        ; implicit-def: $vgpr122_vgpr123
.LBB122_380:
	ds_read_b64 v[122:123], v1
.LBB122_381:
	s_and_saveexec_b64 s[8:9], s[2:3]
	s_cbranch_execz .LBB122_385
; %bb.382:
	v_subrev_u32_e32 v124, 20, v0
	s_movk_i32 s30, 0x280
	s_mov_b64 s[2:3], 0
.LBB122_383:                            ; =>This Inner Loop Header: Depth=1
	scratch_load_dwordx2 v[126:127], off, s29
	v_mov_b32_e32 v125, s30
	ds_read_b64 v[128:129], v125
	v_add_u32_e32 v124, -1, v124
	s_add_i32 s30, s30, 8
	s_add_i32 s29, s29, 8
	v_cmp_eq_u32_e32 vcc, 0, v124
	s_or_b64 s[2:3], vcc, s[2:3]
	s_waitcnt vmcnt(0) lgkmcnt(0)
	v_fmac_f64_e32 v[122:123], v[126:127], v[128:129]
	s_andn2_b64 exec, exec, s[2:3]
	s_cbranch_execnz .LBB122_383
; %bb.384:
	s_or_b64 exec, exec, s[2:3]
.LBB122_385:
	s_or_b64 exec, exec, s[8:9]
	v_mov_b32_e32 v124, 0
	ds_read_b64 v[124:125], v124 offset:152
	s_waitcnt lgkmcnt(0)
	v_mul_f64 v[122:123], v[122:123], v[124:125]
	scratch_store_dwordx2 off, v[122:123], off offset:152
.LBB122_386:
	s_or_b64 exec, exec, s[4:5]
	scratch_load_dwordx2 v[122:123], off, off offset:144
	v_cmp_lt_u32_e64 s[2:3], 18, v0
	s_waitcnt vmcnt(0)
	ds_write_b64 v1, v[122:123]
	s_waitcnt lgkmcnt(0)
	; wave barrier
	s_and_saveexec_b64 s[4:5], s[2:3]
	s_cbranch_execz .LBB122_396
; %bb.387:
	s_andn2_b64 vcc, exec, s[6:7]
	s_cbranch_vccnz .LBB122_389
; %bb.388:
	scratch_load_dwordx2 v[122:123], v19, off
	ds_read_b64 v[124:125], v1
	s_waitcnt vmcnt(0) lgkmcnt(0)
	v_mul_f64 v[122:123], v[122:123], v[124:125]
	s_cbranch_execz .LBB122_390
	s_branch .LBB122_391
.LBB122_389:
                                        ; implicit-def: $vgpr122_vgpr123
.LBB122_390:
	ds_read_b64 v[122:123], v1
.LBB122_391:
	s_and_saveexec_b64 s[8:9], s[0:1]
	s_cbranch_execz .LBB122_395
; %bb.392:
	v_subrev_u32_e32 v124, 19, v0
	s_movk_i32 s29, 0x278
	s_mov_b64 s[0:1], 0
.LBB122_393:                            ; =>This Inner Loop Header: Depth=1
	scratch_load_dwordx2 v[126:127], off, s28
	v_mov_b32_e32 v125, s29
	ds_read_b64 v[128:129], v125
	v_add_u32_e32 v124, -1, v124
	s_add_i32 s29, s29, 8
	s_add_i32 s28, s28, 8
	v_cmp_eq_u32_e32 vcc, 0, v124
	s_or_b64 s[0:1], vcc, s[0:1]
	s_waitcnt vmcnt(0) lgkmcnt(0)
	v_fmac_f64_e32 v[122:123], v[126:127], v[128:129]
	s_andn2_b64 exec, exec, s[0:1]
	s_cbranch_execnz .LBB122_393
; %bb.394:
	s_or_b64 exec, exec, s[0:1]
.LBB122_395:
	s_or_b64 exec, exec, s[8:9]
	v_mov_b32_e32 v124, 0
	ds_read_b64 v[124:125], v124 offset:144
	s_waitcnt lgkmcnt(0)
	v_mul_f64 v[122:123], v[122:123], v[124:125]
	scratch_store_dwordx2 off, v[122:123], off offset:144
.LBB122_396:
	s_or_b64 exec, exec, s[4:5]
	scratch_load_dwordx2 v[122:123], off, off offset:136
	v_cmp_lt_u32_e64 s[0:1], 17, v0
	s_waitcnt vmcnt(0)
	ds_write_b64 v1, v[122:123]
	s_waitcnt lgkmcnt(0)
	; wave barrier
	s_and_saveexec_b64 s[4:5], s[0:1]
	s_cbranch_execz .LBB122_406
; %bb.397:
	s_andn2_b64 vcc, exec, s[6:7]
	s_cbranch_vccnz .LBB122_399
; %bb.398:
	scratch_load_dwordx2 v[122:123], v19, off
	ds_read_b64 v[124:125], v1
	s_waitcnt vmcnt(0) lgkmcnt(0)
	v_mul_f64 v[122:123], v[122:123], v[124:125]
	s_cbranch_execz .LBB122_400
	s_branch .LBB122_401
.LBB122_399:
                                        ; implicit-def: $vgpr122_vgpr123
.LBB122_400:
	ds_read_b64 v[122:123], v1
.LBB122_401:
	s_and_saveexec_b64 s[8:9], s[2:3]
	s_cbranch_execz .LBB122_405
; %bb.402:
	v_subrev_u32_e32 v124, 18, v0
	s_movk_i32 s28, 0x270
	s_mov_b64 s[2:3], 0
.LBB122_403:                            ; =>This Inner Loop Header: Depth=1
	scratch_load_dwordx2 v[126:127], off, s27
	v_mov_b32_e32 v125, s28
	ds_read_b64 v[128:129], v125
	v_add_u32_e32 v124, -1, v124
	s_add_i32 s28, s28, 8
	s_add_i32 s27, s27, 8
	v_cmp_eq_u32_e32 vcc, 0, v124
	s_or_b64 s[2:3], vcc, s[2:3]
	s_waitcnt vmcnt(0) lgkmcnt(0)
	v_fmac_f64_e32 v[122:123], v[126:127], v[128:129]
	s_andn2_b64 exec, exec, s[2:3]
	s_cbranch_execnz .LBB122_403
; %bb.404:
	s_or_b64 exec, exec, s[2:3]
.LBB122_405:
	s_or_b64 exec, exec, s[8:9]
	v_mov_b32_e32 v124, 0
	ds_read_b64 v[124:125], v124 offset:136
	s_waitcnt lgkmcnt(0)
	v_mul_f64 v[122:123], v[122:123], v[124:125]
	scratch_store_dwordx2 off, v[122:123], off offset:136
.LBB122_406:
	s_or_b64 exec, exec, s[4:5]
	scratch_load_dwordx2 v[122:123], off, off offset:128
	v_cmp_lt_u32_e64 s[2:3], 16, v0
	s_waitcnt vmcnt(0)
	ds_write_b64 v1, v[122:123]
	s_waitcnt lgkmcnt(0)
	; wave barrier
	s_and_saveexec_b64 s[4:5], s[2:3]
	s_cbranch_execz .LBB122_416
; %bb.407:
	s_andn2_b64 vcc, exec, s[6:7]
	s_cbranch_vccnz .LBB122_409
; %bb.408:
	scratch_load_dwordx2 v[122:123], v19, off
	ds_read_b64 v[124:125], v1
	s_waitcnt vmcnt(0) lgkmcnt(0)
	v_mul_f64 v[122:123], v[122:123], v[124:125]
	s_cbranch_execz .LBB122_410
	s_branch .LBB122_411
.LBB122_409:
                                        ; implicit-def: $vgpr122_vgpr123
.LBB122_410:
	ds_read_b64 v[122:123], v1
.LBB122_411:
	s_and_saveexec_b64 s[8:9], s[0:1]
	s_cbranch_execz .LBB122_415
; %bb.412:
	v_subrev_u32_e32 v124, 17, v0
	s_movk_i32 s27, 0x268
	s_mov_b64 s[0:1], 0
.LBB122_413:                            ; =>This Inner Loop Header: Depth=1
	scratch_load_dwordx2 v[126:127], off, s26
	v_mov_b32_e32 v125, s27
	ds_read_b64 v[128:129], v125
	v_add_u32_e32 v124, -1, v124
	s_add_i32 s27, s27, 8
	s_add_i32 s26, s26, 8
	v_cmp_eq_u32_e32 vcc, 0, v124
	s_or_b64 s[0:1], vcc, s[0:1]
	s_waitcnt vmcnt(0) lgkmcnt(0)
	v_fmac_f64_e32 v[122:123], v[126:127], v[128:129]
	s_andn2_b64 exec, exec, s[0:1]
	s_cbranch_execnz .LBB122_413
; %bb.414:
	s_or_b64 exec, exec, s[0:1]
.LBB122_415:
	s_or_b64 exec, exec, s[8:9]
	v_mov_b32_e32 v124, 0
	ds_read_b64 v[124:125], v124 offset:128
	s_waitcnt lgkmcnt(0)
	v_mul_f64 v[122:123], v[122:123], v[124:125]
	scratch_store_dwordx2 off, v[122:123], off offset:128
.LBB122_416:
	s_or_b64 exec, exec, s[4:5]
	scratch_load_dwordx2 v[122:123], off, off offset:120
	v_cmp_lt_u32_e64 s[0:1], 15, v0
	s_waitcnt vmcnt(0)
	ds_write_b64 v1, v[122:123]
	s_waitcnt lgkmcnt(0)
	; wave barrier
	s_and_saveexec_b64 s[4:5], s[0:1]
	s_cbranch_execz .LBB122_426
; %bb.417:
	s_andn2_b64 vcc, exec, s[6:7]
	s_cbranch_vccnz .LBB122_419
; %bb.418:
	scratch_load_dwordx2 v[122:123], v19, off
	ds_read_b64 v[124:125], v1
	s_waitcnt vmcnt(0) lgkmcnt(0)
	v_mul_f64 v[122:123], v[122:123], v[124:125]
	s_cbranch_execz .LBB122_420
	s_branch .LBB122_421
.LBB122_419:
                                        ; implicit-def: $vgpr122_vgpr123
.LBB122_420:
	ds_read_b64 v[122:123], v1
.LBB122_421:
	s_and_saveexec_b64 s[8:9], s[2:3]
	s_cbranch_execz .LBB122_425
; %bb.422:
	v_add_u32_e32 v124, -16, v0
	s_movk_i32 s26, 0x260
	s_mov_b64 s[2:3], 0
.LBB122_423:                            ; =>This Inner Loop Header: Depth=1
	scratch_load_dwordx2 v[126:127], off, s25
	v_mov_b32_e32 v125, s26
	ds_read_b64 v[128:129], v125
	v_add_u32_e32 v124, -1, v124
	s_add_i32 s26, s26, 8
	s_add_i32 s25, s25, 8
	v_cmp_eq_u32_e32 vcc, 0, v124
	s_or_b64 s[2:3], vcc, s[2:3]
	s_waitcnt vmcnt(0) lgkmcnt(0)
	v_fmac_f64_e32 v[122:123], v[126:127], v[128:129]
	s_andn2_b64 exec, exec, s[2:3]
	s_cbranch_execnz .LBB122_423
; %bb.424:
	s_or_b64 exec, exec, s[2:3]
.LBB122_425:
	s_or_b64 exec, exec, s[8:9]
	v_mov_b32_e32 v124, 0
	ds_read_b64 v[124:125], v124 offset:120
	s_waitcnt lgkmcnt(0)
	v_mul_f64 v[122:123], v[122:123], v[124:125]
	scratch_store_dwordx2 off, v[122:123], off offset:120
.LBB122_426:
	s_or_b64 exec, exec, s[4:5]
	scratch_load_dwordx2 v[122:123], off, off offset:112
	v_cmp_lt_u32_e64 s[2:3], 14, v0
	s_waitcnt vmcnt(0)
	ds_write_b64 v1, v[122:123]
	s_waitcnt lgkmcnt(0)
	; wave barrier
	s_and_saveexec_b64 s[4:5], s[2:3]
	s_cbranch_execz .LBB122_436
; %bb.427:
	s_andn2_b64 vcc, exec, s[6:7]
	s_cbranch_vccnz .LBB122_429
; %bb.428:
	scratch_load_dwordx2 v[122:123], v19, off
	ds_read_b64 v[124:125], v1
	s_waitcnt vmcnt(0) lgkmcnt(0)
	v_mul_f64 v[122:123], v[122:123], v[124:125]
	s_cbranch_execz .LBB122_430
	s_branch .LBB122_431
.LBB122_429:
                                        ; implicit-def: $vgpr122_vgpr123
.LBB122_430:
	ds_read_b64 v[122:123], v1
.LBB122_431:
	s_and_saveexec_b64 s[8:9], s[0:1]
	s_cbranch_execz .LBB122_435
; %bb.432:
	v_add_u32_e32 v124, -15, v0
	s_movk_i32 s25, 0x258
	s_mov_b64 s[0:1], 0
.LBB122_433:                            ; =>This Inner Loop Header: Depth=1
	scratch_load_dwordx2 v[126:127], off, s24
	v_mov_b32_e32 v125, s25
	ds_read_b64 v[128:129], v125
	v_add_u32_e32 v124, -1, v124
	s_add_i32 s25, s25, 8
	s_add_i32 s24, s24, 8
	v_cmp_eq_u32_e32 vcc, 0, v124
	s_or_b64 s[0:1], vcc, s[0:1]
	s_waitcnt vmcnt(0) lgkmcnt(0)
	v_fmac_f64_e32 v[122:123], v[126:127], v[128:129]
	s_andn2_b64 exec, exec, s[0:1]
	s_cbranch_execnz .LBB122_433
; %bb.434:
	s_or_b64 exec, exec, s[0:1]
.LBB122_435:
	s_or_b64 exec, exec, s[8:9]
	v_mov_b32_e32 v124, 0
	ds_read_b64 v[124:125], v124 offset:112
	s_waitcnt lgkmcnt(0)
	v_mul_f64 v[122:123], v[122:123], v[124:125]
	scratch_store_dwordx2 off, v[122:123], off offset:112
.LBB122_436:
	;; [unrolled: 53-line block ×15, first 2 shown]
	s_or_b64 exec, exec, s[4:5]
	scratch_load_dwordx2 v[122:123], off, off
	v_cmp_ne_u32_e32 vcc, 0, v0
	s_waitcnt vmcnt(0)
	ds_write_b64 v1, v[122:123]
	s_waitcnt lgkmcnt(0)
	; wave barrier
	s_and_saveexec_b64 s[2:3], vcc
	s_cbranch_execz .LBB122_576
; %bb.567:
	s_andn2_b64 vcc, exec, s[6:7]
	s_cbranch_vccnz .LBB122_569
; %bb.568:
	scratch_load_dwordx2 v[122:123], v19, off
	ds_read_b64 v[124:125], v1
	s_waitcnt vmcnt(0) lgkmcnt(0)
	v_mul_f64 v[122:123], v[122:123], v[124:125]
	s_cbranch_execz .LBB122_570
	s_branch .LBB122_571
.LBB122_569:
                                        ; implicit-def: $vgpr122_vgpr123
.LBB122_570:
	ds_read_b64 v[122:123], v1
.LBB122_571:
	s_and_saveexec_b64 s[4:5], s[0:1]
	s_cbranch_execz .LBB122_575
; %bb.572:
	v_add_u32_e32 v124, -1, v0
	s_movk_i32 s8, 0x1e8
	s_mov_b64 s[0:1], 0
.LBB122_573:                            ; =>This Inner Loop Header: Depth=1
	scratch_load_dwordx2 v[126:127], off, s10
	v_mov_b32_e32 v125, s8
	ds_read_b64 v[128:129], v125
	v_add_u32_e32 v124, -1, v124
	s_add_i32 s8, s8, 8
	s_add_i32 s10, s10, 8
	v_cmp_eq_u32_e32 vcc, 0, v124
	s_or_b64 s[0:1], vcc, s[0:1]
	s_waitcnt vmcnt(0) lgkmcnt(0)
	v_fmac_f64_e32 v[122:123], v[126:127], v[128:129]
	s_andn2_b64 exec, exec, s[0:1]
	s_cbranch_execnz .LBB122_573
; %bb.574:
	s_or_b64 exec, exec, s[0:1]
.LBB122_575:
	s_or_b64 exec, exec, s[4:5]
	v_mov_b32_e32 v124, 0
	ds_read_b64 v[124:125], v124
	s_waitcnt lgkmcnt(0)
	v_mul_f64 v[122:123], v[122:123], v[124:125]
	scratch_store_dwordx2 off, v[122:123], off
.LBB122_576:
	s_or_b64 exec, exec, s[2:3]
	s_mov_b64 s[0:1], 0
.LBB122_577:
	s_and_b64 vcc, exec, s[0:1]
	s_cbranch_vccz .LBB122_1149
; %bb.578:
	scratch_load_dwordx2 v[122:123], off, off offset:8
	v_cmp_eq_u32_e64 s[2:3], 0, v0
	s_waitcnt vmcnt(0)
	ds_write_b64 v1, v[122:123]
	s_waitcnt lgkmcnt(0)
	; wave barrier
	s_and_saveexec_b64 s[0:1], s[2:3]
	s_cbranch_execz .LBB122_584
; %bb.579:
	s_and_b64 vcc, exec, s[6:7]
	s_cbranch_vccz .LBB122_581
; %bb.580:
	scratch_load_dwordx2 v[122:123], v19, off
	ds_read_b64 v[124:125], v1
	s_waitcnt vmcnt(0) lgkmcnt(0)
	v_mul_f64 v[122:123], v[122:123], v[124:125]
	s_cbranch_execz .LBB122_582
	s_branch .LBB122_583
.LBB122_581:
                                        ; implicit-def: $vgpr122_vgpr123
.LBB122_582:
	ds_read_b64 v[122:123], v1
.LBB122_583:
	v_mov_b32_e32 v124, 0
	ds_read_b64 v[124:125], v124 offset:8
	s_waitcnt lgkmcnt(0)
	v_mul_f64 v[122:123], v[122:123], v[124:125]
	scratch_store_dwordx2 off, v[122:123], off offset:8
.LBB122_584:
	s_or_b64 exec, exec, s[0:1]
	scratch_load_dwordx2 v[122:123], off, off offset:16
	v_cndmask_b32_e64 v124, 0, 1, s[6:7]
	v_cmp_gt_u32_e32 vcc, 2, v0
	v_cmp_ne_u32_e64 s[0:1], 1, v124
	s_waitcnt vmcnt(0)
	ds_write_b64 v1, v[122:123]
	s_waitcnt lgkmcnt(0)
	; wave barrier
	s_and_saveexec_b64 s[4:5], vcc
	s_cbranch_execz .LBB122_590
; %bb.585:
	s_and_b64 vcc, exec, s[0:1]
	s_cbranch_vccnz .LBB122_587
; %bb.586:
	scratch_load_dwordx2 v[122:123], v19, off
	ds_read_b64 v[124:125], v1
	s_waitcnt vmcnt(0) lgkmcnt(0)
	v_mul_f64 v[122:123], v[122:123], v[124:125]
	s_cbranch_execz .LBB122_588
	s_branch .LBB122_589
.LBB122_587:
                                        ; implicit-def: $vgpr122_vgpr123
.LBB122_588:
	ds_read_b64 v[122:123], v1
.LBB122_589:
	scratch_load_dwordx2 v[128:129], off, off offset:8
	v_mov_b32_e32 v124, 0
	ds_read2_b64 v[124:127], v124 offset0:2 offset1:61
	s_waitcnt vmcnt(0) lgkmcnt(0)
	v_fma_f64 v[126:127], v[128:129], v[126:127], v[122:123]
	v_cndmask_b32_e64 v123, v123, v127, s[2:3]
	v_cndmask_b32_e64 v122, v122, v126, s[2:3]
	v_mul_f64 v[122:123], v[122:123], v[124:125]
	scratch_store_dwordx2 off, v[122:123], off offset:16
.LBB122_590:
	s_or_b64 exec, exec, s[4:5]
	scratch_load_dwordx2 v[122:123], off, off offset:24
	v_cmp_gt_u32_e32 vcc, 3, v0
	s_waitcnt vmcnt(0)
	ds_write_b64 v1, v[122:123]
	s_waitcnt lgkmcnt(0)
	; wave barrier
	s_and_saveexec_b64 s[4:5], vcc
	s_cbranch_execz .LBB122_598
; %bb.591:
	s_and_b64 vcc, exec, s[0:1]
	s_cbranch_vccnz .LBB122_593
; %bb.592:
	scratch_load_dwordx2 v[122:123], v19, off
	ds_read_b64 v[124:125], v1
	s_waitcnt vmcnt(0) lgkmcnt(0)
	v_mul_f64 v[122:123], v[122:123], v[124:125]
	s_cbranch_execz .LBB122_594
	s_branch .LBB122_595
.LBB122_593:
                                        ; implicit-def: $vgpr122_vgpr123
.LBB122_594:
	ds_read_b64 v[122:123], v1
.LBB122_595:
	v_cmp_ne_u32_e32 vcc, 2, v0
	s_and_saveexec_b64 s[6:7], vcc
	s_cbranch_execz .LBB122_597
; %bb.596:
	scratch_load_dwordx2 v[124:125], v19, off offset:8
	scratch_load_dwordx2 v[126:127], off, off offset:16
	ds_read_b64 v[128:129], v1 offset:8
	v_mov_b32_e32 v130, 0
	ds_read_b64 v[130:131], v130 offset:496
	s_waitcnt vmcnt(1) lgkmcnt(1)
	v_fmac_f64_e32 v[122:123], v[124:125], v[128:129]
	s_waitcnt vmcnt(0) lgkmcnt(0)
	v_fma_f64 v[124:125], v[126:127], v[130:131], v[122:123]
	v_cndmask_b32_e64 v123, v123, v125, s[2:3]
	v_cndmask_b32_e64 v122, v122, v124, s[2:3]
.LBB122_597:
	s_or_b64 exec, exec, s[6:7]
	v_mov_b32_e32 v124, 0
	ds_read_b64 v[124:125], v124 offset:24
	s_waitcnt lgkmcnt(0)
	v_mul_f64 v[122:123], v[122:123], v[124:125]
	scratch_store_dwordx2 off, v[122:123], off offset:24
.LBB122_598:
	s_or_b64 exec, exec, s[4:5]
	scratch_load_dwordx2 v[122:123], off, off offset:32
	v_cmp_gt_u32_e32 vcc, 4, v0
	s_waitcnt vmcnt(0)
	ds_write_b64 v1, v[122:123]
	s_waitcnt lgkmcnt(0)
	; wave barrier
	s_and_saveexec_b64 s[2:3], vcc
	s_cbranch_execz .LBB122_608
; %bb.599:
	s_and_b64 vcc, exec, s[0:1]
	s_cbranch_vccnz .LBB122_601
; %bb.600:
	scratch_load_dwordx2 v[122:123], v19, off
	ds_read_b64 v[124:125], v1
	s_waitcnt vmcnt(0) lgkmcnt(0)
	v_mul_f64 v[122:123], v[122:123], v[124:125]
	s_cbranch_execz .LBB122_602
	s_branch .LBB122_603
.LBB122_601:
                                        ; implicit-def: $vgpr122_vgpr123
.LBB122_602:
	ds_read_b64 v[122:123], v1
.LBB122_603:
	v_cmp_ne_u32_e32 vcc, 3, v0
	s_and_saveexec_b64 s[4:5], vcc
	s_cbranch_execz .LBB122_607
; %bb.604:
	s_mov_b32 s6, 0
	v_add_u32_e32 v124, 0x1e8, v18
	v_add3_u32 v125, v18, s6, 8
	s_mov_b64 s[6:7], 0
	v_mov_b32_e32 v126, v0
.LBB122_605:                            ; =>This Inner Loop Header: Depth=1
	scratch_load_dwordx2 v[128:129], v125, off
	ds_read_b64 v[130:131], v124
	v_add_u32_e32 v126, 1, v126
	v_cmp_lt_u32_e32 vcc, 2, v126
	v_add_u32_e32 v124, 8, v124
	v_add_u32_e32 v125, 8, v125
	s_or_b64 s[6:7], vcc, s[6:7]
	s_waitcnt vmcnt(0) lgkmcnt(0)
	v_fmac_f64_e32 v[122:123], v[128:129], v[130:131]
	s_andn2_b64 exec, exec, s[6:7]
	s_cbranch_execnz .LBB122_605
; %bb.606:
	s_or_b64 exec, exec, s[6:7]
.LBB122_607:
	s_or_b64 exec, exec, s[4:5]
	v_mov_b32_e32 v124, 0
	ds_read_b64 v[124:125], v124 offset:32
	s_waitcnt lgkmcnt(0)
	v_mul_f64 v[122:123], v[122:123], v[124:125]
	scratch_store_dwordx2 off, v[122:123], off offset:32
.LBB122_608:
	s_or_b64 exec, exec, s[2:3]
	scratch_load_dwordx2 v[122:123], off, off offset:40
	v_cmp_gt_u32_e32 vcc, 5, v0
	s_waitcnt vmcnt(0)
	ds_write_b64 v1, v[122:123]
	s_waitcnt lgkmcnt(0)
	; wave barrier
	s_and_saveexec_b64 s[2:3], vcc
	s_cbranch_execz .LBB122_618
; %bb.609:
	s_and_b64 vcc, exec, s[0:1]
	s_cbranch_vccnz .LBB122_611
; %bb.610:
	scratch_load_dwordx2 v[122:123], v19, off
	ds_read_b64 v[124:125], v1
	s_waitcnt vmcnt(0) lgkmcnt(0)
	v_mul_f64 v[122:123], v[122:123], v[124:125]
	s_cbranch_execz .LBB122_612
	s_branch .LBB122_613
.LBB122_611:
                                        ; implicit-def: $vgpr122_vgpr123
.LBB122_612:
	ds_read_b64 v[122:123], v1
.LBB122_613:
	v_cmp_ne_u32_e32 vcc, 4, v0
	s_and_saveexec_b64 s[4:5], vcc
	s_cbranch_execz .LBB122_617
; %bb.614:
	s_mov_b32 s6, 0
	v_add_u32_e32 v124, 0x1e8, v18
	v_add3_u32 v125, v18, s6, 8
	s_mov_b64 s[6:7], 0
	v_mov_b32_e32 v126, v0
.LBB122_615:                            ; =>This Inner Loop Header: Depth=1
	scratch_load_dwordx2 v[128:129], v125, off
	ds_read_b64 v[130:131], v124
	v_add_u32_e32 v126, 1, v126
	v_cmp_lt_u32_e32 vcc, 3, v126
	v_add_u32_e32 v124, 8, v124
	v_add_u32_e32 v125, 8, v125
	s_or_b64 s[6:7], vcc, s[6:7]
	s_waitcnt vmcnt(0) lgkmcnt(0)
	v_fmac_f64_e32 v[122:123], v[128:129], v[130:131]
	s_andn2_b64 exec, exec, s[6:7]
	s_cbranch_execnz .LBB122_615
; %bb.616:
	s_or_b64 exec, exec, s[6:7]
.LBB122_617:
	s_or_b64 exec, exec, s[4:5]
	v_mov_b32_e32 v124, 0
	ds_read_b64 v[124:125], v124 offset:40
	s_waitcnt lgkmcnt(0)
	v_mul_f64 v[122:123], v[122:123], v[124:125]
	scratch_store_dwordx2 off, v[122:123], off offset:40
.LBB122_618:
	;; [unrolled: 55-line block ×40, first 2 shown]
	s_or_b64 exec, exec, s[2:3]
	scratch_load_dwordx2 v[122:123], off, off offset:352
	v_cmp_gt_u32_e32 vcc, 44, v0
	s_waitcnt vmcnt(0)
	ds_write_b64 v1, v[122:123]
	s_waitcnt lgkmcnt(0)
	; wave barrier
	s_and_saveexec_b64 s[2:3], vcc
	s_cbranch_execz .LBB122_1008
; %bb.999:
	s_and_b64 vcc, exec, s[0:1]
	s_cbranch_vccnz .LBB122_1001
; %bb.1000:
	scratch_load_dwordx2 v[122:123], v19, off
	ds_read_b64 v[124:125], v1
	s_waitcnt vmcnt(0) lgkmcnt(0)
	v_mul_f64 v[122:123], v[122:123], v[124:125]
	s_cbranch_execz .LBB122_1002
	s_branch .LBB122_1003
.LBB122_1001:
                                        ; implicit-def: $vgpr122_vgpr123
.LBB122_1002:
	ds_read_b64 v[122:123], v1
.LBB122_1003:
	v_cmp_ne_u32_e32 vcc, 43, v0
	s_and_saveexec_b64 s[4:5], vcc
	s_cbranch_execz .LBB122_1007
; %bb.1004:
	s_mov_b32 s6, 0
	v_add_u32_e32 v124, 0x1e8, v18
	v_add3_u32 v125, v18, s6, 8
	s_mov_b64 s[6:7], 0
	v_mov_b32_e32 v126, v0
.LBB122_1005:                           ; =>This Inner Loop Header: Depth=1
	scratch_load_dwordx2 v[128:129], v125, off
	ds_read_b64 v[130:131], v124
	v_add_u32_e32 v126, 1, v126
	v_cmp_lt_u32_e32 vcc, 42, v126
	v_add_u32_e32 v124, 8, v124
	v_add_u32_e32 v125, 8, v125
	s_or_b64 s[6:7], vcc, s[6:7]
	s_waitcnt vmcnt(0) lgkmcnt(0)
	v_fmac_f64_e32 v[122:123], v[128:129], v[130:131]
	s_andn2_b64 exec, exec, s[6:7]
	s_cbranch_execnz .LBB122_1005
; %bb.1006:
	s_or_b64 exec, exec, s[6:7]
.LBB122_1007:
	s_or_b64 exec, exec, s[4:5]
	v_mov_b32_e32 v124, 0
	ds_read_b64 v[124:125], v124 offset:352
	s_waitcnt lgkmcnt(0)
	v_mul_f64 v[122:123], v[122:123], v[124:125]
	scratch_store_dwordx2 off, v[122:123], off offset:352
.LBB122_1008:
	s_or_b64 exec, exec, s[2:3]
	scratch_load_dwordx2 v[122:123], off, off offset:360
	v_cmp_gt_u32_e32 vcc, 45, v0
	s_waitcnt vmcnt(0)
	ds_write_b64 v1, v[122:123]
	s_waitcnt lgkmcnt(0)
	; wave barrier
	s_and_saveexec_b64 s[2:3], vcc
	s_cbranch_execz .LBB122_1018
; %bb.1009:
	s_and_b64 vcc, exec, s[0:1]
	s_cbranch_vccnz .LBB122_1011
; %bb.1010:
	scratch_load_dwordx2 v[122:123], v19, off
	ds_read_b64 v[124:125], v1
	s_waitcnt vmcnt(0) lgkmcnt(0)
	v_mul_f64 v[122:123], v[122:123], v[124:125]
	s_cbranch_execz .LBB122_1012
	s_branch .LBB122_1013
.LBB122_1011:
                                        ; implicit-def: $vgpr122_vgpr123
.LBB122_1012:
	ds_read_b64 v[122:123], v1
.LBB122_1013:
	v_cmp_ne_u32_e32 vcc, 44, v0
	s_and_saveexec_b64 s[4:5], vcc
	s_cbranch_execz .LBB122_1017
; %bb.1014:
	s_mov_b32 s6, 0
	v_add_u32_e32 v124, 0x1e8, v18
	v_add3_u32 v125, v18, s6, 8
	s_mov_b64 s[6:7], 0
	v_mov_b32_e32 v126, v0
.LBB122_1015:                           ; =>This Inner Loop Header: Depth=1
	scratch_load_dwordx2 v[128:129], v125, off
	ds_read_b64 v[130:131], v124
	v_add_u32_e32 v126, 1, v126
	v_cmp_lt_u32_e32 vcc, 43, v126
	v_add_u32_e32 v124, 8, v124
	v_add_u32_e32 v125, 8, v125
	s_or_b64 s[6:7], vcc, s[6:7]
	s_waitcnt vmcnt(0) lgkmcnt(0)
	v_fmac_f64_e32 v[122:123], v[128:129], v[130:131]
	s_andn2_b64 exec, exec, s[6:7]
	s_cbranch_execnz .LBB122_1015
; %bb.1016:
	s_or_b64 exec, exec, s[6:7]
.LBB122_1017:
	s_or_b64 exec, exec, s[4:5]
	v_mov_b32_e32 v124, 0
	ds_read_b64 v[124:125], v124 offset:360
	s_waitcnt lgkmcnt(0)
	v_mul_f64 v[122:123], v[122:123], v[124:125]
	scratch_store_dwordx2 off, v[122:123], off offset:360
.LBB122_1018:
	;; [unrolled: 55-line block ×13, first 2 shown]
	s_or_b64 exec, exec, s[2:3]
	scratch_load_dwordx2 v[122:123], off, off offset:456
	v_cmp_gt_u32_e64 s[2:3], 57, v0
	s_waitcnt vmcnt(0)
	ds_write_b64 v1, v[122:123]
	s_waitcnt lgkmcnt(0)
	; wave barrier
	s_and_saveexec_b64 s[4:5], s[2:3]
	s_cbranch_execz .LBB122_1138
; %bb.1129:
	s_and_b64 vcc, exec, s[0:1]
	s_cbranch_vccnz .LBB122_1131
; %bb.1130:
	scratch_load_dwordx2 v[122:123], v19, off
	ds_read_b64 v[124:125], v1
	s_waitcnt vmcnt(0) lgkmcnt(0)
	v_mul_f64 v[122:123], v[122:123], v[124:125]
	s_cbranch_execz .LBB122_1132
	s_branch .LBB122_1133
.LBB122_1131:
                                        ; implicit-def: $vgpr122_vgpr123
.LBB122_1132:
	ds_read_b64 v[122:123], v1
.LBB122_1133:
	v_cmp_ne_u32_e32 vcc, 56, v0
	s_and_saveexec_b64 s[6:7], vcc
	s_cbranch_execz .LBB122_1137
; %bb.1134:
	s_mov_b32 s8, 0
	v_add_u32_e32 v124, 0x1e8, v18
	v_add3_u32 v125, v18, s8, 8
	s_mov_b64 s[8:9], 0
	v_mov_b32_e32 v126, v0
.LBB122_1135:                           ; =>This Inner Loop Header: Depth=1
	scratch_load_dwordx2 v[128:129], v125, off
	ds_read_b64 v[130:131], v124
	v_add_u32_e32 v126, 1, v126
	v_cmp_lt_u32_e32 vcc, 55, v126
	v_add_u32_e32 v124, 8, v124
	v_add_u32_e32 v125, 8, v125
	s_or_b64 s[8:9], vcc, s[8:9]
	s_waitcnt vmcnt(0) lgkmcnt(0)
	v_fmac_f64_e32 v[122:123], v[128:129], v[130:131]
	s_andn2_b64 exec, exec, s[8:9]
	s_cbranch_execnz .LBB122_1135
; %bb.1136:
	s_or_b64 exec, exec, s[8:9]
.LBB122_1137:
	s_or_b64 exec, exec, s[6:7]
	v_mov_b32_e32 v124, 0
	ds_read_b64 v[124:125], v124 offset:456
	s_waitcnt lgkmcnt(0)
	v_mul_f64 v[122:123], v[122:123], v[124:125]
	scratch_store_dwordx2 off, v[122:123], off offset:456
.LBB122_1138:
	s_or_b64 exec, exec, s[4:5]
	scratch_load_dwordx2 v[122:123], off, off offset:464
	v_cmp_ne_u32_e32 vcc, 58, v0
	s_waitcnt vmcnt(0)
	ds_write_b64 v1, v[122:123]
	s_waitcnt lgkmcnt(0)
	; wave barrier
	s_and_saveexec_b64 s[4:5], vcc
	s_cbranch_execz .LBB122_1148
; %bb.1139:
	s_and_b64 vcc, exec, s[0:1]
	s_cbranch_vccnz .LBB122_1141
; %bb.1140:
	scratch_load_dwordx2 v[122:123], v19, off
	ds_read_b64 v[124:125], v1
	s_waitcnt vmcnt(0) lgkmcnt(0)
	v_mul_f64 v[122:123], v[122:123], v[124:125]
	s_cbranch_execz .LBB122_1142
	s_branch .LBB122_1143
.LBB122_1141:
                                        ; implicit-def: $vgpr122_vgpr123
.LBB122_1142:
	ds_read_b64 v[122:123], v1
.LBB122_1143:
	s_and_saveexec_b64 s[0:1], s[2:3]
	s_cbranch_execz .LBB122_1147
; %bb.1144:
	s_mov_b32 s2, 0
	v_add_u32_e32 v1, 0x1e8, v18
	v_add3_u32 v18, v18, s2, 8
	s_mov_b64 s[2:3], 0
.LBB122_1145:                           ; =>This Inner Loop Header: Depth=1
	scratch_load_dwordx2 v[124:125], v18, off
	ds_read_b64 v[126:127], v1
	v_add_u32_e32 v0, 1, v0
	v_cmp_lt_u32_e32 vcc, 56, v0
	v_add_u32_e32 v1, 8, v1
	v_add_u32_e32 v18, 8, v18
	s_or_b64 s[2:3], vcc, s[2:3]
	s_waitcnt vmcnt(0) lgkmcnt(0)
	v_fmac_f64_e32 v[122:123], v[124:125], v[126:127]
	s_andn2_b64 exec, exec, s[2:3]
	s_cbranch_execnz .LBB122_1145
; %bb.1146:
	s_or_b64 exec, exec, s[2:3]
.LBB122_1147:
	s_or_b64 exec, exec, s[0:1]
	v_mov_b32_e32 v0, 0
	ds_read_b64 v[0:1], v0 offset:464
	s_waitcnt lgkmcnt(0)
	v_mul_f64 v[0:1], v[122:123], v[0:1]
	scratch_store_dwordx2 off, v[0:1], off offset:464
.LBB122_1148:
	s_or_b64 exec, exec, s[4:5]
.LBB122_1149:
	scratch_load_dwordx2 v[0:1], off, off
	s_waitcnt vmcnt(0)
	flat_store_dwordx2 v[2:3], v[0:1]
	scratch_load_dwordx2 v[0:1], off, off offset:8
	s_waitcnt vmcnt(0)
	flat_store_dwordx2 v[4:5], v[0:1]
	scratch_load_dwordx2 v[0:1], off, off offset:16
	;; [unrolled: 3-line block ×58, first 2 shown]
	s_waitcnt vmcnt(0)
	flat_store_dwordx2 v[120:121], v[0:1]
.LBB122_1150:
	s_endpgm
	.section	.rodata,"a",@progbits
	.p2align	6, 0x0
	.amdhsa_kernel _ZN9rocsolver6v33100L18trti2_kernel_smallILi59EdPKPdEEv13rocblas_fill_17rocblas_diagonal_T1_iil
		.amdhsa_group_segment_fixed_size 952
		.amdhsa_private_segment_fixed_size 480
		.amdhsa_kernarg_size 32
		.amdhsa_user_sgpr_count 2
		.amdhsa_user_sgpr_dispatch_ptr 0
		.amdhsa_user_sgpr_queue_ptr 0
		.amdhsa_user_sgpr_kernarg_segment_ptr 1
		.amdhsa_user_sgpr_dispatch_id 0
		.amdhsa_user_sgpr_kernarg_preload_length 0
		.amdhsa_user_sgpr_kernarg_preload_offset 0
		.amdhsa_user_sgpr_private_segment_size 0
		.amdhsa_uses_dynamic_stack 0
		.amdhsa_enable_private_segment 1
		.amdhsa_system_sgpr_workgroup_id_x 1
		.amdhsa_system_sgpr_workgroup_id_y 0
		.amdhsa_system_sgpr_workgroup_id_z 0
		.amdhsa_system_sgpr_workgroup_info 0
		.amdhsa_system_vgpr_workitem_id 0
		.amdhsa_next_free_vgpr 132
		.amdhsa_next_free_sgpr 68
		.amdhsa_accum_offset 132
		.amdhsa_reserve_vcc 1
		.amdhsa_float_round_mode_32 0
		.amdhsa_float_round_mode_16_64 0
		.amdhsa_float_denorm_mode_32 3
		.amdhsa_float_denorm_mode_16_64 3
		.amdhsa_dx10_clamp 1
		.amdhsa_ieee_mode 1
		.amdhsa_fp16_overflow 0
		.amdhsa_tg_split 0
		.amdhsa_exception_fp_ieee_invalid_op 0
		.amdhsa_exception_fp_denorm_src 0
		.amdhsa_exception_fp_ieee_div_zero 0
		.amdhsa_exception_fp_ieee_overflow 0
		.amdhsa_exception_fp_ieee_underflow 0
		.amdhsa_exception_fp_ieee_inexact 0
		.amdhsa_exception_int_div_zero 0
	.end_amdhsa_kernel
	.section	.text._ZN9rocsolver6v33100L18trti2_kernel_smallILi59EdPKPdEEv13rocblas_fill_17rocblas_diagonal_T1_iil,"axG",@progbits,_ZN9rocsolver6v33100L18trti2_kernel_smallILi59EdPKPdEEv13rocblas_fill_17rocblas_diagonal_T1_iil,comdat
.Lfunc_end122:
	.size	_ZN9rocsolver6v33100L18trti2_kernel_smallILi59EdPKPdEEv13rocblas_fill_17rocblas_diagonal_T1_iil, .Lfunc_end122-_ZN9rocsolver6v33100L18trti2_kernel_smallILi59EdPKPdEEv13rocblas_fill_17rocblas_diagonal_T1_iil
                                        ; -- End function
	.set _ZN9rocsolver6v33100L18trti2_kernel_smallILi59EdPKPdEEv13rocblas_fill_17rocblas_diagonal_T1_iil.num_vgpr, 132
	.set _ZN9rocsolver6v33100L18trti2_kernel_smallILi59EdPKPdEEv13rocblas_fill_17rocblas_diagonal_T1_iil.num_agpr, 0
	.set _ZN9rocsolver6v33100L18trti2_kernel_smallILi59EdPKPdEEv13rocblas_fill_17rocblas_diagonal_T1_iil.numbered_sgpr, 68
	.set _ZN9rocsolver6v33100L18trti2_kernel_smallILi59EdPKPdEEv13rocblas_fill_17rocblas_diagonal_T1_iil.num_named_barrier, 0
	.set _ZN9rocsolver6v33100L18trti2_kernel_smallILi59EdPKPdEEv13rocblas_fill_17rocblas_diagonal_T1_iil.private_seg_size, 480
	.set _ZN9rocsolver6v33100L18trti2_kernel_smallILi59EdPKPdEEv13rocblas_fill_17rocblas_diagonal_T1_iil.uses_vcc, 1
	.set _ZN9rocsolver6v33100L18trti2_kernel_smallILi59EdPKPdEEv13rocblas_fill_17rocblas_diagonal_T1_iil.uses_flat_scratch, 0
	.set _ZN9rocsolver6v33100L18trti2_kernel_smallILi59EdPKPdEEv13rocblas_fill_17rocblas_diagonal_T1_iil.has_dyn_sized_stack, 0
	.set _ZN9rocsolver6v33100L18trti2_kernel_smallILi59EdPKPdEEv13rocblas_fill_17rocblas_diagonal_T1_iil.has_recursion, 0
	.set _ZN9rocsolver6v33100L18trti2_kernel_smallILi59EdPKPdEEv13rocblas_fill_17rocblas_diagonal_T1_iil.has_indirect_call, 0
	.section	.AMDGPU.csdata,"",@progbits
; Kernel info:
; codeLenInByte = 28776
; TotalNumSgprs: 74
; NumVgprs: 132
; NumAgprs: 0
; TotalNumVgprs: 132
; ScratchSize: 480
; MemoryBound: 0
; FloatMode: 240
; IeeeMode: 1
; LDSByteSize: 952 bytes/workgroup (compile time only)
; SGPRBlocks: 9
; VGPRBlocks: 16
; NumSGPRsForWavesPerEU: 74
; NumVGPRsForWavesPerEU: 132
; AccumOffset: 132
; Occupancy: 3
; WaveLimiterHint : 1
; COMPUTE_PGM_RSRC2:SCRATCH_EN: 1
; COMPUTE_PGM_RSRC2:USER_SGPR: 2
; COMPUTE_PGM_RSRC2:TRAP_HANDLER: 0
; COMPUTE_PGM_RSRC2:TGID_X_EN: 1
; COMPUTE_PGM_RSRC2:TGID_Y_EN: 0
; COMPUTE_PGM_RSRC2:TGID_Z_EN: 0
; COMPUTE_PGM_RSRC2:TIDIG_COMP_CNT: 0
; COMPUTE_PGM_RSRC3_GFX90A:ACCUM_OFFSET: 32
; COMPUTE_PGM_RSRC3_GFX90A:TG_SPLIT: 0
	.section	.text._ZN9rocsolver6v33100L18trti2_kernel_smallILi60EdPKPdEEv13rocblas_fill_17rocblas_diagonal_T1_iil,"axG",@progbits,_ZN9rocsolver6v33100L18trti2_kernel_smallILi60EdPKPdEEv13rocblas_fill_17rocblas_diagonal_T1_iil,comdat
	.globl	_ZN9rocsolver6v33100L18trti2_kernel_smallILi60EdPKPdEEv13rocblas_fill_17rocblas_diagonal_T1_iil ; -- Begin function _ZN9rocsolver6v33100L18trti2_kernel_smallILi60EdPKPdEEv13rocblas_fill_17rocblas_diagonal_T1_iil
	.p2align	8
	.type	_ZN9rocsolver6v33100L18trti2_kernel_smallILi60EdPKPdEEv13rocblas_fill_17rocblas_diagonal_T1_iil,@function
_ZN9rocsolver6v33100L18trti2_kernel_smallILi60EdPKPdEEv13rocblas_fill_17rocblas_diagonal_T1_iil: ; @_ZN9rocsolver6v33100L18trti2_kernel_smallILi60EdPKPdEEv13rocblas_fill_17rocblas_diagonal_T1_iil
; %bb.0:
	v_cmp_gt_u32_e32 vcc, 60, v0
	s_and_saveexec_b64 s[4:5], vcc
	s_cbranch_execz .LBB123_1170
; %bb.1:
	s_load_dwordx2 s[8:9], s[0:1], 0x10
	s_load_dwordx4 s[4:7], s[0:1], 0x0
	s_ashr_i32 s3, s2, 31
	s_lshl_b64 s[0:1], s[2:3], 3
	v_lshlrev_b32_e32 v18, 3, v0
	s_waitcnt lgkmcnt(0)
	s_ashr_i32 s3, s8, 31
	s_add_u32 s0, s6, s0
	s_addc_u32 s1, s7, s1
	s_load_dwordx2 s[0:1], s[0:1], 0x0
	s_mov_b32 s2, s8
	s_lshl_b64 s[2:3], s[2:3], 3
	v_mov_b32_e32 v19, 0
	s_waitcnt lgkmcnt(0)
	s_add_u32 s0, s0, s2
	s_addc_u32 s1, s1, s3
	v_lshl_add_u64 v[2:3], s[0:1], 0, v[18:19]
	flat_load_dwordx2 v[6:7], v[2:3]
	s_mov_b32 s2, s9
	s_ashr_i32 s3, s9, 31
	v_lshl_add_u64 v[4:5], s[2:3], 3, v[2:3]
	s_add_i32 s2, s9, s9
	v_add_u32_e32 v10, s2, v0
	v_ashrrev_i32_e32 v11, 31, v10
	s_cmpk_lg_i32 s5, 0x84
	s_cselect_b64 s[6:7], -1, 0
	s_cmpk_eq_i32 s5, 0x84
	s_waitcnt vmcnt(0) lgkmcnt(0)
	scratch_store_dwordx2 off, v[6:7], off
	flat_load_dwordx2 v[8:9], v[4:5]
	v_lshl_add_u64 v[6:7], v[10:11], 3, s[0:1]
	v_add_u32_e32 v10, s9, v10
	v_ashrrev_i32_e32 v11, 31, v10
	v_add_u32_e32 v14, s9, v10
	v_ashrrev_i32_e32 v15, 31, v14
	s_waitcnt vmcnt(0) lgkmcnt(0)
	scratch_store_dwordx2 off, v[8:9], off offset:8
	flat_load_dwordx2 v[12:13], v[6:7]
	v_lshl_add_u64 v[8:9], v[10:11], 3, s[0:1]
	v_lshl_add_u64 v[10:11], v[14:15], 3, s[0:1]
	v_add_u32_e32 v14, s9, v14
	v_ashrrev_i32_e32 v15, 31, v14
	v_add_u32_e32 v20, s9, v14
	v_ashrrev_i32_e32 v21, 31, v20
	s_waitcnt vmcnt(0) lgkmcnt(0)
	scratch_store_dwordx2 off, v[12:13], off offset:16
	flat_load_dwordx2 v[12:13], v[8:9]
	s_waitcnt vmcnt(0) lgkmcnt(0)
	scratch_store_dwordx2 off, v[12:13], off offset:24
	flat_load_dwordx2 v[16:17], v[10:11]
	v_lshl_add_u64 v[12:13], v[14:15], 3, s[0:1]
	v_lshl_add_u64 v[14:15], v[20:21], 3, s[0:1]
	v_add_u32_e32 v20, s9, v20
	v_ashrrev_i32_e32 v21, 31, v20
	v_add_u32_e32 v24, s9, v20
	v_ashrrev_i32_e32 v25, 31, v24
	s_waitcnt vmcnt(0) lgkmcnt(0)
	scratch_store_dwordx2 off, v[16:17], off offset:32
	flat_load_dwordx2 v[16:17], v[12:13]
	;; [unrolled: 12-line block ×27, first 2 shown]
	s_waitcnt vmcnt(0) lgkmcnt(0)
	scratch_store_dwordx2 off, v[118:119], off offset:440
	flat_load_dwordx2 v[122:123], v[116:117]
	v_lshl_add_u64 v[118:119], v[120:121], 3, s[0:1]
	v_lshl_add_u64 v[120:121], v[124:125], 3, s[0:1]
	s_waitcnt vmcnt(0) lgkmcnt(0)
	scratch_store_dwordx2 off, v[122:123], off offset:448
	flat_load_dwordx2 v[122:123], v[118:119]
	s_waitcnt vmcnt(0) lgkmcnt(0)
	scratch_store_dwordx2 off, v[122:123], off offset:456
	flat_load_dwordx2 v[126:127], v[120:121]
	v_add_u32_e32 v122, s9, v124
	v_ashrrev_i32_e32 v123, 31, v122
	v_lshl_add_u64 v[122:123], v[122:123], 3, s[0:1]
	s_waitcnt vmcnt(0) lgkmcnt(0)
	scratch_store_dwordx2 off, v[126:127], off offset:464
	flat_load_dwordx2 v[124:125], v[122:123]
	s_waitcnt vmcnt(0) lgkmcnt(0)
	scratch_store_dwordx2 off, v[124:125], off offset:472
	v_mov_b64_e32 v[124:125], -1.0
	s_cbranch_scc1 .LBB123_3
; %bb.2:
	scratch_load_dwordx2 v[124:125], v18, off
	s_waitcnt vmcnt(0)
	v_div_scale_f64 v[126:127], s[0:1], v[124:125], v[124:125], 1.0
	v_rcp_f64_e32 v[128:129], v[126:127]
	v_div_scale_f64 v[130:131], vcc, 1.0, v[124:125], 1.0
	v_fma_f64 v[132:133], -v[126:127], v[128:129], 1.0
	v_fmac_f64_e32 v[128:129], v[128:129], v[132:133]
	v_fma_f64 v[132:133], -v[126:127], v[128:129], 1.0
	v_fmac_f64_e32 v[128:129], v[128:129], v[132:133]
	v_mul_f64 v[132:133], v[130:131], v[128:129]
	v_fma_f64 v[126:127], -v[126:127], v[132:133], v[130:131]
	v_div_fmas_f64 v[126:127], v[126:127], v[128:129], v[132:133]
	v_div_fixup_f64 v[124:125], v[126:127], v[124:125], 1.0
	scratch_store_dwordx2 v18, v[124:125], off
	v_xor_b32_e32 v125, 0x80000000, v125
.LBB123_3:
	s_cmpk_eq_i32 s4, 0x79
	v_add_u32_e32 v1, 0x1e0, v18
	v_mov_b32_e32 v19, v18
	s_mov_b64 s[0:1], -1
	ds_write_b64 v18, v[124:125]
	s_cbranch_scc1 .LBB123_587
; %bb.4:
	scratch_load_dwordx2 v[124:125], off, off offset:464
	s_movk_i32 s8, 0x48
	s_movk_i32 s9, 0x50
	;; [unrolled: 1-line block ×49, first 2 shown]
	v_cmp_eq_u32_e64 s[0:1], 59, v0
	s_waitcnt vmcnt(0)
	ds_write_b64 v1, v[124:125]
	s_waitcnt lgkmcnt(0)
	; wave barrier
	s_and_saveexec_b64 s[2:3], s[0:1]
	s_cbranch_execz .LBB123_10
; %bb.5:
	s_and_b64 vcc, exec, s[6:7]
	s_cbranch_vccz .LBB123_7
; %bb.6:
	scratch_load_dwordx2 v[124:125], v19, off
	ds_read_b64 v[126:127], v1
	s_waitcnt vmcnt(0) lgkmcnt(0)
	v_mul_f64 v[124:125], v[124:125], v[126:127]
	s_cbranch_execz .LBB123_8
	s_branch .LBB123_9
.LBB123_7:
                                        ; implicit-def: $vgpr124_vgpr125
.LBB123_8:
	ds_read_b64 v[124:125], v1
.LBB123_9:
	v_mov_b32_e32 v126, 0
	ds_read_b64 v[126:127], v126 offset:464
	s_waitcnt lgkmcnt(0)
	v_mul_f64 v[124:125], v[124:125], v[126:127]
	scratch_store_dwordx2 off, v[124:125], off offset:464
.LBB123_10:
	s_or_b64 exec, exec, s[2:3]
	scratch_load_dwordx2 v[124:125], off, off offset:456
	s_or_b32 s10, 0, 8
	s_mov_b32 s11, 16
	s_mov_b32 s12, 24
	;; [unrolled: 1-line block ×9, first 2 shown]
	v_cmp_lt_u32_e64 s[2:3], 57, v0
	s_waitcnt vmcnt(0)
	ds_write_b64 v1, v[124:125]
	s_waitcnt lgkmcnt(0)
	; wave barrier
	s_and_saveexec_b64 s[4:5], s[2:3]
	s_cbranch_execz .LBB123_16
; %bb.11:
	s_andn2_b64 vcc, exec, s[6:7]
	s_cbranch_vccnz .LBB123_13
; %bb.12:
	scratch_load_dwordx2 v[124:125], v19, off
	ds_read_b64 v[126:127], v1
	s_waitcnt vmcnt(0) lgkmcnt(0)
	v_mul_f64 v[124:125], v[124:125], v[126:127]
	s_cbranch_execz .LBB123_14
	s_branch .LBB123_15
.LBB123_13:
                                        ; implicit-def: $vgpr124_vgpr125
.LBB123_14:
	ds_read_b64 v[124:125], v1
.LBB123_15:
	scratch_load_dwordx2 v[130:131], off, off offset:464
	v_mov_b32_e32 v126, 0
	ds_read2_b64 v[126:129], v126 offset0:57 offset1:118
	s_waitcnt vmcnt(0) lgkmcnt(0)
	v_fma_f64 v[128:129], v[130:131], v[128:129], v[124:125]
	v_cndmask_b32_e64 v125, v125, v129, s[0:1]
	v_cndmask_b32_e64 v124, v124, v128, s[0:1]
	v_mul_f64 v[124:125], v[124:125], v[126:127]
	scratch_store_dwordx2 off, v[124:125], off offset:456
.LBB123_16:
	s_or_b64 exec, exec, s[4:5]
	scratch_load_dwordx2 v[124:125], off, off offset:448
	v_cmp_lt_u32_e64 s[0:1], 56, v0
	s_waitcnt vmcnt(0)
	ds_write_b64 v1, v[124:125]
	s_waitcnt lgkmcnt(0)
	; wave barrier
	s_and_saveexec_b64 s[4:5], s[0:1]
	s_cbranch_execz .LBB123_26
; %bb.17:
	s_andn2_b64 vcc, exec, s[6:7]
	s_cbranch_vccnz .LBB123_19
; %bb.18:
	scratch_load_dwordx2 v[124:125], v19, off
	ds_read_b64 v[126:127], v1
	s_waitcnt vmcnt(0) lgkmcnt(0)
	v_mul_f64 v[124:125], v[124:125], v[126:127]
	s_cbranch_execz .LBB123_20
	s_branch .LBB123_21
.LBB123_19:
                                        ; implicit-def: $vgpr124_vgpr125
.LBB123_20:
	ds_read_b64 v[124:125], v1
.LBB123_21:
	s_and_saveexec_b64 s[8:9], s[2:3]
	s_cbranch_execz .LBB123_25
; %bb.22:
	v_subrev_u32_e32 v126, 57, v0
	s_movk_i32 s68, 0x3a8
	s_mov_b64 s[2:3], 0
.LBB123_23:                             ; =>This Inner Loop Header: Depth=1
	scratch_load_dwordx2 v[128:129], off, s67
	v_mov_b32_e32 v127, s68
	ds_read_b64 v[130:131], v127
	v_add_u32_e32 v126, -1, v126
	s_add_i32 s68, s68, 8
	s_add_i32 s67, s67, 8
	v_cmp_eq_u32_e32 vcc, 0, v126
	s_or_b64 s[2:3], vcc, s[2:3]
	s_waitcnt vmcnt(0) lgkmcnt(0)
	v_fmac_f64_e32 v[124:125], v[128:129], v[130:131]
	s_andn2_b64 exec, exec, s[2:3]
	s_cbranch_execnz .LBB123_23
; %bb.24:
	s_or_b64 exec, exec, s[2:3]
.LBB123_25:
	s_or_b64 exec, exec, s[8:9]
	v_mov_b32_e32 v126, 0
	ds_read_b64 v[126:127], v126 offset:448
	s_waitcnt lgkmcnt(0)
	v_mul_f64 v[124:125], v[124:125], v[126:127]
	scratch_store_dwordx2 off, v[124:125], off offset:448
.LBB123_26:
	s_or_b64 exec, exec, s[4:5]
	scratch_load_dwordx2 v[124:125], off, off offset:440
	v_cmp_lt_u32_e64 s[2:3], 55, v0
	s_waitcnt vmcnt(0)
	ds_write_b64 v1, v[124:125]
	s_waitcnt lgkmcnt(0)
	; wave barrier
	s_and_saveexec_b64 s[4:5], s[2:3]
	s_cbranch_execz .LBB123_36
; %bb.27:
	s_andn2_b64 vcc, exec, s[6:7]
	s_cbranch_vccnz .LBB123_29
; %bb.28:
	scratch_load_dwordx2 v[124:125], v19, off
	ds_read_b64 v[126:127], v1
	s_waitcnt vmcnt(0) lgkmcnt(0)
	v_mul_f64 v[124:125], v[124:125], v[126:127]
	s_cbranch_execz .LBB123_30
	s_branch .LBB123_31
.LBB123_29:
                                        ; implicit-def: $vgpr124_vgpr125
.LBB123_30:
	ds_read_b64 v[124:125], v1
.LBB123_31:
	s_and_saveexec_b64 s[8:9], s[0:1]
	s_cbranch_execz .LBB123_35
; %bb.32:
	v_subrev_u32_e32 v126, 56, v0
	s_movk_i32 s67, 0x3a0
	s_mov_b64 s[0:1], 0
.LBB123_33:                             ; =>This Inner Loop Header: Depth=1
	scratch_load_dwordx2 v[128:129], off, s66
	v_mov_b32_e32 v127, s67
	ds_read_b64 v[130:131], v127
	v_add_u32_e32 v126, -1, v126
	s_add_i32 s67, s67, 8
	s_add_i32 s66, s66, 8
	v_cmp_eq_u32_e32 vcc, 0, v126
	s_or_b64 s[0:1], vcc, s[0:1]
	s_waitcnt vmcnt(0) lgkmcnt(0)
	v_fmac_f64_e32 v[124:125], v[128:129], v[130:131]
	s_andn2_b64 exec, exec, s[0:1]
	s_cbranch_execnz .LBB123_33
; %bb.34:
	s_or_b64 exec, exec, s[0:1]
.LBB123_35:
	s_or_b64 exec, exec, s[8:9]
	v_mov_b32_e32 v126, 0
	ds_read_b64 v[126:127], v126 offset:440
	s_waitcnt lgkmcnt(0)
	v_mul_f64 v[124:125], v[124:125], v[126:127]
	scratch_store_dwordx2 off, v[124:125], off offset:440
.LBB123_36:
	;; [unrolled: 53-line block ×8, first 2 shown]
	s_or_b64 exec, exec, s[4:5]
	scratch_load_dwordx2 v[124:125], off, off offset:384
	v_cmp_lt_u32_e64 s[0:1], 48, v0
	s_waitcnt vmcnt(0)
	ds_write_b64 v1, v[124:125]
	s_waitcnt lgkmcnt(0)
	; wave barrier
	s_and_saveexec_b64 s[4:5], s[0:1]
	s_cbranch_execz .LBB123_106
; %bb.97:
	s_andn2_b64 vcc, exec, s[6:7]
	s_cbranch_vccnz .LBB123_99
; %bb.98:
	scratch_load_dwordx2 v[124:125], v19, off
	ds_read_b64 v[126:127], v1
	s_waitcnt vmcnt(0) lgkmcnt(0)
	v_mul_f64 v[124:125], v[124:125], v[126:127]
	s_cbranch_execz .LBB123_100
	s_branch .LBB123_101
.LBB123_99:
                                        ; implicit-def: $vgpr124_vgpr125
.LBB123_100:
	ds_read_b64 v[124:125], v1
.LBB123_101:
	s_and_saveexec_b64 s[8:9], s[2:3]
	s_cbranch_execz .LBB123_105
; %bb.102:
	v_subrev_u32_e32 v126, 49, v0
	s_movk_i32 s60, 0x368
	s_mov_b64 s[2:3], 0
.LBB123_103:                            ; =>This Inner Loop Header: Depth=1
	scratch_load_dwordx2 v[128:129], off, s59
	v_mov_b32_e32 v127, s60
	ds_read_b64 v[130:131], v127
	v_add_u32_e32 v126, -1, v126
	s_add_i32 s60, s60, 8
	s_add_i32 s59, s59, 8
	v_cmp_eq_u32_e32 vcc, 0, v126
	s_or_b64 s[2:3], vcc, s[2:3]
	s_waitcnt vmcnt(0) lgkmcnt(0)
	v_fmac_f64_e32 v[124:125], v[128:129], v[130:131]
	s_andn2_b64 exec, exec, s[2:3]
	s_cbranch_execnz .LBB123_103
; %bb.104:
	s_or_b64 exec, exec, s[2:3]
.LBB123_105:
	s_or_b64 exec, exec, s[8:9]
	v_mov_b32_e32 v126, 0
	ds_read_b64 v[126:127], v126 offset:384
	s_waitcnt lgkmcnt(0)
	v_mul_f64 v[124:125], v[124:125], v[126:127]
	scratch_store_dwordx2 off, v[124:125], off offset:384
.LBB123_106:
	s_or_b64 exec, exec, s[4:5]
	scratch_load_dwordx2 v[124:125], off, off offset:376
	v_cmp_lt_u32_e64 s[2:3], 47, v0
	s_waitcnt vmcnt(0)
	ds_write_b64 v1, v[124:125]
	s_waitcnt lgkmcnt(0)
	; wave barrier
	s_and_saveexec_b64 s[4:5], s[2:3]
	s_cbranch_execz .LBB123_116
; %bb.107:
	s_andn2_b64 vcc, exec, s[6:7]
	s_cbranch_vccnz .LBB123_109
; %bb.108:
	scratch_load_dwordx2 v[124:125], v19, off
	ds_read_b64 v[126:127], v1
	s_waitcnt vmcnt(0) lgkmcnt(0)
	v_mul_f64 v[124:125], v[124:125], v[126:127]
	s_cbranch_execz .LBB123_110
	s_branch .LBB123_111
.LBB123_109:
                                        ; implicit-def: $vgpr124_vgpr125
.LBB123_110:
	ds_read_b64 v[124:125], v1
.LBB123_111:
	s_and_saveexec_b64 s[8:9], s[0:1]
	s_cbranch_execz .LBB123_115
; %bb.112:
	v_subrev_u32_e32 v126, 48, v0
	s_movk_i32 s59, 0x360
	s_mov_b64 s[0:1], 0
.LBB123_113:                            ; =>This Inner Loop Header: Depth=1
	scratch_load_dwordx2 v[128:129], off, s58
	v_mov_b32_e32 v127, s59
	ds_read_b64 v[130:131], v127
	v_add_u32_e32 v126, -1, v126
	s_add_i32 s59, s59, 8
	s_add_i32 s58, s58, 8
	v_cmp_eq_u32_e32 vcc, 0, v126
	s_or_b64 s[0:1], vcc, s[0:1]
	s_waitcnt vmcnt(0) lgkmcnt(0)
	v_fmac_f64_e32 v[124:125], v[128:129], v[130:131]
	s_andn2_b64 exec, exec, s[0:1]
	s_cbranch_execnz .LBB123_113
; %bb.114:
	s_or_b64 exec, exec, s[0:1]
.LBB123_115:
	s_or_b64 exec, exec, s[8:9]
	v_mov_b32_e32 v126, 0
	ds_read_b64 v[126:127], v126 offset:376
	s_waitcnt lgkmcnt(0)
	v_mul_f64 v[124:125], v[124:125], v[126:127]
	scratch_store_dwordx2 off, v[124:125], off offset:376
.LBB123_116:
	s_or_b64 exec, exec, s[4:5]
	scratch_load_dwordx2 v[124:125], off, off offset:368
	v_cmp_lt_u32_e64 s[0:1], 46, v0
	s_waitcnt vmcnt(0)
	ds_write_b64 v1, v[124:125]
	s_waitcnt lgkmcnt(0)
	; wave barrier
	s_and_saveexec_b64 s[4:5], s[0:1]
	s_cbranch_execz .LBB123_126
; %bb.117:
	s_andn2_b64 vcc, exec, s[6:7]
	s_cbranch_vccnz .LBB123_119
; %bb.118:
	scratch_load_dwordx2 v[124:125], v19, off
	ds_read_b64 v[126:127], v1
	s_waitcnt vmcnt(0) lgkmcnt(0)
	v_mul_f64 v[124:125], v[124:125], v[126:127]
	s_cbranch_execz .LBB123_120
	s_branch .LBB123_121
.LBB123_119:
                                        ; implicit-def: $vgpr124_vgpr125
.LBB123_120:
	ds_read_b64 v[124:125], v1
.LBB123_121:
	s_and_saveexec_b64 s[8:9], s[2:3]
	s_cbranch_execz .LBB123_125
; %bb.122:
	v_subrev_u32_e32 v126, 47, v0
	s_movk_i32 s58, 0x358
	s_mov_b64 s[2:3], 0
.LBB123_123:                            ; =>This Inner Loop Header: Depth=1
	scratch_load_dwordx2 v[128:129], off, s57
	v_mov_b32_e32 v127, s58
	ds_read_b64 v[130:131], v127
	v_add_u32_e32 v126, -1, v126
	s_add_i32 s58, s58, 8
	s_add_i32 s57, s57, 8
	v_cmp_eq_u32_e32 vcc, 0, v126
	s_or_b64 s[2:3], vcc, s[2:3]
	s_waitcnt vmcnt(0) lgkmcnt(0)
	v_fmac_f64_e32 v[124:125], v[128:129], v[130:131]
	s_andn2_b64 exec, exec, s[2:3]
	s_cbranch_execnz .LBB123_123
; %bb.124:
	s_or_b64 exec, exec, s[2:3]
.LBB123_125:
	s_or_b64 exec, exec, s[8:9]
	v_mov_b32_e32 v126, 0
	ds_read_b64 v[126:127], v126 offset:368
	s_waitcnt lgkmcnt(0)
	v_mul_f64 v[124:125], v[124:125], v[126:127]
	scratch_store_dwordx2 off, v[124:125], off offset:368
.LBB123_126:
	s_or_b64 exec, exec, s[4:5]
	scratch_load_dwordx2 v[124:125], off, off offset:360
	v_cmp_lt_u32_e64 s[2:3], 45, v0
	s_waitcnt vmcnt(0)
	ds_write_b64 v1, v[124:125]
	s_waitcnt lgkmcnt(0)
	; wave barrier
	s_and_saveexec_b64 s[4:5], s[2:3]
	s_cbranch_execz .LBB123_136
; %bb.127:
	s_andn2_b64 vcc, exec, s[6:7]
	s_cbranch_vccnz .LBB123_129
; %bb.128:
	scratch_load_dwordx2 v[124:125], v19, off
	ds_read_b64 v[126:127], v1
	s_waitcnt vmcnt(0) lgkmcnt(0)
	v_mul_f64 v[124:125], v[124:125], v[126:127]
	s_cbranch_execz .LBB123_130
	s_branch .LBB123_131
.LBB123_129:
                                        ; implicit-def: $vgpr124_vgpr125
.LBB123_130:
	ds_read_b64 v[124:125], v1
.LBB123_131:
	s_and_saveexec_b64 s[8:9], s[0:1]
	s_cbranch_execz .LBB123_135
; %bb.132:
	v_subrev_u32_e32 v126, 46, v0
	s_movk_i32 s57, 0x350
	s_mov_b64 s[0:1], 0
.LBB123_133:                            ; =>This Inner Loop Header: Depth=1
	scratch_load_dwordx2 v[128:129], off, s56
	v_mov_b32_e32 v127, s57
	ds_read_b64 v[130:131], v127
	v_add_u32_e32 v126, -1, v126
	s_add_i32 s57, s57, 8
	s_add_i32 s56, s56, 8
	v_cmp_eq_u32_e32 vcc, 0, v126
	s_or_b64 s[0:1], vcc, s[0:1]
	s_waitcnt vmcnt(0) lgkmcnt(0)
	v_fmac_f64_e32 v[124:125], v[128:129], v[130:131]
	s_andn2_b64 exec, exec, s[0:1]
	s_cbranch_execnz .LBB123_133
; %bb.134:
	s_or_b64 exec, exec, s[0:1]
.LBB123_135:
	s_or_b64 exec, exec, s[8:9]
	v_mov_b32_e32 v126, 0
	ds_read_b64 v[126:127], v126 offset:360
	s_waitcnt lgkmcnt(0)
	v_mul_f64 v[124:125], v[124:125], v[126:127]
	scratch_store_dwordx2 off, v[124:125], off offset:360
.LBB123_136:
	s_or_b64 exec, exec, s[4:5]
	scratch_load_dwordx2 v[124:125], off, off offset:352
	v_cmp_lt_u32_e64 s[0:1], 44, v0
	s_waitcnt vmcnt(0)
	ds_write_b64 v1, v[124:125]
	s_waitcnt lgkmcnt(0)
	; wave barrier
	s_and_saveexec_b64 s[4:5], s[0:1]
	s_cbranch_execz .LBB123_146
; %bb.137:
	s_andn2_b64 vcc, exec, s[6:7]
	s_cbranch_vccnz .LBB123_139
; %bb.138:
	scratch_load_dwordx2 v[124:125], v19, off
	ds_read_b64 v[126:127], v1
	s_waitcnt vmcnt(0) lgkmcnt(0)
	v_mul_f64 v[124:125], v[124:125], v[126:127]
	s_cbranch_execz .LBB123_140
	s_branch .LBB123_141
.LBB123_139:
                                        ; implicit-def: $vgpr124_vgpr125
.LBB123_140:
	ds_read_b64 v[124:125], v1
.LBB123_141:
	s_and_saveexec_b64 s[8:9], s[2:3]
	s_cbranch_execz .LBB123_145
; %bb.142:
	v_subrev_u32_e32 v126, 45, v0
	s_movk_i32 s56, 0x348
	s_mov_b64 s[2:3], 0
.LBB123_143:                            ; =>This Inner Loop Header: Depth=1
	scratch_load_dwordx2 v[128:129], off, s55
	v_mov_b32_e32 v127, s56
	ds_read_b64 v[130:131], v127
	v_add_u32_e32 v126, -1, v126
	s_add_i32 s56, s56, 8
	s_add_i32 s55, s55, 8
	v_cmp_eq_u32_e32 vcc, 0, v126
	s_or_b64 s[2:3], vcc, s[2:3]
	s_waitcnt vmcnt(0) lgkmcnt(0)
	v_fmac_f64_e32 v[124:125], v[128:129], v[130:131]
	s_andn2_b64 exec, exec, s[2:3]
	s_cbranch_execnz .LBB123_143
; %bb.144:
	s_or_b64 exec, exec, s[2:3]
.LBB123_145:
	s_or_b64 exec, exec, s[8:9]
	v_mov_b32_e32 v126, 0
	ds_read_b64 v[126:127], v126 offset:352
	s_waitcnt lgkmcnt(0)
	v_mul_f64 v[124:125], v[124:125], v[126:127]
	scratch_store_dwordx2 off, v[124:125], off offset:352
.LBB123_146:
	s_or_b64 exec, exec, s[4:5]
	scratch_load_dwordx2 v[124:125], off, off offset:344
	v_cmp_lt_u32_e64 s[2:3], 43, v0
	s_waitcnt vmcnt(0)
	ds_write_b64 v1, v[124:125]
	s_waitcnt lgkmcnt(0)
	; wave barrier
	s_and_saveexec_b64 s[4:5], s[2:3]
	s_cbranch_execz .LBB123_156
; %bb.147:
	s_andn2_b64 vcc, exec, s[6:7]
	s_cbranch_vccnz .LBB123_149
; %bb.148:
	scratch_load_dwordx2 v[124:125], v19, off
	ds_read_b64 v[126:127], v1
	s_waitcnt vmcnt(0) lgkmcnt(0)
	v_mul_f64 v[124:125], v[124:125], v[126:127]
	s_cbranch_execz .LBB123_150
	s_branch .LBB123_151
.LBB123_149:
                                        ; implicit-def: $vgpr124_vgpr125
.LBB123_150:
	ds_read_b64 v[124:125], v1
.LBB123_151:
	s_and_saveexec_b64 s[8:9], s[0:1]
	s_cbranch_execz .LBB123_155
; %bb.152:
	v_subrev_u32_e32 v126, 44, v0
	s_movk_i32 s55, 0x340
	s_mov_b64 s[0:1], 0
.LBB123_153:                            ; =>This Inner Loop Header: Depth=1
	scratch_load_dwordx2 v[128:129], off, s54
	v_mov_b32_e32 v127, s55
	ds_read_b64 v[130:131], v127
	v_add_u32_e32 v126, -1, v126
	s_add_i32 s55, s55, 8
	s_add_i32 s54, s54, 8
	v_cmp_eq_u32_e32 vcc, 0, v126
	s_or_b64 s[0:1], vcc, s[0:1]
	s_waitcnt vmcnt(0) lgkmcnt(0)
	v_fmac_f64_e32 v[124:125], v[128:129], v[130:131]
	s_andn2_b64 exec, exec, s[0:1]
	s_cbranch_execnz .LBB123_153
; %bb.154:
	s_or_b64 exec, exec, s[0:1]
.LBB123_155:
	s_or_b64 exec, exec, s[8:9]
	v_mov_b32_e32 v126, 0
	ds_read_b64 v[126:127], v126 offset:344
	s_waitcnt lgkmcnt(0)
	v_mul_f64 v[124:125], v[124:125], v[126:127]
	scratch_store_dwordx2 off, v[124:125], off offset:344
.LBB123_156:
	s_or_b64 exec, exec, s[4:5]
	scratch_load_dwordx2 v[124:125], off, off offset:336
	v_cmp_lt_u32_e64 s[0:1], 42, v0
	s_waitcnt vmcnt(0)
	ds_write_b64 v1, v[124:125]
	s_waitcnt lgkmcnt(0)
	; wave barrier
	s_and_saveexec_b64 s[4:5], s[0:1]
	s_cbranch_execz .LBB123_166
; %bb.157:
	s_andn2_b64 vcc, exec, s[6:7]
	s_cbranch_vccnz .LBB123_159
; %bb.158:
	scratch_load_dwordx2 v[124:125], v19, off
	ds_read_b64 v[126:127], v1
	s_waitcnt vmcnt(0) lgkmcnt(0)
	v_mul_f64 v[124:125], v[124:125], v[126:127]
	s_cbranch_execz .LBB123_160
	s_branch .LBB123_161
.LBB123_159:
                                        ; implicit-def: $vgpr124_vgpr125
.LBB123_160:
	ds_read_b64 v[124:125], v1
.LBB123_161:
	s_and_saveexec_b64 s[8:9], s[2:3]
	s_cbranch_execz .LBB123_165
; %bb.162:
	v_subrev_u32_e32 v126, 43, v0
	s_movk_i32 s54, 0x338
	s_mov_b64 s[2:3], 0
.LBB123_163:                            ; =>This Inner Loop Header: Depth=1
	scratch_load_dwordx2 v[128:129], off, s53
	v_mov_b32_e32 v127, s54
	ds_read_b64 v[130:131], v127
	v_add_u32_e32 v126, -1, v126
	s_add_i32 s54, s54, 8
	s_add_i32 s53, s53, 8
	v_cmp_eq_u32_e32 vcc, 0, v126
	s_or_b64 s[2:3], vcc, s[2:3]
	s_waitcnt vmcnt(0) lgkmcnt(0)
	v_fmac_f64_e32 v[124:125], v[128:129], v[130:131]
	s_andn2_b64 exec, exec, s[2:3]
	s_cbranch_execnz .LBB123_163
; %bb.164:
	s_or_b64 exec, exec, s[2:3]
.LBB123_165:
	s_or_b64 exec, exec, s[8:9]
	v_mov_b32_e32 v126, 0
	ds_read_b64 v[126:127], v126 offset:336
	s_waitcnt lgkmcnt(0)
	v_mul_f64 v[124:125], v[124:125], v[126:127]
	scratch_store_dwordx2 off, v[124:125], off offset:336
.LBB123_166:
	s_or_b64 exec, exec, s[4:5]
	scratch_load_dwordx2 v[124:125], off, off offset:328
	v_cmp_lt_u32_e64 s[2:3], 41, v0
	s_waitcnt vmcnt(0)
	ds_write_b64 v1, v[124:125]
	s_waitcnt lgkmcnt(0)
	; wave barrier
	s_and_saveexec_b64 s[4:5], s[2:3]
	s_cbranch_execz .LBB123_176
; %bb.167:
	s_andn2_b64 vcc, exec, s[6:7]
	s_cbranch_vccnz .LBB123_169
; %bb.168:
	scratch_load_dwordx2 v[124:125], v19, off
	ds_read_b64 v[126:127], v1
	s_waitcnt vmcnt(0) lgkmcnt(0)
	v_mul_f64 v[124:125], v[124:125], v[126:127]
	s_cbranch_execz .LBB123_170
	s_branch .LBB123_171
.LBB123_169:
                                        ; implicit-def: $vgpr124_vgpr125
.LBB123_170:
	ds_read_b64 v[124:125], v1
.LBB123_171:
	s_and_saveexec_b64 s[8:9], s[0:1]
	s_cbranch_execz .LBB123_175
; %bb.172:
	v_subrev_u32_e32 v126, 42, v0
	s_movk_i32 s53, 0x330
	s_mov_b64 s[0:1], 0
.LBB123_173:                            ; =>This Inner Loop Header: Depth=1
	scratch_load_dwordx2 v[128:129], off, s52
	v_mov_b32_e32 v127, s53
	ds_read_b64 v[130:131], v127
	v_add_u32_e32 v126, -1, v126
	s_add_i32 s53, s53, 8
	s_add_i32 s52, s52, 8
	v_cmp_eq_u32_e32 vcc, 0, v126
	s_or_b64 s[0:1], vcc, s[0:1]
	s_waitcnt vmcnt(0) lgkmcnt(0)
	v_fmac_f64_e32 v[124:125], v[128:129], v[130:131]
	s_andn2_b64 exec, exec, s[0:1]
	s_cbranch_execnz .LBB123_173
; %bb.174:
	s_or_b64 exec, exec, s[0:1]
.LBB123_175:
	s_or_b64 exec, exec, s[8:9]
	v_mov_b32_e32 v126, 0
	ds_read_b64 v[126:127], v126 offset:328
	s_waitcnt lgkmcnt(0)
	v_mul_f64 v[124:125], v[124:125], v[126:127]
	scratch_store_dwordx2 off, v[124:125], off offset:328
.LBB123_176:
	s_or_b64 exec, exec, s[4:5]
	scratch_load_dwordx2 v[124:125], off, off offset:320
	v_cmp_lt_u32_e64 s[0:1], 40, v0
	s_waitcnt vmcnt(0)
	ds_write_b64 v1, v[124:125]
	s_waitcnt lgkmcnt(0)
	; wave barrier
	s_and_saveexec_b64 s[4:5], s[0:1]
	s_cbranch_execz .LBB123_186
; %bb.177:
	s_andn2_b64 vcc, exec, s[6:7]
	s_cbranch_vccnz .LBB123_179
; %bb.178:
	scratch_load_dwordx2 v[124:125], v19, off
	ds_read_b64 v[126:127], v1
	s_waitcnt vmcnt(0) lgkmcnt(0)
	v_mul_f64 v[124:125], v[124:125], v[126:127]
	s_cbranch_execz .LBB123_180
	s_branch .LBB123_181
.LBB123_179:
                                        ; implicit-def: $vgpr124_vgpr125
.LBB123_180:
	ds_read_b64 v[124:125], v1
.LBB123_181:
	s_and_saveexec_b64 s[8:9], s[2:3]
	s_cbranch_execz .LBB123_185
; %bb.182:
	v_subrev_u32_e32 v126, 41, v0
	s_movk_i32 s52, 0x328
	s_mov_b64 s[2:3], 0
.LBB123_183:                            ; =>This Inner Loop Header: Depth=1
	scratch_load_dwordx2 v[128:129], off, s51
	v_mov_b32_e32 v127, s52
	ds_read_b64 v[130:131], v127
	v_add_u32_e32 v126, -1, v126
	s_add_i32 s52, s52, 8
	s_add_i32 s51, s51, 8
	v_cmp_eq_u32_e32 vcc, 0, v126
	s_or_b64 s[2:3], vcc, s[2:3]
	s_waitcnt vmcnt(0) lgkmcnt(0)
	v_fmac_f64_e32 v[124:125], v[128:129], v[130:131]
	s_andn2_b64 exec, exec, s[2:3]
	s_cbranch_execnz .LBB123_183
; %bb.184:
	s_or_b64 exec, exec, s[2:3]
.LBB123_185:
	s_or_b64 exec, exec, s[8:9]
	v_mov_b32_e32 v126, 0
	ds_read_b64 v[126:127], v126 offset:320
	s_waitcnt lgkmcnt(0)
	v_mul_f64 v[124:125], v[124:125], v[126:127]
	scratch_store_dwordx2 off, v[124:125], off offset:320
.LBB123_186:
	s_or_b64 exec, exec, s[4:5]
	scratch_load_dwordx2 v[124:125], off, off offset:312
	v_cmp_lt_u32_e64 s[2:3], 39, v0
	s_waitcnt vmcnt(0)
	ds_write_b64 v1, v[124:125]
	s_waitcnt lgkmcnt(0)
	; wave barrier
	s_and_saveexec_b64 s[4:5], s[2:3]
	s_cbranch_execz .LBB123_196
; %bb.187:
	s_andn2_b64 vcc, exec, s[6:7]
	s_cbranch_vccnz .LBB123_189
; %bb.188:
	scratch_load_dwordx2 v[124:125], v19, off
	ds_read_b64 v[126:127], v1
	s_waitcnt vmcnt(0) lgkmcnt(0)
	v_mul_f64 v[124:125], v[124:125], v[126:127]
	s_cbranch_execz .LBB123_190
	s_branch .LBB123_191
.LBB123_189:
                                        ; implicit-def: $vgpr124_vgpr125
.LBB123_190:
	ds_read_b64 v[124:125], v1
.LBB123_191:
	s_and_saveexec_b64 s[8:9], s[0:1]
	s_cbranch_execz .LBB123_195
; %bb.192:
	v_subrev_u32_e32 v126, 40, v0
	s_movk_i32 s51, 0x320
	s_mov_b64 s[0:1], 0
.LBB123_193:                            ; =>This Inner Loop Header: Depth=1
	scratch_load_dwordx2 v[128:129], off, s50
	v_mov_b32_e32 v127, s51
	ds_read_b64 v[130:131], v127
	v_add_u32_e32 v126, -1, v126
	s_add_i32 s51, s51, 8
	s_add_i32 s50, s50, 8
	v_cmp_eq_u32_e32 vcc, 0, v126
	s_or_b64 s[0:1], vcc, s[0:1]
	s_waitcnt vmcnt(0) lgkmcnt(0)
	v_fmac_f64_e32 v[124:125], v[128:129], v[130:131]
	s_andn2_b64 exec, exec, s[0:1]
	s_cbranch_execnz .LBB123_193
; %bb.194:
	s_or_b64 exec, exec, s[0:1]
.LBB123_195:
	s_or_b64 exec, exec, s[8:9]
	v_mov_b32_e32 v126, 0
	ds_read_b64 v[126:127], v126 offset:312
	s_waitcnt lgkmcnt(0)
	v_mul_f64 v[124:125], v[124:125], v[126:127]
	scratch_store_dwordx2 off, v[124:125], off offset:312
.LBB123_196:
	s_or_b64 exec, exec, s[4:5]
	scratch_load_dwordx2 v[124:125], off, off offset:304
	v_cmp_lt_u32_e64 s[0:1], 38, v0
	s_waitcnt vmcnt(0)
	ds_write_b64 v1, v[124:125]
	s_waitcnt lgkmcnt(0)
	; wave barrier
	s_and_saveexec_b64 s[4:5], s[0:1]
	s_cbranch_execz .LBB123_206
; %bb.197:
	s_andn2_b64 vcc, exec, s[6:7]
	s_cbranch_vccnz .LBB123_199
; %bb.198:
	scratch_load_dwordx2 v[124:125], v19, off
	ds_read_b64 v[126:127], v1
	s_waitcnt vmcnt(0) lgkmcnt(0)
	v_mul_f64 v[124:125], v[124:125], v[126:127]
	s_cbranch_execz .LBB123_200
	s_branch .LBB123_201
.LBB123_199:
                                        ; implicit-def: $vgpr124_vgpr125
.LBB123_200:
	ds_read_b64 v[124:125], v1
.LBB123_201:
	s_and_saveexec_b64 s[8:9], s[2:3]
	s_cbranch_execz .LBB123_205
; %bb.202:
	v_subrev_u32_e32 v126, 39, v0
	s_movk_i32 s50, 0x318
	s_mov_b64 s[2:3], 0
.LBB123_203:                            ; =>This Inner Loop Header: Depth=1
	scratch_load_dwordx2 v[128:129], off, s49
	v_mov_b32_e32 v127, s50
	ds_read_b64 v[130:131], v127
	v_add_u32_e32 v126, -1, v126
	s_add_i32 s50, s50, 8
	s_add_i32 s49, s49, 8
	v_cmp_eq_u32_e32 vcc, 0, v126
	s_or_b64 s[2:3], vcc, s[2:3]
	s_waitcnt vmcnt(0) lgkmcnt(0)
	v_fmac_f64_e32 v[124:125], v[128:129], v[130:131]
	s_andn2_b64 exec, exec, s[2:3]
	s_cbranch_execnz .LBB123_203
; %bb.204:
	s_or_b64 exec, exec, s[2:3]
.LBB123_205:
	s_or_b64 exec, exec, s[8:9]
	v_mov_b32_e32 v126, 0
	ds_read_b64 v[126:127], v126 offset:304
	s_waitcnt lgkmcnt(0)
	v_mul_f64 v[124:125], v[124:125], v[126:127]
	scratch_store_dwordx2 off, v[124:125], off offset:304
.LBB123_206:
	s_or_b64 exec, exec, s[4:5]
	scratch_load_dwordx2 v[124:125], off, off offset:296
	v_cmp_lt_u32_e64 s[2:3], 37, v0
	s_waitcnt vmcnt(0)
	ds_write_b64 v1, v[124:125]
	s_waitcnt lgkmcnt(0)
	; wave barrier
	s_and_saveexec_b64 s[4:5], s[2:3]
	s_cbranch_execz .LBB123_216
; %bb.207:
	s_andn2_b64 vcc, exec, s[6:7]
	s_cbranch_vccnz .LBB123_209
; %bb.208:
	scratch_load_dwordx2 v[124:125], v19, off
	ds_read_b64 v[126:127], v1
	s_waitcnt vmcnt(0) lgkmcnt(0)
	v_mul_f64 v[124:125], v[124:125], v[126:127]
	s_cbranch_execz .LBB123_210
	s_branch .LBB123_211
.LBB123_209:
                                        ; implicit-def: $vgpr124_vgpr125
.LBB123_210:
	ds_read_b64 v[124:125], v1
.LBB123_211:
	s_and_saveexec_b64 s[8:9], s[0:1]
	s_cbranch_execz .LBB123_215
; %bb.212:
	v_subrev_u32_e32 v126, 38, v0
	s_movk_i32 s49, 0x310
	s_mov_b64 s[0:1], 0
.LBB123_213:                            ; =>This Inner Loop Header: Depth=1
	scratch_load_dwordx2 v[128:129], off, s48
	v_mov_b32_e32 v127, s49
	ds_read_b64 v[130:131], v127
	v_add_u32_e32 v126, -1, v126
	s_add_i32 s49, s49, 8
	s_add_i32 s48, s48, 8
	v_cmp_eq_u32_e32 vcc, 0, v126
	s_or_b64 s[0:1], vcc, s[0:1]
	s_waitcnt vmcnt(0) lgkmcnt(0)
	v_fmac_f64_e32 v[124:125], v[128:129], v[130:131]
	s_andn2_b64 exec, exec, s[0:1]
	s_cbranch_execnz .LBB123_213
; %bb.214:
	s_or_b64 exec, exec, s[0:1]
.LBB123_215:
	s_or_b64 exec, exec, s[8:9]
	v_mov_b32_e32 v126, 0
	ds_read_b64 v[126:127], v126 offset:296
	s_waitcnt lgkmcnt(0)
	v_mul_f64 v[124:125], v[124:125], v[126:127]
	scratch_store_dwordx2 off, v[124:125], off offset:296
.LBB123_216:
	s_or_b64 exec, exec, s[4:5]
	scratch_load_dwordx2 v[124:125], off, off offset:288
	v_cmp_lt_u32_e64 s[0:1], 36, v0
	s_waitcnt vmcnt(0)
	ds_write_b64 v1, v[124:125]
	s_waitcnt lgkmcnt(0)
	; wave barrier
	s_and_saveexec_b64 s[4:5], s[0:1]
	s_cbranch_execz .LBB123_226
; %bb.217:
	s_andn2_b64 vcc, exec, s[6:7]
	s_cbranch_vccnz .LBB123_219
; %bb.218:
	scratch_load_dwordx2 v[124:125], v19, off
	ds_read_b64 v[126:127], v1
	s_waitcnt vmcnt(0) lgkmcnt(0)
	v_mul_f64 v[124:125], v[124:125], v[126:127]
	s_cbranch_execz .LBB123_220
	s_branch .LBB123_221
.LBB123_219:
                                        ; implicit-def: $vgpr124_vgpr125
.LBB123_220:
	ds_read_b64 v[124:125], v1
.LBB123_221:
	s_and_saveexec_b64 s[8:9], s[2:3]
	s_cbranch_execz .LBB123_225
; %bb.222:
	v_subrev_u32_e32 v126, 37, v0
	s_movk_i32 s48, 0x308
	s_mov_b64 s[2:3], 0
.LBB123_223:                            ; =>This Inner Loop Header: Depth=1
	scratch_load_dwordx2 v[128:129], off, s47
	v_mov_b32_e32 v127, s48
	ds_read_b64 v[130:131], v127
	v_add_u32_e32 v126, -1, v126
	s_add_i32 s48, s48, 8
	s_add_i32 s47, s47, 8
	v_cmp_eq_u32_e32 vcc, 0, v126
	s_or_b64 s[2:3], vcc, s[2:3]
	s_waitcnt vmcnt(0) lgkmcnt(0)
	v_fmac_f64_e32 v[124:125], v[128:129], v[130:131]
	s_andn2_b64 exec, exec, s[2:3]
	s_cbranch_execnz .LBB123_223
; %bb.224:
	s_or_b64 exec, exec, s[2:3]
.LBB123_225:
	s_or_b64 exec, exec, s[8:9]
	v_mov_b32_e32 v126, 0
	ds_read_b64 v[126:127], v126 offset:288
	s_waitcnt lgkmcnt(0)
	v_mul_f64 v[124:125], v[124:125], v[126:127]
	scratch_store_dwordx2 off, v[124:125], off offset:288
.LBB123_226:
	s_or_b64 exec, exec, s[4:5]
	scratch_load_dwordx2 v[124:125], off, off offset:280
	v_cmp_lt_u32_e64 s[2:3], 35, v0
	s_waitcnt vmcnt(0)
	ds_write_b64 v1, v[124:125]
	s_waitcnt lgkmcnt(0)
	; wave barrier
	s_and_saveexec_b64 s[4:5], s[2:3]
	s_cbranch_execz .LBB123_236
; %bb.227:
	s_andn2_b64 vcc, exec, s[6:7]
	s_cbranch_vccnz .LBB123_229
; %bb.228:
	scratch_load_dwordx2 v[124:125], v19, off
	ds_read_b64 v[126:127], v1
	s_waitcnt vmcnt(0) lgkmcnt(0)
	v_mul_f64 v[124:125], v[124:125], v[126:127]
	s_cbranch_execz .LBB123_230
	s_branch .LBB123_231
.LBB123_229:
                                        ; implicit-def: $vgpr124_vgpr125
.LBB123_230:
	ds_read_b64 v[124:125], v1
.LBB123_231:
	s_and_saveexec_b64 s[8:9], s[0:1]
	s_cbranch_execz .LBB123_235
; %bb.232:
	v_subrev_u32_e32 v126, 36, v0
	s_movk_i32 s47, 0x300
	s_mov_b64 s[0:1], 0
.LBB123_233:                            ; =>This Inner Loop Header: Depth=1
	scratch_load_dwordx2 v[128:129], off, s46
	v_mov_b32_e32 v127, s47
	ds_read_b64 v[130:131], v127
	v_add_u32_e32 v126, -1, v126
	s_add_i32 s47, s47, 8
	s_add_i32 s46, s46, 8
	v_cmp_eq_u32_e32 vcc, 0, v126
	s_or_b64 s[0:1], vcc, s[0:1]
	s_waitcnt vmcnt(0) lgkmcnt(0)
	v_fmac_f64_e32 v[124:125], v[128:129], v[130:131]
	s_andn2_b64 exec, exec, s[0:1]
	s_cbranch_execnz .LBB123_233
; %bb.234:
	s_or_b64 exec, exec, s[0:1]
.LBB123_235:
	s_or_b64 exec, exec, s[8:9]
	v_mov_b32_e32 v126, 0
	ds_read_b64 v[126:127], v126 offset:280
	s_waitcnt lgkmcnt(0)
	v_mul_f64 v[124:125], v[124:125], v[126:127]
	scratch_store_dwordx2 off, v[124:125], off offset:280
.LBB123_236:
	s_or_b64 exec, exec, s[4:5]
	scratch_load_dwordx2 v[124:125], off, off offset:272
	v_cmp_lt_u32_e64 s[0:1], 34, v0
	s_waitcnt vmcnt(0)
	ds_write_b64 v1, v[124:125]
	s_waitcnt lgkmcnt(0)
	; wave barrier
	s_and_saveexec_b64 s[4:5], s[0:1]
	s_cbranch_execz .LBB123_246
; %bb.237:
	s_andn2_b64 vcc, exec, s[6:7]
	s_cbranch_vccnz .LBB123_239
; %bb.238:
	scratch_load_dwordx2 v[124:125], v19, off
	ds_read_b64 v[126:127], v1
	s_waitcnt vmcnt(0) lgkmcnt(0)
	v_mul_f64 v[124:125], v[124:125], v[126:127]
	s_cbranch_execz .LBB123_240
	s_branch .LBB123_241
.LBB123_239:
                                        ; implicit-def: $vgpr124_vgpr125
.LBB123_240:
	ds_read_b64 v[124:125], v1
.LBB123_241:
	s_and_saveexec_b64 s[8:9], s[2:3]
	s_cbranch_execz .LBB123_245
; %bb.242:
	v_subrev_u32_e32 v126, 35, v0
	s_movk_i32 s46, 0x2f8
	s_mov_b64 s[2:3], 0
.LBB123_243:                            ; =>This Inner Loop Header: Depth=1
	scratch_load_dwordx2 v[128:129], off, s45
	v_mov_b32_e32 v127, s46
	ds_read_b64 v[130:131], v127
	v_add_u32_e32 v126, -1, v126
	s_add_i32 s46, s46, 8
	s_add_i32 s45, s45, 8
	v_cmp_eq_u32_e32 vcc, 0, v126
	s_or_b64 s[2:3], vcc, s[2:3]
	s_waitcnt vmcnt(0) lgkmcnt(0)
	v_fmac_f64_e32 v[124:125], v[128:129], v[130:131]
	s_andn2_b64 exec, exec, s[2:3]
	s_cbranch_execnz .LBB123_243
; %bb.244:
	s_or_b64 exec, exec, s[2:3]
.LBB123_245:
	s_or_b64 exec, exec, s[8:9]
	v_mov_b32_e32 v126, 0
	ds_read_b64 v[126:127], v126 offset:272
	s_waitcnt lgkmcnt(0)
	v_mul_f64 v[124:125], v[124:125], v[126:127]
	scratch_store_dwordx2 off, v[124:125], off offset:272
.LBB123_246:
	s_or_b64 exec, exec, s[4:5]
	scratch_load_dwordx2 v[124:125], off, off offset:264
	v_cmp_lt_u32_e64 s[2:3], 33, v0
	s_waitcnt vmcnt(0)
	ds_write_b64 v1, v[124:125]
	s_waitcnt lgkmcnt(0)
	; wave barrier
	s_and_saveexec_b64 s[4:5], s[2:3]
	s_cbranch_execz .LBB123_256
; %bb.247:
	s_andn2_b64 vcc, exec, s[6:7]
	s_cbranch_vccnz .LBB123_249
; %bb.248:
	scratch_load_dwordx2 v[124:125], v19, off
	ds_read_b64 v[126:127], v1
	s_waitcnt vmcnt(0) lgkmcnt(0)
	v_mul_f64 v[124:125], v[124:125], v[126:127]
	s_cbranch_execz .LBB123_250
	s_branch .LBB123_251
.LBB123_249:
                                        ; implicit-def: $vgpr124_vgpr125
.LBB123_250:
	ds_read_b64 v[124:125], v1
.LBB123_251:
	s_and_saveexec_b64 s[8:9], s[0:1]
	s_cbranch_execz .LBB123_255
; %bb.252:
	v_subrev_u32_e32 v126, 34, v0
	s_movk_i32 s45, 0x2f0
	s_mov_b64 s[0:1], 0
.LBB123_253:                            ; =>This Inner Loop Header: Depth=1
	scratch_load_dwordx2 v[128:129], off, s44
	v_mov_b32_e32 v127, s45
	ds_read_b64 v[130:131], v127
	v_add_u32_e32 v126, -1, v126
	s_add_i32 s45, s45, 8
	s_add_i32 s44, s44, 8
	v_cmp_eq_u32_e32 vcc, 0, v126
	s_or_b64 s[0:1], vcc, s[0:1]
	s_waitcnt vmcnt(0) lgkmcnt(0)
	v_fmac_f64_e32 v[124:125], v[128:129], v[130:131]
	s_andn2_b64 exec, exec, s[0:1]
	s_cbranch_execnz .LBB123_253
; %bb.254:
	s_or_b64 exec, exec, s[0:1]
.LBB123_255:
	s_or_b64 exec, exec, s[8:9]
	v_mov_b32_e32 v126, 0
	ds_read_b64 v[126:127], v126 offset:264
	s_waitcnt lgkmcnt(0)
	v_mul_f64 v[124:125], v[124:125], v[126:127]
	scratch_store_dwordx2 off, v[124:125], off offset:264
.LBB123_256:
	s_or_b64 exec, exec, s[4:5]
	scratch_load_dwordx2 v[124:125], off, off offset:256
	v_cmp_lt_u32_e64 s[0:1], 32, v0
	s_waitcnt vmcnt(0)
	ds_write_b64 v1, v[124:125]
	s_waitcnt lgkmcnt(0)
	; wave barrier
	s_and_saveexec_b64 s[4:5], s[0:1]
	s_cbranch_execz .LBB123_266
; %bb.257:
	s_andn2_b64 vcc, exec, s[6:7]
	s_cbranch_vccnz .LBB123_259
; %bb.258:
	scratch_load_dwordx2 v[124:125], v19, off
	ds_read_b64 v[126:127], v1
	s_waitcnt vmcnt(0) lgkmcnt(0)
	v_mul_f64 v[124:125], v[124:125], v[126:127]
	s_cbranch_execz .LBB123_260
	s_branch .LBB123_261
.LBB123_259:
                                        ; implicit-def: $vgpr124_vgpr125
.LBB123_260:
	ds_read_b64 v[124:125], v1
.LBB123_261:
	s_and_saveexec_b64 s[8:9], s[2:3]
	s_cbranch_execz .LBB123_265
; %bb.262:
	v_subrev_u32_e32 v126, 33, v0
	s_movk_i32 s44, 0x2e8
	s_mov_b64 s[2:3], 0
.LBB123_263:                            ; =>This Inner Loop Header: Depth=1
	scratch_load_dwordx2 v[128:129], off, s43
	v_mov_b32_e32 v127, s44
	ds_read_b64 v[130:131], v127
	v_add_u32_e32 v126, -1, v126
	s_add_i32 s44, s44, 8
	s_add_i32 s43, s43, 8
	v_cmp_eq_u32_e32 vcc, 0, v126
	s_or_b64 s[2:3], vcc, s[2:3]
	s_waitcnt vmcnt(0) lgkmcnt(0)
	v_fmac_f64_e32 v[124:125], v[128:129], v[130:131]
	s_andn2_b64 exec, exec, s[2:3]
	s_cbranch_execnz .LBB123_263
; %bb.264:
	s_or_b64 exec, exec, s[2:3]
.LBB123_265:
	s_or_b64 exec, exec, s[8:9]
	v_mov_b32_e32 v126, 0
	ds_read_b64 v[126:127], v126 offset:256
	s_waitcnt lgkmcnt(0)
	v_mul_f64 v[124:125], v[124:125], v[126:127]
	scratch_store_dwordx2 off, v[124:125], off offset:256
.LBB123_266:
	s_or_b64 exec, exec, s[4:5]
	scratch_load_dwordx2 v[124:125], off, off offset:248
	v_cmp_lt_u32_e64 s[2:3], 31, v0
	s_waitcnt vmcnt(0)
	ds_write_b64 v1, v[124:125]
	s_waitcnt lgkmcnt(0)
	; wave barrier
	s_and_saveexec_b64 s[4:5], s[2:3]
	s_cbranch_execz .LBB123_276
; %bb.267:
	s_andn2_b64 vcc, exec, s[6:7]
	s_cbranch_vccnz .LBB123_269
; %bb.268:
	scratch_load_dwordx2 v[124:125], v19, off
	ds_read_b64 v[126:127], v1
	s_waitcnt vmcnt(0) lgkmcnt(0)
	v_mul_f64 v[124:125], v[124:125], v[126:127]
	s_cbranch_execz .LBB123_270
	s_branch .LBB123_271
.LBB123_269:
                                        ; implicit-def: $vgpr124_vgpr125
.LBB123_270:
	ds_read_b64 v[124:125], v1
.LBB123_271:
	s_and_saveexec_b64 s[8:9], s[0:1]
	s_cbranch_execz .LBB123_275
; %bb.272:
	v_subrev_u32_e32 v126, 32, v0
	s_movk_i32 s43, 0x2e0
	s_mov_b64 s[0:1], 0
.LBB123_273:                            ; =>This Inner Loop Header: Depth=1
	scratch_load_dwordx2 v[128:129], off, s42
	v_mov_b32_e32 v127, s43
	ds_read_b64 v[130:131], v127
	v_add_u32_e32 v126, -1, v126
	s_add_i32 s43, s43, 8
	s_add_i32 s42, s42, 8
	v_cmp_eq_u32_e32 vcc, 0, v126
	s_or_b64 s[0:1], vcc, s[0:1]
	s_waitcnt vmcnt(0) lgkmcnt(0)
	v_fmac_f64_e32 v[124:125], v[128:129], v[130:131]
	s_andn2_b64 exec, exec, s[0:1]
	s_cbranch_execnz .LBB123_273
; %bb.274:
	s_or_b64 exec, exec, s[0:1]
.LBB123_275:
	s_or_b64 exec, exec, s[8:9]
	v_mov_b32_e32 v126, 0
	ds_read_b64 v[126:127], v126 offset:248
	s_waitcnt lgkmcnt(0)
	v_mul_f64 v[124:125], v[124:125], v[126:127]
	scratch_store_dwordx2 off, v[124:125], off offset:248
.LBB123_276:
	s_or_b64 exec, exec, s[4:5]
	scratch_load_dwordx2 v[124:125], off, off offset:240
	v_cmp_lt_u32_e64 s[0:1], 30, v0
	s_waitcnt vmcnt(0)
	ds_write_b64 v1, v[124:125]
	s_waitcnt lgkmcnt(0)
	; wave barrier
	s_and_saveexec_b64 s[4:5], s[0:1]
	s_cbranch_execz .LBB123_286
; %bb.277:
	s_andn2_b64 vcc, exec, s[6:7]
	s_cbranch_vccnz .LBB123_279
; %bb.278:
	scratch_load_dwordx2 v[124:125], v19, off
	ds_read_b64 v[126:127], v1
	s_waitcnt vmcnt(0) lgkmcnt(0)
	v_mul_f64 v[124:125], v[124:125], v[126:127]
	s_cbranch_execz .LBB123_280
	s_branch .LBB123_281
.LBB123_279:
                                        ; implicit-def: $vgpr124_vgpr125
.LBB123_280:
	ds_read_b64 v[124:125], v1
.LBB123_281:
	s_and_saveexec_b64 s[8:9], s[2:3]
	s_cbranch_execz .LBB123_285
; %bb.282:
	v_subrev_u32_e32 v126, 31, v0
	s_movk_i32 s42, 0x2d8
	s_mov_b64 s[2:3], 0
.LBB123_283:                            ; =>This Inner Loop Header: Depth=1
	scratch_load_dwordx2 v[128:129], off, s41
	v_mov_b32_e32 v127, s42
	ds_read_b64 v[130:131], v127
	v_add_u32_e32 v126, -1, v126
	s_add_i32 s42, s42, 8
	s_add_i32 s41, s41, 8
	v_cmp_eq_u32_e32 vcc, 0, v126
	s_or_b64 s[2:3], vcc, s[2:3]
	s_waitcnt vmcnt(0) lgkmcnt(0)
	v_fmac_f64_e32 v[124:125], v[128:129], v[130:131]
	s_andn2_b64 exec, exec, s[2:3]
	s_cbranch_execnz .LBB123_283
; %bb.284:
	s_or_b64 exec, exec, s[2:3]
.LBB123_285:
	s_or_b64 exec, exec, s[8:9]
	v_mov_b32_e32 v126, 0
	ds_read_b64 v[126:127], v126 offset:240
	s_waitcnt lgkmcnt(0)
	v_mul_f64 v[124:125], v[124:125], v[126:127]
	scratch_store_dwordx2 off, v[124:125], off offset:240
.LBB123_286:
	s_or_b64 exec, exec, s[4:5]
	scratch_load_dwordx2 v[124:125], off, off offset:232
	v_cmp_lt_u32_e64 s[2:3], 29, v0
	s_waitcnt vmcnt(0)
	ds_write_b64 v1, v[124:125]
	s_waitcnt lgkmcnt(0)
	; wave barrier
	s_and_saveexec_b64 s[4:5], s[2:3]
	s_cbranch_execz .LBB123_296
; %bb.287:
	s_andn2_b64 vcc, exec, s[6:7]
	s_cbranch_vccnz .LBB123_289
; %bb.288:
	scratch_load_dwordx2 v[124:125], v19, off
	ds_read_b64 v[126:127], v1
	s_waitcnt vmcnt(0) lgkmcnt(0)
	v_mul_f64 v[124:125], v[124:125], v[126:127]
	s_cbranch_execz .LBB123_290
	s_branch .LBB123_291
.LBB123_289:
                                        ; implicit-def: $vgpr124_vgpr125
.LBB123_290:
	ds_read_b64 v[124:125], v1
.LBB123_291:
	s_and_saveexec_b64 s[8:9], s[0:1]
	s_cbranch_execz .LBB123_295
; %bb.292:
	v_subrev_u32_e32 v126, 30, v0
	s_movk_i32 s41, 0x2d0
	s_mov_b64 s[0:1], 0
.LBB123_293:                            ; =>This Inner Loop Header: Depth=1
	scratch_load_dwordx2 v[128:129], off, s40
	v_mov_b32_e32 v127, s41
	ds_read_b64 v[130:131], v127
	v_add_u32_e32 v126, -1, v126
	s_add_i32 s41, s41, 8
	s_add_i32 s40, s40, 8
	v_cmp_eq_u32_e32 vcc, 0, v126
	s_or_b64 s[0:1], vcc, s[0:1]
	s_waitcnt vmcnt(0) lgkmcnt(0)
	v_fmac_f64_e32 v[124:125], v[128:129], v[130:131]
	s_andn2_b64 exec, exec, s[0:1]
	s_cbranch_execnz .LBB123_293
; %bb.294:
	s_or_b64 exec, exec, s[0:1]
.LBB123_295:
	s_or_b64 exec, exec, s[8:9]
	v_mov_b32_e32 v126, 0
	ds_read_b64 v[126:127], v126 offset:232
	s_waitcnt lgkmcnt(0)
	v_mul_f64 v[124:125], v[124:125], v[126:127]
	scratch_store_dwordx2 off, v[124:125], off offset:232
.LBB123_296:
	s_or_b64 exec, exec, s[4:5]
	scratch_load_dwordx2 v[124:125], off, off offset:224
	v_cmp_lt_u32_e64 s[0:1], 28, v0
	s_waitcnt vmcnt(0)
	ds_write_b64 v1, v[124:125]
	s_waitcnt lgkmcnt(0)
	; wave barrier
	s_and_saveexec_b64 s[4:5], s[0:1]
	s_cbranch_execz .LBB123_306
; %bb.297:
	s_andn2_b64 vcc, exec, s[6:7]
	s_cbranch_vccnz .LBB123_299
; %bb.298:
	scratch_load_dwordx2 v[124:125], v19, off
	ds_read_b64 v[126:127], v1
	s_waitcnt vmcnt(0) lgkmcnt(0)
	v_mul_f64 v[124:125], v[124:125], v[126:127]
	s_cbranch_execz .LBB123_300
	s_branch .LBB123_301
.LBB123_299:
                                        ; implicit-def: $vgpr124_vgpr125
.LBB123_300:
	ds_read_b64 v[124:125], v1
.LBB123_301:
	s_and_saveexec_b64 s[8:9], s[2:3]
	s_cbranch_execz .LBB123_305
; %bb.302:
	v_subrev_u32_e32 v126, 29, v0
	s_movk_i32 s40, 0x2c8
	s_mov_b64 s[2:3], 0
.LBB123_303:                            ; =>This Inner Loop Header: Depth=1
	scratch_load_dwordx2 v[128:129], off, s39
	v_mov_b32_e32 v127, s40
	ds_read_b64 v[130:131], v127
	v_add_u32_e32 v126, -1, v126
	s_add_i32 s40, s40, 8
	s_add_i32 s39, s39, 8
	v_cmp_eq_u32_e32 vcc, 0, v126
	s_or_b64 s[2:3], vcc, s[2:3]
	s_waitcnt vmcnt(0) lgkmcnt(0)
	v_fmac_f64_e32 v[124:125], v[128:129], v[130:131]
	s_andn2_b64 exec, exec, s[2:3]
	s_cbranch_execnz .LBB123_303
; %bb.304:
	s_or_b64 exec, exec, s[2:3]
.LBB123_305:
	s_or_b64 exec, exec, s[8:9]
	v_mov_b32_e32 v126, 0
	ds_read_b64 v[126:127], v126 offset:224
	s_waitcnt lgkmcnt(0)
	v_mul_f64 v[124:125], v[124:125], v[126:127]
	scratch_store_dwordx2 off, v[124:125], off offset:224
.LBB123_306:
	s_or_b64 exec, exec, s[4:5]
	scratch_load_dwordx2 v[124:125], off, off offset:216
	v_cmp_lt_u32_e64 s[2:3], 27, v0
	s_waitcnt vmcnt(0)
	ds_write_b64 v1, v[124:125]
	s_waitcnt lgkmcnt(0)
	; wave barrier
	s_and_saveexec_b64 s[4:5], s[2:3]
	s_cbranch_execz .LBB123_316
; %bb.307:
	s_andn2_b64 vcc, exec, s[6:7]
	s_cbranch_vccnz .LBB123_309
; %bb.308:
	scratch_load_dwordx2 v[124:125], v19, off
	ds_read_b64 v[126:127], v1
	s_waitcnt vmcnt(0) lgkmcnt(0)
	v_mul_f64 v[124:125], v[124:125], v[126:127]
	s_cbranch_execz .LBB123_310
	s_branch .LBB123_311
.LBB123_309:
                                        ; implicit-def: $vgpr124_vgpr125
.LBB123_310:
	ds_read_b64 v[124:125], v1
.LBB123_311:
	s_and_saveexec_b64 s[8:9], s[0:1]
	s_cbranch_execz .LBB123_315
; %bb.312:
	v_subrev_u32_e32 v126, 28, v0
	s_movk_i32 s39, 0x2c0
	s_mov_b64 s[0:1], 0
.LBB123_313:                            ; =>This Inner Loop Header: Depth=1
	scratch_load_dwordx2 v[128:129], off, s38
	v_mov_b32_e32 v127, s39
	ds_read_b64 v[130:131], v127
	v_add_u32_e32 v126, -1, v126
	s_add_i32 s39, s39, 8
	s_add_i32 s38, s38, 8
	v_cmp_eq_u32_e32 vcc, 0, v126
	s_or_b64 s[0:1], vcc, s[0:1]
	s_waitcnt vmcnt(0) lgkmcnt(0)
	v_fmac_f64_e32 v[124:125], v[128:129], v[130:131]
	s_andn2_b64 exec, exec, s[0:1]
	s_cbranch_execnz .LBB123_313
; %bb.314:
	s_or_b64 exec, exec, s[0:1]
.LBB123_315:
	s_or_b64 exec, exec, s[8:9]
	v_mov_b32_e32 v126, 0
	ds_read_b64 v[126:127], v126 offset:216
	s_waitcnt lgkmcnt(0)
	v_mul_f64 v[124:125], v[124:125], v[126:127]
	scratch_store_dwordx2 off, v[124:125], off offset:216
.LBB123_316:
	s_or_b64 exec, exec, s[4:5]
	scratch_load_dwordx2 v[124:125], off, off offset:208
	v_cmp_lt_u32_e64 s[0:1], 26, v0
	s_waitcnt vmcnt(0)
	ds_write_b64 v1, v[124:125]
	s_waitcnt lgkmcnt(0)
	; wave barrier
	s_and_saveexec_b64 s[4:5], s[0:1]
	s_cbranch_execz .LBB123_326
; %bb.317:
	s_andn2_b64 vcc, exec, s[6:7]
	s_cbranch_vccnz .LBB123_319
; %bb.318:
	scratch_load_dwordx2 v[124:125], v19, off
	ds_read_b64 v[126:127], v1
	s_waitcnt vmcnt(0) lgkmcnt(0)
	v_mul_f64 v[124:125], v[124:125], v[126:127]
	s_cbranch_execz .LBB123_320
	s_branch .LBB123_321
.LBB123_319:
                                        ; implicit-def: $vgpr124_vgpr125
.LBB123_320:
	ds_read_b64 v[124:125], v1
.LBB123_321:
	s_and_saveexec_b64 s[8:9], s[2:3]
	s_cbranch_execz .LBB123_325
; %bb.322:
	v_subrev_u32_e32 v126, 27, v0
	s_movk_i32 s38, 0x2b8
	s_mov_b64 s[2:3], 0
.LBB123_323:                            ; =>This Inner Loop Header: Depth=1
	scratch_load_dwordx2 v[128:129], off, s37
	v_mov_b32_e32 v127, s38
	ds_read_b64 v[130:131], v127
	v_add_u32_e32 v126, -1, v126
	s_add_i32 s38, s38, 8
	s_add_i32 s37, s37, 8
	v_cmp_eq_u32_e32 vcc, 0, v126
	s_or_b64 s[2:3], vcc, s[2:3]
	s_waitcnt vmcnt(0) lgkmcnt(0)
	v_fmac_f64_e32 v[124:125], v[128:129], v[130:131]
	s_andn2_b64 exec, exec, s[2:3]
	s_cbranch_execnz .LBB123_323
; %bb.324:
	s_or_b64 exec, exec, s[2:3]
.LBB123_325:
	s_or_b64 exec, exec, s[8:9]
	v_mov_b32_e32 v126, 0
	ds_read_b64 v[126:127], v126 offset:208
	s_waitcnt lgkmcnt(0)
	v_mul_f64 v[124:125], v[124:125], v[126:127]
	scratch_store_dwordx2 off, v[124:125], off offset:208
.LBB123_326:
	s_or_b64 exec, exec, s[4:5]
	scratch_load_dwordx2 v[124:125], off, off offset:200
	v_cmp_lt_u32_e64 s[2:3], 25, v0
	s_waitcnt vmcnt(0)
	ds_write_b64 v1, v[124:125]
	s_waitcnt lgkmcnt(0)
	; wave barrier
	s_and_saveexec_b64 s[4:5], s[2:3]
	s_cbranch_execz .LBB123_336
; %bb.327:
	s_andn2_b64 vcc, exec, s[6:7]
	s_cbranch_vccnz .LBB123_329
; %bb.328:
	scratch_load_dwordx2 v[124:125], v19, off
	ds_read_b64 v[126:127], v1
	s_waitcnt vmcnt(0) lgkmcnt(0)
	v_mul_f64 v[124:125], v[124:125], v[126:127]
	s_cbranch_execz .LBB123_330
	s_branch .LBB123_331
.LBB123_329:
                                        ; implicit-def: $vgpr124_vgpr125
.LBB123_330:
	ds_read_b64 v[124:125], v1
.LBB123_331:
	s_and_saveexec_b64 s[8:9], s[0:1]
	s_cbranch_execz .LBB123_335
; %bb.332:
	v_subrev_u32_e32 v126, 26, v0
	s_movk_i32 s37, 0x2b0
	s_mov_b64 s[0:1], 0
.LBB123_333:                            ; =>This Inner Loop Header: Depth=1
	scratch_load_dwordx2 v[128:129], off, s36
	v_mov_b32_e32 v127, s37
	ds_read_b64 v[130:131], v127
	v_add_u32_e32 v126, -1, v126
	s_add_i32 s37, s37, 8
	s_add_i32 s36, s36, 8
	v_cmp_eq_u32_e32 vcc, 0, v126
	s_or_b64 s[0:1], vcc, s[0:1]
	s_waitcnt vmcnt(0) lgkmcnt(0)
	v_fmac_f64_e32 v[124:125], v[128:129], v[130:131]
	s_andn2_b64 exec, exec, s[0:1]
	s_cbranch_execnz .LBB123_333
; %bb.334:
	s_or_b64 exec, exec, s[0:1]
.LBB123_335:
	s_or_b64 exec, exec, s[8:9]
	v_mov_b32_e32 v126, 0
	ds_read_b64 v[126:127], v126 offset:200
	s_waitcnt lgkmcnt(0)
	v_mul_f64 v[124:125], v[124:125], v[126:127]
	scratch_store_dwordx2 off, v[124:125], off offset:200
.LBB123_336:
	s_or_b64 exec, exec, s[4:5]
	scratch_load_dwordx2 v[124:125], off, off offset:192
	v_cmp_lt_u32_e64 s[0:1], 24, v0
	s_waitcnt vmcnt(0)
	ds_write_b64 v1, v[124:125]
	s_waitcnt lgkmcnt(0)
	; wave barrier
	s_and_saveexec_b64 s[4:5], s[0:1]
	s_cbranch_execz .LBB123_346
; %bb.337:
	s_andn2_b64 vcc, exec, s[6:7]
	s_cbranch_vccnz .LBB123_339
; %bb.338:
	scratch_load_dwordx2 v[124:125], v19, off
	ds_read_b64 v[126:127], v1
	s_waitcnt vmcnt(0) lgkmcnt(0)
	v_mul_f64 v[124:125], v[124:125], v[126:127]
	s_cbranch_execz .LBB123_340
	s_branch .LBB123_341
.LBB123_339:
                                        ; implicit-def: $vgpr124_vgpr125
.LBB123_340:
	ds_read_b64 v[124:125], v1
.LBB123_341:
	s_and_saveexec_b64 s[8:9], s[2:3]
	s_cbranch_execz .LBB123_345
; %bb.342:
	v_subrev_u32_e32 v126, 25, v0
	s_movk_i32 s36, 0x2a8
	s_mov_b64 s[2:3], 0
.LBB123_343:                            ; =>This Inner Loop Header: Depth=1
	scratch_load_dwordx2 v[128:129], off, s35
	v_mov_b32_e32 v127, s36
	ds_read_b64 v[130:131], v127
	v_add_u32_e32 v126, -1, v126
	s_add_i32 s36, s36, 8
	s_add_i32 s35, s35, 8
	v_cmp_eq_u32_e32 vcc, 0, v126
	s_or_b64 s[2:3], vcc, s[2:3]
	s_waitcnt vmcnt(0) lgkmcnt(0)
	v_fmac_f64_e32 v[124:125], v[128:129], v[130:131]
	s_andn2_b64 exec, exec, s[2:3]
	s_cbranch_execnz .LBB123_343
; %bb.344:
	s_or_b64 exec, exec, s[2:3]
.LBB123_345:
	s_or_b64 exec, exec, s[8:9]
	v_mov_b32_e32 v126, 0
	ds_read_b64 v[126:127], v126 offset:192
	s_waitcnt lgkmcnt(0)
	v_mul_f64 v[124:125], v[124:125], v[126:127]
	scratch_store_dwordx2 off, v[124:125], off offset:192
.LBB123_346:
	s_or_b64 exec, exec, s[4:5]
	scratch_load_dwordx2 v[124:125], off, off offset:184
	v_cmp_lt_u32_e64 s[2:3], 23, v0
	s_waitcnt vmcnt(0)
	ds_write_b64 v1, v[124:125]
	s_waitcnt lgkmcnt(0)
	; wave barrier
	s_and_saveexec_b64 s[4:5], s[2:3]
	s_cbranch_execz .LBB123_356
; %bb.347:
	s_andn2_b64 vcc, exec, s[6:7]
	s_cbranch_vccnz .LBB123_349
; %bb.348:
	scratch_load_dwordx2 v[124:125], v19, off
	ds_read_b64 v[126:127], v1
	s_waitcnt vmcnt(0) lgkmcnt(0)
	v_mul_f64 v[124:125], v[124:125], v[126:127]
	s_cbranch_execz .LBB123_350
	s_branch .LBB123_351
.LBB123_349:
                                        ; implicit-def: $vgpr124_vgpr125
.LBB123_350:
	ds_read_b64 v[124:125], v1
.LBB123_351:
	s_and_saveexec_b64 s[8:9], s[0:1]
	s_cbranch_execz .LBB123_355
; %bb.352:
	v_subrev_u32_e32 v126, 24, v0
	s_movk_i32 s35, 0x2a0
	s_mov_b64 s[0:1], 0
.LBB123_353:                            ; =>This Inner Loop Header: Depth=1
	scratch_load_dwordx2 v[128:129], off, s34
	v_mov_b32_e32 v127, s35
	ds_read_b64 v[130:131], v127
	v_add_u32_e32 v126, -1, v126
	s_add_i32 s35, s35, 8
	s_add_i32 s34, s34, 8
	v_cmp_eq_u32_e32 vcc, 0, v126
	s_or_b64 s[0:1], vcc, s[0:1]
	s_waitcnt vmcnt(0) lgkmcnt(0)
	v_fmac_f64_e32 v[124:125], v[128:129], v[130:131]
	s_andn2_b64 exec, exec, s[0:1]
	s_cbranch_execnz .LBB123_353
; %bb.354:
	s_or_b64 exec, exec, s[0:1]
.LBB123_355:
	s_or_b64 exec, exec, s[8:9]
	v_mov_b32_e32 v126, 0
	ds_read_b64 v[126:127], v126 offset:184
	s_waitcnt lgkmcnt(0)
	v_mul_f64 v[124:125], v[124:125], v[126:127]
	scratch_store_dwordx2 off, v[124:125], off offset:184
.LBB123_356:
	s_or_b64 exec, exec, s[4:5]
	scratch_load_dwordx2 v[124:125], off, off offset:176
	v_cmp_lt_u32_e64 s[0:1], 22, v0
	s_waitcnt vmcnt(0)
	ds_write_b64 v1, v[124:125]
	s_waitcnt lgkmcnt(0)
	; wave barrier
	s_and_saveexec_b64 s[4:5], s[0:1]
	s_cbranch_execz .LBB123_366
; %bb.357:
	s_andn2_b64 vcc, exec, s[6:7]
	s_cbranch_vccnz .LBB123_359
; %bb.358:
	scratch_load_dwordx2 v[124:125], v19, off
	ds_read_b64 v[126:127], v1
	s_waitcnt vmcnt(0) lgkmcnt(0)
	v_mul_f64 v[124:125], v[124:125], v[126:127]
	s_cbranch_execz .LBB123_360
	s_branch .LBB123_361
.LBB123_359:
                                        ; implicit-def: $vgpr124_vgpr125
.LBB123_360:
	ds_read_b64 v[124:125], v1
.LBB123_361:
	s_and_saveexec_b64 s[8:9], s[2:3]
	s_cbranch_execz .LBB123_365
; %bb.362:
	v_subrev_u32_e32 v126, 23, v0
	s_movk_i32 s34, 0x298
	s_mov_b64 s[2:3], 0
.LBB123_363:                            ; =>This Inner Loop Header: Depth=1
	scratch_load_dwordx2 v[128:129], off, s33
	v_mov_b32_e32 v127, s34
	ds_read_b64 v[130:131], v127
	v_add_u32_e32 v126, -1, v126
	s_add_i32 s34, s34, 8
	s_add_i32 s33, s33, 8
	v_cmp_eq_u32_e32 vcc, 0, v126
	s_or_b64 s[2:3], vcc, s[2:3]
	s_waitcnt vmcnt(0) lgkmcnt(0)
	v_fmac_f64_e32 v[124:125], v[128:129], v[130:131]
	s_andn2_b64 exec, exec, s[2:3]
	s_cbranch_execnz .LBB123_363
; %bb.364:
	s_or_b64 exec, exec, s[2:3]
.LBB123_365:
	s_or_b64 exec, exec, s[8:9]
	v_mov_b32_e32 v126, 0
	ds_read_b64 v[126:127], v126 offset:176
	s_waitcnt lgkmcnt(0)
	v_mul_f64 v[124:125], v[124:125], v[126:127]
	scratch_store_dwordx2 off, v[124:125], off offset:176
.LBB123_366:
	s_or_b64 exec, exec, s[4:5]
	scratch_load_dwordx2 v[124:125], off, off offset:168
	v_cmp_lt_u32_e64 s[2:3], 21, v0
	s_waitcnt vmcnt(0)
	ds_write_b64 v1, v[124:125]
	s_waitcnt lgkmcnt(0)
	; wave barrier
	s_and_saveexec_b64 s[4:5], s[2:3]
	s_cbranch_execz .LBB123_376
; %bb.367:
	s_andn2_b64 vcc, exec, s[6:7]
	s_cbranch_vccnz .LBB123_369
; %bb.368:
	scratch_load_dwordx2 v[124:125], v19, off
	ds_read_b64 v[126:127], v1
	s_waitcnt vmcnt(0) lgkmcnt(0)
	v_mul_f64 v[124:125], v[124:125], v[126:127]
	s_cbranch_execz .LBB123_370
	s_branch .LBB123_371
.LBB123_369:
                                        ; implicit-def: $vgpr124_vgpr125
.LBB123_370:
	ds_read_b64 v[124:125], v1
.LBB123_371:
	s_and_saveexec_b64 s[8:9], s[0:1]
	s_cbranch_execz .LBB123_375
; %bb.372:
	v_subrev_u32_e32 v126, 22, v0
	s_movk_i32 s33, 0x290
	s_mov_b64 s[0:1], 0
.LBB123_373:                            ; =>This Inner Loop Header: Depth=1
	scratch_load_dwordx2 v[128:129], off, s31
	v_mov_b32_e32 v127, s33
	ds_read_b64 v[130:131], v127
	v_add_u32_e32 v126, -1, v126
	s_add_i32 s33, s33, 8
	s_add_i32 s31, s31, 8
	v_cmp_eq_u32_e32 vcc, 0, v126
	s_or_b64 s[0:1], vcc, s[0:1]
	s_waitcnt vmcnt(0) lgkmcnt(0)
	v_fmac_f64_e32 v[124:125], v[128:129], v[130:131]
	s_andn2_b64 exec, exec, s[0:1]
	s_cbranch_execnz .LBB123_373
; %bb.374:
	s_or_b64 exec, exec, s[0:1]
.LBB123_375:
	s_or_b64 exec, exec, s[8:9]
	v_mov_b32_e32 v126, 0
	ds_read_b64 v[126:127], v126 offset:168
	s_waitcnt lgkmcnt(0)
	v_mul_f64 v[124:125], v[124:125], v[126:127]
	scratch_store_dwordx2 off, v[124:125], off offset:168
.LBB123_376:
	s_or_b64 exec, exec, s[4:5]
	scratch_load_dwordx2 v[124:125], off, off offset:160
	v_cmp_lt_u32_e64 s[0:1], 20, v0
	s_waitcnt vmcnt(0)
	ds_write_b64 v1, v[124:125]
	s_waitcnt lgkmcnt(0)
	; wave barrier
	s_and_saveexec_b64 s[4:5], s[0:1]
	s_cbranch_execz .LBB123_386
; %bb.377:
	s_andn2_b64 vcc, exec, s[6:7]
	s_cbranch_vccnz .LBB123_379
; %bb.378:
	scratch_load_dwordx2 v[124:125], v19, off
	ds_read_b64 v[126:127], v1
	s_waitcnt vmcnt(0) lgkmcnt(0)
	v_mul_f64 v[124:125], v[124:125], v[126:127]
	s_cbranch_execz .LBB123_380
	s_branch .LBB123_381
.LBB123_379:
                                        ; implicit-def: $vgpr124_vgpr125
.LBB123_380:
	ds_read_b64 v[124:125], v1
.LBB123_381:
	s_and_saveexec_b64 s[8:9], s[2:3]
	s_cbranch_execz .LBB123_385
; %bb.382:
	v_subrev_u32_e32 v126, 21, v0
	s_movk_i32 s31, 0x288
	s_mov_b64 s[2:3], 0
.LBB123_383:                            ; =>This Inner Loop Header: Depth=1
	scratch_load_dwordx2 v[128:129], off, s30
	v_mov_b32_e32 v127, s31
	ds_read_b64 v[130:131], v127
	v_add_u32_e32 v126, -1, v126
	s_add_i32 s31, s31, 8
	s_add_i32 s30, s30, 8
	v_cmp_eq_u32_e32 vcc, 0, v126
	s_or_b64 s[2:3], vcc, s[2:3]
	s_waitcnt vmcnt(0) lgkmcnt(0)
	v_fmac_f64_e32 v[124:125], v[128:129], v[130:131]
	s_andn2_b64 exec, exec, s[2:3]
	s_cbranch_execnz .LBB123_383
; %bb.384:
	s_or_b64 exec, exec, s[2:3]
.LBB123_385:
	s_or_b64 exec, exec, s[8:9]
	v_mov_b32_e32 v126, 0
	ds_read_b64 v[126:127], v126 offset:160
	s_waitcnt lgkmcnt(0)
	v_mul_f64 v[124:125], v[124:125], v[126:127]
	scratch_store_dwordx2 off, v[124:125], off offset:160
.LBB123_386:
	s_or_b64 exec, exec, s[4:5]
	scratch_load_dwordx2 v[124:125], off, off offset:152
	v_cmp_lt_u32_e64 s[2:3], 19, v0
	s_waitcnt vmcnt(0)
	ds_write_b64 v1, v[124:125]
	s_waitcnt lgkmcnt(0)
	; wave barrier
	s_and_saveexec_b64 s[4:5], s[2:3]
	s_cbranch_execz .LBB123_396
; %bb.387:
	s_andn2_b64 vcc, exec, s[6:7]
	s_cbranch_vccnz .LBB123_389
; %bb.388:
	scratch_load_dwordx2 v[124:125], v19, off
	ds_read_b64 v[126:127], v1
	s_waitcnt vmcnt(0) lgkmcnt(0)
	v_mul_f64 v[124:125], v[124:125], v[126:127]
	s_cbranch_execz .LBB123_390
	s_branch .LBB123_391
.LBB123_389:
                                        ; implicit-def: $vgpr124_vgpr125
.LBB123_390:
	ds_read_b64 v[124:125], v1
.LBB123_391:
	s_and_saveexec_b64 s[8:9], s[0:1]
	s_cbranch_execz .LBB123_395
; %bb.392:
	v_subrev_u32_e32 v126, 20, v0
	s_movk_i32 s30, 0x280
	s_mov_b64 s[0:1], 0
.LBB123_393:                            ; =>This Inner Loop Header: Depth=1
	scratch_load_dwordx2 v[128:129], off, s29
	v_mov_b32_e32 v127, s30
	ds_read_b64 v[130:131], v127
	v_add_u32_e32 v126, -1, v126
	s_add_i32 s30, s30, 8
	s_add_i32 s29, s29, 8
	v_cmp_eq_u32_e32 vcc, 0, v126
	s_or_b64 s[0:1], vcc, s[0:1]
	s_waitcnt vmcnt(0) lgkmcnt(0)
	v_fmac_f64_e32 v[124:125], v[128:129], v[130:131]
	s_andn2_b64 exec, exec, s[0:1]
	s_cbranch_execnz .LBB123_393
; %bb.394:
	s_or_b64 exec, exec, s[0:1]
.LBB123_395:
	s_or_b64 exec, exec, s[8:9]
	v_mov_b32_e32 v126, 0
	ds_read_b64 v[126:127], v126 offset:152
	s_waitcnt lgkmcnt(0)
	v_mul_f64 v[124:125], v[124:125], v[126:127]
	scratch_store_dwordx2 off, v[124:125], off offset:152
.LBB123_396:
	s_or_b64 exec, exec, s[4:5]
	scratch_load_dwordx2 v[124:125], off, off offset:144
	v_cmp_lt_u32_e64 s[0:1], 18, v0
	s_waitcnt vmcnt(0)
	ds_write_b64 v1, v[124:125]
	s_waitcnt lgkmcnt(0)
	; wave barrier
	s_and_saveexec_b64 s[4:5], s[0:1]
	s_cbranch_execz .LBB123_406
; %bb.397:
	s_andn2_b64 vcc, exec, s[6:7]
	s_cbranch_vccnz .LBB123_399
; %bb.398:
	scratch_load_dwordx2 v[124:125], v19, off
	ds_read_b64 v[126:127], v1
	s_waitcnt vmcnt(0) lgkmcnt(0)
	v_mul_f64 v[124:125], v[124:125], v[126:127]
	s_cbranch_execz .LBB123_400
	s_branch .LBB123_401
.LBB123_399:
                                        ; implicit-def: $vgpr124_vgpr125
.LBB123_400:
	ds_read_b64 v[124:125], v1
.LBB123_401:
	s_and_saveexec_b64 s[8:9], s[2:3]
	s_cbranch_execz .LBB123_405
; %bb.402:
	v_subrev_u32_e32 v126, 19, v0
	s_movk_i32 s29, 0x278
	s_mov_b64 s[2:3], 0
.LBB123_403:                            ; =>This Inner Loop Header: Depth=1
	scratch_load_dwordx2 v[128:129], off, s28
	v_mov_b32_e32 v127, s29
	ds_read_b64 v[130:131], v127
	v_add_u32_e32 v126, -1, v126
	s_add_i32 s29, s29, 8
	s_add_i32 s28, s28, 8
	v_cmp_eq_u32_e32 vcc, 0, v126
	s_or_b64 s[2:3], vcc, s[2:3]
	s_waitcnt vmcnt(0) lgkmcnt(0)
	v_fmac_f64_e32 v[124:125], v[128:129], v[130:131]
	s_andn2_b64 exec, exec, s[2:3]
	s_cbranch_execnz .LBB123_403
; %bb.404:
	s_or_b64 exec, exec, s[2:3]
.LBB123_405:
	s_or_b64 exec, exec, s[8:9]
	v_mov_b32_e32 v126, 0
	ds_read_b64 v[126:127], v126 offset:144
	s_waitcnt lgkmcnt(0)
	v_mul_f64 v[124:125], v[124:125], v[126:127]
	scratch_store_dwordx2 off, v[124:125], off offset:144
.LBB123_406:
	s_or_b64 exec, exec, s[4:5]
	scratch_load_dwordx2 v[124:125], off, off offset:136
	v_cmp_lt_u32_e64 s[2:3], 17, v0
	s_waitcnt vmcnt(0)
	ds_write_b64 v1, v[124:125]
	s_waitcnt lgkmcnt(0)
	; wave barrier
	s_and_saveexec_b64 s[4:5], s[2:3]
	s_cbranch_execz .LBB123_416
; %bb.407:
	s_andn2_b64 vcc, exec, s[6:7]
	s_cbranch_vccnz .LBB123_409
; %bb.408:
	scratch_load_dwordx2 v[124:125], v19, off
	ds_read_b64 v[126:127], v1
	s_waitcnt vmcnt(0) lgkmcnt(0)
	v_mul_f64 v[124:125], v[124:125], v[126:127]
	s_cbranch_execz .LBB123_410
	s_branch .LBB123_411
.LBB123_409:
                                        ; implicit-def: $vgpr124_vgpr125
.LBB123_410:
	ds_read_b64 v[124:125], v1
.LBB123_411:
	s_and_saveexec_b64 s[8:9], s[0:1]
	s_cbranch_execz .LBB123_415
; %bb.412:
	v_subrev_u32_e32 v126, 18, v0
	s_movk_i32 s28, 0x270
	s_mov_b64 s[0:1], 0
.LBB123_413:                            ; =>This Inner Loop Header: Depth=1
	scratch_load_dwordx2 v[128:129], off, s27
	v_mov_b32_e32 v127, s28
	ds_read_b64 v[130:131], v127
	v_add_u32_e32 v126, -1, v126
	s_add_i32 s28, s28, 8
	s_add_i32 s27, s27, 8
	v_cmp_eq_u32_e32 vcc, 0, v126
	s_or_b64 s[0:1], vcc, s[0:1]
	s_waitcnt vmcnt(0) lgkmcnt(0)
	v_fmac_f64_e32 v[124:125], v[128:129], v[130:131]
	s_andn2_b64 exec, exec, s[0:1]
	s_cbranch_execnz .LBB123_413
; %bb.414:
	s_or_b64 exec, exec, s[0:1]
.LBB123_415:
	s_or_b64 exec, exec, s[8:9]
	v_mov_b32_e32 v126, 0
	ds_read_b64 v[126:127], v126 offset:136
	s_waitcnt lgkmcnt(0)
	v_mul_f64 v[124:125], v[124:125], v[126:127]
	scratch_store_dwordx2 off, v[124:125], off offset:136
.LBB123_416:
	s_or_b64 exec, exec, s[4:5]
	scratch_load_dwordx2 v[124:125], off, off offset:128
	v_cmp_lt_u32_e64 s[0:1], 16, v0
	s_waitcnt vmcnt(0)
	ds_write_b64 v1, v[124:125]
	s_waitcnt lgkmcnt(0)
	; wave barrier
	s_and_saveexec_b64 s[4:5], s[0:1]
	s_cbranch_execz .LBB123_426
; %bb.417:
	s_andn2_b64 vcc, exec, s[6:7]
	s_cbranch_vccnz .LBB123_419
; %bb.418:
	scratch_load_dwordx2 v[124:125], v19, off
	ds_read_b64 v[126:127], v1
	s_waitcnt vmcnt(0) lgkmcnt(0)
	v_mul_f64 v[124:125], v[124:125], v[126:127]
	s_cbranch_execz .LBB123_420
	s_branch .LBB123_421
.LBB123_419:
                                        ; implicit-def: $vgpr124_vgpr125
.LBB123_420:
	ds_read_b64 v[124:125], v1
.LBB123_421:
	s_and_saveexec_b64 s[8:9], s[2:3]
	s_cbranch_execz .LBB123_425
; %bb.422:
	v_subrev_u32_e32 v126, 17, v0
	s_movk_i32 s27, 0x268
	s_mov_b64 s[2:3], 0
.LBB123_423:                            ; =>This Inner Loop Header: Depth=1
	scratch_load_dwordx2 v[128:129], off, s26
	v_mov_b32_e32 v127, s27
	ds_read_b64 v[130:131], v127
	v_add_u32_e32 v126, -1, v126
	s_add_i32 s27, s27, 8
	s_add_i32 s26, s26, 8
	v_cmp_eq_u32_e32 vcc, 0, v126
	s_or_b64 s[2:3], vcc, s[2:3]
	s_waitcnt vmcnt(0) lgkmcnt(0)
	v_fmac_f64_e32 v[124:125], v[128:129], v[130:131]
	s_andn2_b64 exec, exec, s[2:3]
	s_cbranch_execnz .LBB123_423
; %bb.424:
	s_or_b64 exec, exec, s[2:3]
.LBB123_425:
	s_or_b64 exec, exec, s[8:9]
	v_mov_b32_e32 v126, 0
	ds_read_b64 v[126:127], v126 offset:128
	s_waitcnt lgkmcnt(0)
	v_mul_f64 v[124:125], v[124:125], v[126:127]
	scratch_store_dwordx2 off, v[124:125], off offset:128
.LBB123_426:
	s_or_b64 exec, exec, s[4:5]
	scratch_load_dwordx2 v[124:125], off, off offset:120
	v_cmp_lt_u32_e64 s[2:3], 15, v0
	s_waitcnt vmcnt(0)
	ds_write_b64 v1, v[124:125]
	s_waitcnt lgkmcnt(0)
	; wave barrier
	s_and_saveexec_b64 s[4:5], s[2:3]
	s_cbranch_execz .LBB123_436
; %bb.427:
	s_andn2_b64 vcc, exec, s[6:7]
	s_cbranch_vccnz .LBB123_429
; %bb.428:
	scratch_load_dwordx2 v[124:125], v19, off
	ds_read_b64 v[126:127], v1
	s_waitcnt vmcnt(0) lgkmcnt(0)
	v_mul_f64 v[124:125], v[124:125], v[126:127]
	s_cbranch_execz .LBB123_430
	s_branch .LBB123_431
.LBB123_429:
                                        ; implicit-def: $vgpr124_vgpr125
.LBB123_430:
	ds_read_b64 v[124:125], v1
.LBB123_431:
	s_and_saveexec_b64 s[8:9], s[0:1]
	s_cbranch_execz .LBB123_435
; %bb.432:
	v_add_u32_e32 v126, -16, v0
	s_movk_i32 s26, 0x260
	s_mov_b64 s[0:1], 0
.LBB123_433:                            ; =>This Inner Loop Header: Depth=1
	scratch_load_dwordx2 v[128:129], off, s25
	v_mov_b32_e32 v127, s26
	ds_read_b64 v[130:131], v127
	v_add_u32_e32 v126, -1, v126
	s_add_i32 s26, s26, 8
	s_add_i32 s25, s25, 8
	v_cmp_eq_u32_e32 vcc, 0, v126
	s_or_b64 s[0:1], vcc, s[0:1]
	s_waitcnt vmcnt(0) lgkmcnt(0)
	v_fmac_f64_e32 v[124:125], v[128:129], v[130:131]
	s_andn2_b64 exec, exec, s[0:1]
	s_cbranch_execnz .LBB123_433
; %bb.434:
	s_or_b64 exec, exec, s[0:1]
.LBB123_435:
	s_or_b64 exec, exec, s[8:9]
	v_mov_b32_e32 v126, 0
	ds_read_b64 v[126:127], v126 offset:120
	s_waitcnt lgkmcnt(0)
	v_mul_f64 v[124:125], v[124:125], v[126:127]
	scratch_store_dwordx2 off, v[124:125], off offset:120
.LBB123_436:
	s_or_b64 exec, exec, s[4:5]
	scratch_load_dwordx2 v[124:125], off, off offset:112
	v_cmp_lt_u32_e64 s[0:1], 14, v0
	s_waitcnt vmcnt(0)
	ds_write_b64 v1, v[124:125]
	s_waitcnt lgkmcnt(0)
	; wave barrier
	s_and_saveexec_b64 s[4:5], s[0:1]
	s_cbranch_execz .LBB123_446
; %bb.437:
	s_andn2_b64 vcc, exec, s[6:7]
	s_cbranch_vccnz .LBB123_439
; %bb.438:
	scratch_load_dwordx2 v[124:125], v19, off
	ds_read_b64 v[126:127], v1
	s_waitcnt vmcnt(0) lgkmcnt(0)
	v_mul_f64 v[124:125], v[124:125], v[126:127]
	s_cbranch_execz .LBB123_440
	s_branch .LBB123_441
.LBB123_439:
                                        ; implicit-def: $vgpr124_vgpr125
.LBB123_440:
	ds_read_b64 v[124:125], v1
.LBB123_441:
	s_and_saveexec_b64 s[8:9], s[2:3]
	s_cbranch_execz .LBB123_445
; %bb.442:
	v_add_u32_e32 v126, -15, v0
	s_movk_i32 s25, 0x258
	s_mov_b64 s[2:3], 0
.LBB123_443:                            ; =>This Inner Loop Header: Depth=1
	scratch_load_dwordx2 v[128:129], off, s24
	v_mov_b32_e32 v127, s25
	ds_read_b64 v[130:131], v127
	v_add_u32_e32 v126, -1, v126
	s_add_i32 s25, s25, 8
	s_add_i32 s24, s24, 8
	v_cmp_eq_u32_e32 vcc, 0, v126
	s_or_b64 s[2:3], vcc, s[2:3]
	s_waitcnt vmcnt(0) lgkmcnt(0)
	v_fmac_f64_e32 v[124:125], v[128:129], v[130:131]
	s_andn2_b64 exec, exec, s[2:3]
	s_cbranch_execnz .LBB123_443
; %bb.444:
	s_or_b64 exec, exec, s[2:3]
.LBB123_445:
	s_or_b64 exec, exec, s[8:9]
	v_mov_b32_e32 v126, 0
	ds_read_b64 v[126:127], v126 offset:112
	s_waitcnt lgkmcnt(0)
	v_mul_f64 v[124:125], v[124:125], v[126:127]
	scratch_store_dwordx2 off, v[124:125], off offset:112
.LBB123_446:
	;; [unrolled: 53-line block ×15, first 2 shown]
	s_or_b64 exec, exec, s[4:5]
	scratch_load_dwordx2 v[124:125], off, off
	v_cmp_ne_u32_e32 vcc, 0, v0
	s_waitcnt vmcnt(0)
	ds_write_b64 v1, v[124:125]
	s_waitcnt lgkmcnt(0)
	; wave barrier
	s_and_saveexec_b64 s[0:1], vcc
	s_cbranch_execz .LBB123_586
; %bb.577:
	s_andn2_b64 vcc, exec, s[6:7]
	s_cbranch_vccnz .LBB123_579
; %bb.578:
	scratch_load_dwordx2 v[124:125], v19, off
	ds_read_b64 v[126:127], v1
	s_waitcnt vmcnt(0) lgkmcnt(0)
	v_mul_f64 v[124:125], v[124:125], v[126:127]
	s_cbranch_execz .LBB123_580
	s_branch .LBB123_581
.LBB123_579:
                                        ; implicit-def: $vgpr124_vgpr125
.LBB123_580:
	ds_read_b64 v[124:125], v1
.LBB123_581:
	s_and_saveexec_b64 s[4:5], s[2:3]
	s_cbranch_execz .LBB123_585
; %bb.582:
	v_add_u32_e32 v126, -1, v0
	s_movk_i32 s8, 0x1e8
	s_mov_b64 s[2:3], 0
.LBB123_583:                            ; =>This Inner Loop Header: Depth=1
	scratch_load_dwordx2 v[128:129], off, s10
	v_mov_b32_e32 v127, s8
	ds_read_b64 v[130:131], v127
	v_add_u32_e32 v126, -1, v126
	s_add_i32 s8, s8, 8
	s_add_i32 s10, s10, 8
	v_cmp_eq_u32_e32 vcc, 0, v126
	s_or_b64 s[2:3], vcc, s[2:3]
	s_waitcnt vmcnt(0) lgkmcnt(0)
	v_fmac_f64_e32 v[124:125], v[128:129], v[130:131]
	s_andn2_b64 exec, exec, s[2:3]
	s_cbranch_execnz .LBB123_583
; %bb.584:
	s_or_b64 exec, exec, s[2:3]
.LBB123_585:
	s_or_b64 exec, exec, s[4:5]
	v_mov_b32_e32 v126, 0
	ds_read_b64 v[126:127], v126
	s_waitcnt lgkmcnt(0)
	v_mul_f64 v[124:125], v[124:125], v[126:127]
	scratch_store_dwordx2 off, v[124:125], off
.LBB123_586:
	s_or_b64 exec, exec, s[0:1]
	s_mov_b64 s[0:1], 0
.LBB123_587:
	s_and_b64 vcc, exec, s[0:1]
	s_cbranch_vccz .LBB123_1169
; %bb.588:
	scratch_load_dwordx2 v[124:125], off, off offset:8
	v_cmp_eq_u32_e64 s[2:3], 0, v0
	s_waitcnt vmcnt(0)
	ds_write_b64 v1, v[124:125]
	s_waitcnt lgkmcnt(0)
	; wave barrier
	s_and_saveexec_b64 s[0:1], s[2:3]
	s_cbranch_execz .LBB123_594
; %bb.589:
	s_and_b64 vcc, exec, s[6:7]
	s_cbranch_vccz .LBB123_591
; %bb.590:
	scratch_load_dwordx2 v[124:125], v19, off
	ds_read_b64 v[126:127], v1
	s_waitcnt vmcnt(0) lgkmcnt(0)
	v_mul_f64 v[124:125], v[124:125], v[126:127]
	s_cbranch_execz .LBB123_592
	s_branch .LBB123_593
.LBB123_591:
                                        ; implicit-def: $vgpr124_vgpr125
.LBB123_592:
	ds_read_b64 v[124:125], v1
.LBB123_593:
	v_mov_b32_e32 v126, 0
	ds_read_b64 v[126:127], v126 offset:8
	s_waitcnt lgkmcnt(0)
	v_mul_f64 v[124:125], v[124:125], v[126:127]
	scratch_store_dwordx2 off, v[124:125], off offset:8
.LBB123_594:
	s_or_b64 exec, exec, s[0:1]
	scratch_load_dwordx2 v[124:125], off, off offset:16
	v_cndmask_b32_e64 v126, 0, 1, s[6:7]
	v_cmp_gt_u32_e32 vcc, 2, v0
	v_cmp_ne_u32_e64 s[0:1], 1, v126
	s_waitcnt vmcnt(0)
	ds_write_b64 v1, v[124:125]
	s_waitcnt lgkmcnt(0)
	; wave barrier
	s_and_saveexec_b64 s[4:5], vcc
	s_cbranch_execz .LBB123_600
; %bb.595:
	s_and_b64 vcc, exec, s[0:1]
	s_cbranch_vccnz .LBB123_597
; %bb.596:
	scratch_load_dwordx2 v[124:125], v19, off
	ds_read_b64 v[126:127], v1
	s_waitcnt vmcnt(0) lgkmcnt(0)
	v_mul_f64 v[124:125], v[124:125], v[126:127]
	s_cbranch_execz .LBB123_598
	s_branch .LBB123_599
.LBB123_597:
                                        ; implicit-def: $vgpr124_vgpr125
.LBB123_598:
	ds_read_b64 v[124:125], v1
.LBB123_599:
	scratch_load_dwordx2 v[130:131], off, off offset:8
	v_mov_b32_e32 v126, 0
	ds_read2_b64 v[126:129], v126 offset0:2 offset1:61
	s_waitcnt vmcnt(0) lgkmcnt(0)
	v_fma_f64 v[128:129], v[130:131], v[128:129], v[124:125]
	v_cndmask_b32_e64 v125, v125, v129, s[2:3]
	v_cndmask_b32_e64 v124, v124, v128, s[2:3]
	v_mul_f64 v[124:125], v[124:125], v[126:127]
	scratch_store_dwordx2 off, v[124:125], off offset:16
.LBB123_600:
	s_or_b64 exec, exec, s[4:5]
	scratch_load_dwordx2 v[124:125], off, off offset:24
	v_cmp_gt_u32_e32 vcc, 3, v0
	s_waitcnt vmcnt(0)
	ds_write_b64 v1, v[124:125]
	s_waitcnt lgkmcnt(0)
	; wave barrier
	s_and_saveexec_b64 s[4:5], vcc
	s_cbranch_execz .LBB123_608
; %bb.601:
	s_and_b64 vcc, exec, s[0:1]
	s_cbranch_vccnz .LBB123_603
; %bb.602:
	scratch_load_dwordx2 v[124:125], v19, off
	ds_read_b64 v[126:127], v1
	s_waitcnt vmcnt(0) lgkmcnt(0)
	v_mul_f64 v[124:125], v[124:125], v[126:127]
	s_cbranch_execz .LBB123_604
	s_branch .LBB123_605
.LBB123_603:
                                        ; implicit-def: $vgpr124_vgpr125
.LBB123_604:
	ds_read_b64 v[124:125], v1
.LBB123_605:
	v_cmp_ne_u32_e32 vcc, 2, v0
	s_and_saveexec_b64 s[6:7], vcc
	s_cbranch_execz .LBB123_607
; %bb.606:
	scratch_load_dwordx2 v[126:127], v19, off offset:8
	scratch_load_dwordx2 v[128:129], off, off offset:16
	ds_read_b64 v[130:131], v1 offset:8
	v_mov_b32_e32 v132, 0
	ds_read_b64 v[132:133], v132 offset:496
	s_waitcnt vmcnt(1) lgkmcnt(1)
	v_fmac_f64_e32 v[124:125], v[126:127], v[130:131]
	s_waitcnt vmcnt(0) lgkmcnt(0)
	v_fma_f64 v[126:127], v[128:129], v[132:133], v[124:125]
	v_cndmask_b32_e64 v125, v125, v127, s[2:3]
	v_cndmask_b32_e64 v124, v124, v126, s[2:3]
.LBB123_607:
	s_or_b64 exec, exec, s[6:7]
	v_mov_b32_e32 v126, 0
	ds_read_b64 v[126:127], v126 offset:24
	s_waitcnt lgkmcnt(0)
	v_mul_f64 v[124:125], v[124:125], v[126:127]
	scratch_store_dwordx2 off, v[124:125], off offset:24
.LBB123_608:
	s_or_b64 exec, exec, s[4:5]
	scratch_load_dwordx2 v[124:125], off, off offset:32
	v_cmp_gt_u32_e32 vcc, 4, v0
	s_waitcnt vmcnt(0)
	ds_write_b64 v1, v[124:125]
	s_waitcnt lgkmcnt(0)
	; wave barrier
	s_and_saveexec_b64 s[2:3], vcc
	s_cbranch_execz .LBB123_618
; %bb.609:
	s_and_b64 vcc, exec, s[0:1]
	s_cbranch_vccnz .LBB123_611
; %bb.610:
	scratch_load_dwordx2 v[124:125], v19, off
	ds_read_b64 v[126:127], v1
	s_waitcnt vmcnt(0) lgkmcnt(0)
	v_mul_f64 v[124:125], v[124:125], v[126:127]
	s_cbranch_execz .LBB123_612
	s_branch .LBB123_613
.LBB123_611:
                                        ; implicit-def: $vgpr124_vgpr125
.LBB123_612:
	ds_read_b64 v[124:125], v1
.LBB123_613:
	v_cmp_ne_u32_e32 vcc, 3, v0
	s_and_saveexec_b64 s[4:5], vcc
	s_cbranch_execz .LBB123_617
; %bb.614:
	s_mov_b32 s6, 0
	v_add_u32_e32 v126, 0x1e8, v18
	v_add3_u32 v127, v18, s6, 8
	s_mov_b64 s[6:7], 0
	v_mov_b32_e32 v128, v0
.LBB123_615:                            ; =>This Inner Loop Header: Depth=1
	scratch_load_dwordx2 v[130:131], v127, off
	ds_read_b64 v[132:133], v126
	v_add_u32_e32 v128, 1, v128
	v_cmp_lt_u32_e32 vcc, 2, v128
	v_add_u32_e32 v126, 8, v126
	v_add_u32_e32 v127, 8, v127
	s_or_b64 s[6:7], vcc, s[6:7]
	s_waitcnt vmcnt(0) lgkmcnt(0)
	v_fmac_f64_e32 v[124:125], v[130:131], v[132:133]
	s_andn2_b64 exec, exec, s[6:7]
	s_cbranch_execnz .LBB123_615
; %bb.616:
	s_or_b64 exec, exec, s[6:7]
.LBB123_617:
	s_or_b64 exec, exec, s[4:5]
	v_mov_b32_e32 v126, 0
	ds_read_b64 v[126:127], v126 offset:32
	s_waitcnt lgkmcnt(0)
	v_mul_f64 v[124:125], v[124:125], v[126:127]
	scratch_store_dwordx2 off, v[124:125], off offset:32
.LBB123_618:
	s_or_b64 exec, exec, s[2:3]
	scratch_load_dwordx2 v[124:125], off, off offset:40
	v_cmp_gt_u32_e32 vcc, 5, v0
	s_waitcnt vmcnt(0)
	ds_write_b64 v1, v[124:125]
	s_waitcnt lgkmcnt(0)
	; wave barrier
	s_and_saveexec_b64 s[2:3], vcc
	s_cbranch_execz .LBB123_628
; %bb.619:
	s_and_b64 vcc, exec, s[0:1]
	s_cbranch_vccnz .LBB123_621
; %bb.620:
	scratch_load_dwordx2 v[124:125], v19, off
	ds_read_b64 v[126:127], v1
	s_waitcnt vmcnt(0) lgkmcnt(0)
	v_mul_f64 v[124:125], v[124:125], v[126:127]
	s_cbranch_execz .LBB123_622
	s_branch .LBB123_623
.LBB123_621:
                                        ; implicit-def: $vgpr124_vgpr125
.LBB123_622:
	ds_read_b64 v[124:125], v1
.LBB123_623:
	v_cmp_ne_u32_e32 vcc, 4, v0
	s_and_saveexec_b64 s[4:5], vcc
	s_cbranch_execz .LBB123_627
; %bb.624:
	s_mov_b32 s6, 0
	v_add_u32_e32 v126, 0x1e8, v18
	v_add3_u32 v127, v18, s6, 8
	s_mov_b64 s[6:7], 0
	v_mov_b32_e32 v128, v0
.LBB123_625:                            ; =>This Inner Loop Header: Depth=1
	scratch_load_dwordx2 v[130:131], v127, off
	ds_read_b64 v[132:133], v126
	v_add_u32_e32 v128, 1, v128
	v_cmp_lt_u32_e32 vcc, 3, v128
	v_add_u32_e32 v126, 8, v126
	v_add_u32_e32 v127, 8, v127
	s_or_b64 s[6:7], vcc, s[6:7]
	s_waitcnt vmcnt(0) lgkmcnt(0)
	v_fmac_f64_e32 v[124:125], v[130:131], v[132:133]
	s_andn2_b64 exec, exec, s[6:7]
	s_cbranch_execnz .LBB123_625
; %bb.626:
	s_or_b64 exec, exec, s[6:7]
.LBB123_627:
	s_or_b64 exec, exec, s[4:5]
	v_mov_b32_e32 v126, 0
	ds_read_b64 v[126:127], v126 offset:40
	s_waitcnt lgkmcnt(0)
	v_mul_f64 v[124:125], v[124:125], v[126:127]
	scratch_store_dwordx2 off, v[124:125], off offset:40
.LBB123_628:
	;; [unrolled: 55-line block ×39, first 2 shown]
	s_or_b64 exec, exec, s[2:3]
	scratch_load_dwordx2 v[124:125], off, off offset:344
	v_cmp_gt_u32_e32 vcc, 43, v0
	s_waitcnt vmcnt(0)
	ds_write_b64 v1, v[124:125]
	s_waitcnt lgkmcnt(0)
	; wave barrier
	s_and_saveexec_b64 s[2:3], vcc
	s_cbranch_execz .LBB123_1008
; %bb.999:
	s_and_b64 vcc, exec, s[0:1]
	s_cbranch_vccnz .LBB123_1001
; %bb.1000:
	scratch_load_dwordx2 v[124:125], v19, off
	ds_read_b64 v[126:127], v1
	s_waitcnt vmcnt(0) lgkmcnt(0)
	v_mul_f64 v[124:125], v[124:125], v[126:127]
	s_cbranch_execz .LBB123_1002
	s_branch .LBB123_1003
.LBB123_1001:
                                        ; implicit-def: $vgpr124_vgpr125
.LBB123_1002:
	ds_read_b64 v[124:125], v1
.LBB123_1003:
	v_cmp_ne_u32_e32 vcc, 42, v0
	s_and_saveexec_b64 s[4:5], vcc
	s_cbranch_execz .LBB123_1007
; %bb.1004:
	s_mov_b32 s6, 0
	v_add_u32_e32 v126, 0x1e8, v18
	v_add3_u32 v127, v18, s6, 8
	s_mov_b64 s[6:7], 0
	v_mov_b32_e32 v128, v0
.LBB123_1005:                           ; =>This Inner Loop Header: Depth=1
	scratch_load_dwordx2 v[130:131], v127, off
	ds_read_b64 v[132:133], v126
	v_add_u32_e32 v128, 1, v128
	v_cmp_lt_u32_e32 vcc, 41, v128
	v_add_u32_e32 v126, 8, v126
	v_add_u32_e32 v127, 8, v127
	s_or_b64 s[6:7], vcc, s[6:7]
	s_waitcnt vmcnt(0) lgkmcnt(0)
	v_fmac_f64_e32 v[124:125], v[130:131], v[132:133]
	s_andn2_b64 exec, exec, s[6:7]
	s_cbranch_execnz .LBB123_1005
; %bb.1006:
	s_or_b64 exec, exec, s[6:7]
.LBB123_1007:
	s_or_b64 exec, exec, s[4:5]
	v_mov_b32_e32 v126, 0
	ds_read_b64 v[126:127], v126 offset:344
	s_waitcnt lgkmcnt(0)
	v_mul_f64 v[124:125], v[124:125], v[126:127]
	scratch_store_dwordx2 off, v[124:125], off offset:344
.LBB123_1008:
	s_or_b64 exec, exec, s[2:3]
	scratch_load_dwordx2 v[124:125], off, off offset:352
	v_cmp_gt_u32_e32 vcc, 44, v0
	s_waitcnt vmcnt(0)
	ds_write_b64 v1, v[124:125]
	s_waitcnt lgkmcnt(0)
	; wave barrier
	s_and_saveexec_b64 s[2:3], vcc
	s_cbranch_execz .LBB123_1018
; %bb.1009:
	s_and_b64 vcc, exec, s[0:1]
	s_cbranch_vccnz .LBB123_1011
; %bb.1010:
	scratch_load_dwordx2 v[124:125], v19, off
	ds_read_b64 v[126:127], v1
	s_waitcnt vmcnt(0) lgkmcnt(0)
	v_mul_f64 v[124:125], v[124:125], v[126:127]
	s_cbranch_execz .LBB123_1012
	s_branch .LBB123_1013
.LBB123_1011:
                                        ; implicit-def: $vgpr124_vgpr125
.LBB123_1012:
	ds_read_b64 v[124:125], v1
.LBB123_1013:
	v_cmp_ne_u32_e32 vcc, 43, v0
	s_and_saveexec_b64 s[4:5], vcc
	s_cbranch_execz .LBB123_1017
; %bb.1014:
	s_mov_b32 s6, 0
	v_add_u32_e32 v126, 0x1e8, v18
	v_add3_u32 v127, v18, s6, 8
	s_mov_b64 s[6:7], 0
	v_mov_b32_e32 v128, v0
.LBB123_1015:                           ; =>This Inner Loop Header: Depth=1
	scratch_load_dwordx2 v[130:131], v127, off
	ds_read_b64 v[132:133], v126
	v_add_u32_e32 v128, 1, v128
	v_cmp_lt_u32_e32 vcc, 42, v128
	v_add_u32_e32 v126, 8, v126
	v_add_u32_e32 v127, 8, v127
	s_or_b64 s[6:7], vcc, s[6:7]
	s_waitcnt vmcnt(0) lgkmcnt(0)
	v_fmac_f64_e32 v[124:125], v[130:131], v[132:133]
	s_andn2_b64 exec, exec, s[6:7]
	s_cbranch_execnz .LBB123_1015
; %bb.1016:
	s_or_b64 exec, exec, s[6:7]
.LBB123_1017:
	s_or_b64 exec, exec, s[4:5]
	v_mov_b32_e32 v126, 0
	ds_read_b64 v[126:127], v126 offset:352
	s_waitcnt lgkmcnt(0)
	v_mul_f64 v[124:125], v[124:125], v[126:127]
	scratch_store_dwordx2 off, v[124:125], off offset:352
.LBB123_1018:
	;; [unrolled: 55-line block ×15, first 2 shown]
	s_or_b64 exec, exec, s[2:3]
	scratch_load_dwordx2 v[124:125], off, off offset:464
	v_cmp_gt_u32_e64 s[2:3], 58, v0
	s_waitcnt vmcnt(0)
	ds_write_b64 v1, v[124:125]
	s_waitcnt lgkmcnt(0)
	; wave barrier
	s_and_saveexec_b64 s[4:5], s[2:3]
	s_cbranch_execz .LBB123_1158
; %bb.1149:
	s_and_b64 vcc, exec, s[0:1]
	s_cbranch_vccnz .LBB123_1151
; %bb.1150:
	scratch_load_dwordx2 v[124:125], v19, off
	ds_read_b64 v[126:127], v1
	s_waitcnt vmcnt(0) lgkmcnt(0)
	v_mul_f64 v[124:125], v[124:125], v[126:127]
	s_cbranch_execz .LBB123_1152
	s_branch .LBB123_1153
.LBB123_1151:
                                        ; implicit-def: $vgpr124_vgpr125
.LBB123_1152:
	ds_read_b64 v[124:125], v1
.LBB123_1153:
	v_cmp_ne_u32_e32 vcc, 57, v0
	s_and_saveexec_b64 s[6:7], vcc
	s_cbranch_execz .LBB123_1157
; %bb.1154:
	s_mov_b32 s8, 0
	v_add_u32_e32 v126, 0x1e8, v18
	v_add3_u32 v127, v18, s8, 8
	s_mov_b64 s[8:9], 0
	v_mov_b32_e32 v128, v0
.LBB123_1155:                           ; =>This Inner Loop Header: Depth=1
	scratch_load_dwordx2 v[130:131], v127, off
	ds_read_b64 v[132:133], v126
	v_add_u32_e32 v128, 1, v128
	v_cmp_lt_u32_e32 vcc, 56, v128
	v_add_u32_e32 v126, 8, v126
	v_add_u32_e32 v127, 8, v127
	s_or_b64 s[8:9], vcc, s[8:9]
	s_waitcnt vmcnt(0) lgkmcnt(0)
	v_fmac_f64_e32 v[124:125], v[130:131], v[132:133]
	s_andn2_b64 exec, exec, s[8:9]
	s_cbranch_execnz .LBB123_1155
; %bb.1156:
	s_or_b64 exec, exec, s[8:9]
.LBB123_1157:
	s_or_b64 exec, exec, s[6:7]
	v_mov_b32_e32 v126, 0
	ds_read_b64 v[126:127], v126 offset:464
	s_waitcnt lgkmcnt(0)
	v_mul_f64 v[124:125], v[124:125], v[126:127]
	scratch_store_dwordx2 off, v[124:125], off offset:464
.LBB123_1158:
	s_or_b64 exec, exec, s[4:5]
	scratch_load_dwordx2 v[124:125], off, off offset:472
	v_cmp_ne_u32_e32 vcc, 59, v0
	s_waitcnt vmcnt(0)
	ds_write_b64 v1, v[124:125]
	s_waitcnt lgkmcnt(0)
	; wave barrier
	s_and_saveexec_b64 s[4:5], vcc
	s_cbranch_execz .LBB123_1168
; %bb.1159:
	s_and_b64 vcc, exec, s[0:1]
	s_cbranch_vccnz .LBB123_1161
; %bb.1160:
	scratch_load_dwordx2 v[124:125], v19, off
	ds_read_b64 v[126:127], v1
	s_waitcnt vmcnt(0) lgkmcnt(0)
	v_mul_f64 v[124:125], v[124:125], v[126:127]
	s_cbranch_execz .LBB123_1162
	s_branch .LBB123_1163
.LBB123_1161:
                                        ; implicit-def: $vgpr124_vgpr125
.LBB123_1162:
	ds_read_b64 v[124:125], v1
.LBB123_1163:
	s_and_saveexec_b64 s[0:1], s[2:3]
	s_cbranch_execz .LBB123_1167
; %bb.1164:
	s_mov_b32 s2, 0
	v_add_u32_e32 v1, 0x1e8, v18
	v_add3_u32 v18, v18, s2, 8
	s_mov_b64 s[2:3], 0
.LBB123_1165:                           ; =>This Inner Loop Header: Depth=1
	scratch_load_dwordx2 v[126:127], v18, off
	ds_read_b64 v[128:129], v1
	v_add_u32_e32 v0, 1, v0
	v_cmp_lt_u32_e32 vcc, 57, v0
	v_add_u32_e32 v1, 8, v1
	v_add_u32_e32 v18, 8, v18
	s_or_b64 s[2:3], vcc, s[2:3]
	s_waitcnt vmcnt(0) lgkmcnt(0)
	v_fmac_f64_e32 v[124:125], v[126:127], v[128:129]
	s_andn2_b64 exec, exec, s[2:3]
	s_cbranch_execnz .LBB123_1165
; %bb.1166:
	s_or_b64 exec, exec, s[2:3]
.LBB123_1167:
	s_or_b64 exec, exec, s[0:1]
	v_mov_b32_e32 v0, 0
	ds_read_b64 v[0:1], v0 offset:472
	s_waitcnt lgkmcnt(0)
	v_mul_f64 v[0:1], v[124:125], v[0:1]
	scratch_store_dwordx2 off, v[0:1], off offset:472
.LBB123_1168:
	s_or_b64 exec, exec, s[4:5]
.LBB123_1169:
	scratch_load_dwordx2 v[0:1], off, off
	s_waitcnt vmcnt(0)
	flat_store_dwordx2 v[2:3], v[0:1]
	scratch_load_dwordx2 v[0:1], off, off offset:8
	s_waitcnt vmcnt(0)
	flat_store_dwordx2 v[4:5], v[0:1]
	scratch_load_dwordx2 v[0:1], off, off offset:16
	;; [unrolled: 3-line block ×59, first 2 shown]
	s_waitcnt vmcnt(0)
	flat_store_dwordx2 v[122:123], v[0:1]
.LBB123_1170:
	s_endpgm
	.section	.rodata,"a",@progbits
	.p2align	6, 0x0
	.amdhsa_kernel _ZN9rocsolver6v33100L18trti2_kernel_smallILi60EdPKPdEEv13rocblas_fill_17rocblas_diagonal_T1_iil
		.amdhsa_group_segment_fixed_size 960
		.amdhsa_private_segment_fixed_size 496
		.amdhsa_kernarg_size 32
		.amdhsa_user_sgpr_count 2
		.amdhsa_user_sgpr_dispatch_ptr 0
		.amdhsa_user_sgpr_queue_ptr 0
		.amdhsa_user_sgpr_kernarg_segment_ptr 1
		.amdhsa_user_sgpr_dispatch_id 0
		.amdhsa_user_sgpr_kernarg_preload_length 0
		.amdhsa_user_sgpr_kernarg_preload_offset 0
		.amdhsa_user_sgpr_private_segment_size 0
		.amdhsa_uses_dynamic_stack 0
		.amdhsa_enable_private_segment 1
		.amdhsa_system_sgpr_workgroup_id_x 1
		.amdhsa_system_sgpr_workgroup_id_y 0
		.amdhsa_system_sgpr_workgroup_id_z 0
		.amdhsa_system_sgpr_workgroup_info 0
		.amdhsa_system_vgpr_workitem_id 0
		.amdhsa_next_free_vgpr 134
		.amdhsa_next_free_sgpr 69
		.amdhsa_accum_offset 136
		.amdhsa_reserve_vcc 1
		.amdhsa_float_round_mode_32 0
		.amdhsa_float_round_mode_16_64 0
		.amdhsa_float_denorm_mode_32 3
		.amdhsa_float_denorm_mode_16_64 3
		.amdhsa_dx10_clamp 1
		.amdhsa_ieee_mode 1
		.amdhsa_fp16_overflow 0
		.amdhsa_tg_split 0
		.amdhsa_exception_fp_ieee_invalid_op 0
		.amdhsa_exception_fp_denorm_src 0
		.amdhsa_exception_fp_ieee_div_zero 0
		.amdhsa_exception_fp_ieee_overflow 0
		.amdhsa_exception_fp_ieee_underflow 0
		.amdhsa_exception_fp_ieee_inexact 0
		.amdhsa_exception_int_div_zero 0
	.end_amdhsa_kernel
	.section	.text._ZN9rocsolver6v33100L18trti2_kernel_smallILi60EdPKPdEEv13rocblas_fill_17rocblas_diagonal_T1_iil,"axG",@progbits,_ZN9rocsolver6v33100L18trti2_kernel_smallILi60EdPKPdEEv13rocblas_fill_17rocblas_diagonal_T1_iil,comdat
.Lfunc_end123:
	.size	_ZN9rocsolver6v33100L18trti2_kernel_smallILi60EdPKPdEEv13rocblas_fill_17rocblas_diagonal_T1_iil, .Lfunc_end123-_ZN9rocsolver6v33100L18trti2_kernel_smallILi60EdPKPdEEv13rocblas_fill_17rocblas_diagonal_T1_iil
                                        ; -- End function
	.set _ZN9rocsolver6v33100L18trti2_kernel_smallILi60EdPKPdEEv13rocblas_fill_17rocblas_diagonal_T1_iil.num_vgpr, 134
	.set _ZN9rocsolver6v33100L18trti2_kernel_smallILi60EdPKPdEEv13rocblas_fill_17rocblas_diagonal_T1_iil.num_agpr, 0
	.set _ZN9rocsolver6v33100L18trti2_kernel_smallILi60EdPKPdEEv13rocblas_fill_17rocblas_diagonal_T1_iil.numbered_sgpr, 69
	.set _ZN9rocsolver6v33100L18trti2_kernel_smallILi60EdPKPdEEv13rocblas_fill_17rocblas_diagonal_T1_iil.num_named_barrier, 0
	.set _ZN9rocsolver6v33100L18trti2_kernel_smallILi60EdPKPdEEv13rocblas_fill_17rocblas_diagonal_T1_iil.private_seg_size, 496
	.set _ZN9rocsolver6v33100L18trti2_kernel_smallILi60EdPKPdEEv13rocblas_fill_17rocblas_diagonal_T1_iil.uses_vcc, 1
	.set _ZN9rocsolver6v33100L18trti2_kernel_smallILi60EdPKPdEEv13rocblas_fill_17rocblas_diagonal_T1_iil.uses_flat_scratch, 0
	.set _ZN9rocsolver6v33100L18trti2_kernel_smallILi60EdPKPdEEv13rocblas_fill_17rocblas_diagonal_T1_iil.has_dyn_sized_stack, 0
	.set _ZN9rocsolver6v33100L18trti2_kernel_smallILi60EdPKPdEEv13rocblas_fill_17rocblas_diagonal_T1_iil.has_recursion, 0
	.set _ZN9rocsolver6v33100L18trti2_kernel_smallILi60EdPKPdEEv13rocblas_fill_17rocblas_diagonal_T1_iil.has_indirect_call, 0
	.section	.AMDGPU.csdata,"",@progbits
; Kernel info:
; codeLenInByte = 29272
; TotalNumSgprs: 75
; NumVgprs: 134
; NumAgprs: 0
; TotalNumVgprs: 134
; ScratchSize: 496
; MemoryBound: 0
; FloatMode: 240
; IeeeMode: 1
; LDSByteSize: 960 bytes/workgroup (compile time only)
; SGPRBlocks: 9
; VGPRBlocks: 16
; NumSGPRsForWavesPerEU: 75
; NumVGPRsForWavesPerEU: 134
; AccumOffset: 136
; Occupancy: 3
; WaveLimiterHint : 1
; COMPUTE_PGM_RSRC2:SCRATCH_EN: 1
; COMPUTE_PGM_RSRC2:USER_SGPR: 2
; COMPUTE_PGM_RSRC2:TRAP_HANDLER: 0
; COMPUTE_PGM_RSRC2:TGID_X_EN: 1
; COMPUTE_PGM_RSRC2:TGID_Y_EN: 0
; COMPUTE_PGM_RSRC2:TGID_Z_EN: 0
; COMPUTE_PGM_RSRC2:TIDIG_COMP_CNT: 0
; COMPUTE_PGM_RSRC3_GFX90A:ACCUM_OFFSET: 33
; COMPUTE_PGM_RSRC3_GFX90A:TG_SPLIT: 0
	.section	.text._ZN9rocsolver6v33100L18trti2_kernel_smallILi61EdPKPdEEv13rocblas_fill_17rocblas_diagonal_T1_iil,"axG",@progbits,_ZN9rocsolver6v33100L18trti2_kernel_smallILi61EdPKPdEEv13rocblas_fill_17rocblas_diagonal_T1_iil,comdat
	.globl	_ZN9rocsolver6v33100L18trti2_kernel_smallILi61EdPKPdEEv13rocblas_fill_17rocblas_diagonal_T1_iil ; -- Begin function _ZN9rocsolver6v33100L18trti2_kernel_smallILi61EdPKPdEEv13rocblas_fill_17rocblas_diagonal_T1_iil
	.p2align	8
	.type	_ZN9rocsolver6v33100L18trti2_kernel_smallILi61EdPKPdEEv13rocblas_fill_17rocblas_diagonal_T1_iil,@function
_ZN9rocsolver6v33100L18trti2_kernel_smallILi61EdPKPdEEv13rocblas_fill_17rocblas_diagonal_T1_iil: ; @_ZN9rocsolver6v33100L18trti2_kernel_smallILi61EdPKPdEEv13rocblas_fill_17rocblas_diagonal_T1_iil
; %bb.0:
	v_cmp_gt_u32_e32 vcc, 61, v0
	s_and_saveexec_b64 s[4:5], vcc
	s_cbranch_execz .LBB124_1190
; %bb.1:
	s_load_dwordx2 s[8:9], s[0:1], 0x10
	s_load_dwordx4 s[4:7], s[0:1], 0x0
	s_ashr_i32 s3, s2, 31
	s_lshl_b64 s[0:1], s[2:3], 3
	v_lshlrev_b32_e32 v18, 3, v0
	s_waitcnt lgkmcnt(0)
	s_ashr_i32 s3, s8, 31
	s_add_u32 s0, s6, s0
	s_addc_u32 s1, s7, s1
	s_load_dwordx2 s[0:1], s[0:1], 0x0
	s_mov_b32 s2, s8
	s_lshl_b64 s[2:3], s[2:3], 3
	v_mov_b32_e32 v19, 0
	s_waitcnt lgkmcnt(0)
	s_add_u32 s0, s0, s2
	s_addc_u32 s1, s1, s3
	v_lshl_add_u64 v[2:3], s[0:1], 0, v[18:19]
	flat_load_dwordx2 v[6:7], v[2:3]
	s_mov_b32 s2, s9
	s_ashr_i32 s3, s9, 31
	v_lshl_add_u64 v[4:5], s[2:3], 3, v[2:3]
	s_add_i32 s2, s9, s9
	v_add_u32_e32 v10, s2, v0
	v_ashrrev_i32_e32 v11, 31, v10
	s_cmpk_lg_i32 s5, 0x84
	s_cselect_b64 s[6:7], -1, 0
	s_cmpk_eq_i32 s5, 0x84
	s_waitcnt vmcnt(0) lgkmcnt(0)
	scratch_store_dwordx2 off, v[6:7], off
	flat_load_dwordx2 v[8:9], v[4:5]
	v_lshl_add_u64 v[6:7], v[10:11], 3, s[0:1]
	v_add_u32_e32 v10, s9, v10
	v_ashrrev_i32_e32 v11, 31, v10
	v_add_u32_e32 v14, s9, v10
	v_ashrrev_i32_e32 v15, 31, v14
	s_waitcnt vmcnt(0) lgkmcnt(0)
	scratch_store_dwordx2 off, v[8:9], off offset:8
	flat_load_dwordx2 v[12:13], v[6:7]
	v_lshl_add_u64 v[8:9], v[10:11], 3, s[0:1]
	v_lshl_add_u64 v[10:11], v[14:15], 3, s[0:1]
	v_add_u32_e32 v14, s9, v14
	v_ashrrev_i32_e32 v15, 31, v14
	v_add_u32_e32 v20, s9, v14
	v_ashrrev_i32_e32 v21, 31, v20
	s_waitcnt vmcnt(0) lgkmcnt(0)
	scratch_store_dwordx2 off, v[12:13], off offset:16
	flat_load_dwordx2 v[12:13], v[8:9]
	s_waitcnt vmcnt(0) lgkmcnt(0)
	scratch_store_dwordx2 off, v[12:13], off offset:24
	flat_load_dwordx2 v[16:17], v[10:11]
	v_lshl_add_u64 v[12:13], v[14:15], 3, s[0:1]
	v_lshl_add_u64 v[14:15], v[20:21], 3, s[0:1]
	v_add_u32_e32 v20, s9, v20
	v_ashrrev_i32_e32 v21, 31, v20
	v_add_u32_e32 v24, s9, v20
	v_ashrrev_i32_e32 v25, 31, v24
	s_waitcnt vmcnt(0) lgkmcnt(0)
	scratch_store_dwordx2 off, v[16:17], off offset:32
	flat_load_dwordx2 v[16:17], v[12:13]
	;; [unrolled: 12-line block ×27, first 2 shown]
	s_waitcnt vmcnt(0) lgkmcnt(0)
	scratch_store_dwordx2 off, v[118:119], off offset:440
	flat_load_dwordx2 v[122:123], v[116:117]
	v_lshl_add_u64 v[118:119], v[120:121], 3, s[0:1]
	v_lshl_add_u64 v[120:121], v[124:125], 3, s[0:1]
	v_add_u32_e32 v124, s9, v124
	v_ashrrev_i32_e32 v125, 31, v124
	s_waitcnt vmcnt(0) lgkmcnt(0)
	scratch_store_dwordx2 off, v[122:123], off offset:448
	flat_load_dwordx2 v[122:123], v[118:119]
	s_waitcnt vmcnt(0) lgkmcnt(0)
	scratch_store_dwordx2 off, v[122:123], off offset:456
	flat_load_dwordx2 v[126:127], v[120:121]
	v_lshl_add_u64 v[122:123], v[124:125], 3, s[0:1]
	v_add_u32_e32 v124, s9, v124
	v_ashrrev_i32_e32 v125, 31, v124
	v_lshl_add_u64 v[124:125], v[124:125], 3, s[0:1]
	s_waitcnt vmcnt(0) lgkmcnt(0)
	scratch_store_dwordx2 off, v[126:127], off offset:464
	flat_load_dwordx2 v[126:127], v[122:123]
	s_waitcnt vmcnt(0) lgkmcnt(0)
	scratch_store_dwordx2 off, v[126:127], off offset:472
	flat_load_dwordx2 v[126:127], v[124:125]
	s_waitcnt vmcnt(0) lgkmcnt(0)
	scratch_store_dwordx2 off, v[126:127], off offset:480
	v_mov_b64_e32 v[126:127], -1.0
	s_cbranch_scc1 .LBB124_3
; %bb.2:
	scratch_load_dwordx2 v[126:127], v18, off
	s_waitcnt vmcnt(0)
	v_div_scale_f64 v[128:129], s[0:1], v[126:127], v[126:127], 1.0
	v_rcp_f64_e32 v[130:131], v[128:129]
	v_div_scale_f64 v[132:133], vcc, 1.0, v[126:127], 1.0
	v_fma_f64 v[134:135], -v[128:129], v[130:131], 1.0
	v_fmac_f64_e32 v[130:131], v[130:131], v[134:135]
	v_fma_f64 v[134:135], -v[128:129], v[130:131], 1.0
	v_fmac_f64_e32 v[130:131], v[130:131], v[134:135]
	v_mul_f64 v[134:135], v[132:133], v[130:131]
	v_fma_f64 v[128:129], -v[128:129], v[134:135], v[132:133]
	v_div_fmas_f64 v[128:129], v[128:129], v[130:131], v[134:135]
	v_div_fixup_f64 v[126:127], v[128:129], v[126:127], 1.0
	scratch_store_dwordx2 v18, v[126:127], off
	v_xor_b32_e32 v127, 0x80000000, v127
.LBB124_3:
	s_cmpk_eq_i32 s4, 0x79
	v_add_u32_e32 v1, 0x1f0, v18
	v_mov_b32_e32 v19, v18
	s_mov_b64 s[0:1], -1
	ds_write_b64 v18, v[126:127]
	s_cbranch_scc1 .LBB124_597
; %bb.4:
	scratch_load_dwordx2 v[126:127], off, off offset:472
	s_movk_i32 s8, 0x48
	s_movk_i32 s9, 0x50
	;; [unrolled: 1-line block ×50, first 2 shown]
	v_cmp_eq_u32_e64 s[0:1], 60, v0
	s_waitcnt vmcnt(0)
	ds_write_b64 v1, v[126:127]
	s_waitcnt lgkmcnt(0)
	; wave barrier
	s_and_saveexec_b64 s[2:3], s[0:1]
	s_cbranch_execz .LBB124_10
; %bb.5:
	s_and_b64 vcc, exec, s[6:7]
	s_cbranch_vccz .LBB124_7
; %bb.6:
	scratch_load_dwordx2 v[126:127], v19, off
	ds_read_b64 v[128:129], v1
	s_waitcnt vmcnt(0) lgkmcnt(0)
	v_mul_f64 v[126:127], v[126:127], v[128:129]
	s_cbranch_execz .LBB124_8
	s_branch .LBB124_9
.LBB124_7:
                                        ; implicit-def: $vgpr126_vgpr127
.LBB124_8:
	ds_read_b64 v[126:127], v1
.LBB124_9:
	v_mov_b32_e32 v128, 0
	ds_read_b64 v[128:129], v128 offset:472
	s_waitcnt lgkmcnt(0)
	v_mul_f64 v[126:127], v[126:127], v[128:129]
	scratch_store_dwordx2 off, v[126:127], off offset:472
.LBB124_10:
	s_or_b64 exec, exec, s[2:3]
	scratch_load_dwordx2 v[126:127], off, off offset:464
	s_or_b32 s10, 0, 8
	s_mov_b32 s11, 16
	s_mov_b32 s12, 24
	;; [unrolled: 1-line block ×9, first 2 shown]
	v_cmp_lt_u32_e64 s[2:3], 58, v0
	s_waitcnt vmcnt(0)
	ds_write_b64 v1, v[126:127]
	s_waitcnt lgkmcnt(0)
	; wave barrier
	s_and_saveexec_b64 s[4:5], s[2:3]
	s_cbranch_execz .LBB124_16
; %bb.11:
	s_andn2_b64 vcc, exec, s[6:7]
	s_cbranch_vccnz .LBB124_13
; %bb.12:
	scratch_load_dwordx2 v[126:127], v19, off
	ds_read_b64 v[128:129], v1
	s_waitcnt vmcnt(0) lgkmcnt(0)
	v_mul_f64 v[126:127], v[126:127], v[128:129]
	s_cbranch_execz .LBB124_14
	s_branch .LBB124_15
.LBB124_13:
                                        ; implicit-def: $vgpr126_vgpr127
.LBB124_14:
	ds_read_b64 v[126:127], v1
.LBB124_15:
	scratch_load_dwordx2 v[132:133], off, off offset:472
	v_mov_b32_e32 v128, 0
	ds_read2_b64 v[128:131], v128 offset0:58 offset1:121
	s_waitcnt vmcnt(0) lgkmcnt(0)
	v_fma_f64 v[130:131], v[132:133], v[130:131], v[126:127]
	v_cndmask_b32_e64 v127, v127, v131, s[0:1]
	v_cndmask_b32_e64 v126, v126, v130, s[0:1]
	v_mul_f64 v[126:127], v[126:127], v[128:129]
	scratch_store_dwordx2 off, v[126:127], off offset:464
.LBB124_16:
	s_or_b64 exec, exec, s[4:5]
	scratch_load_dwordx2 v[126:127], off, off offset:456
	v_cmp_lt_u32_e64 s[0:1], 57, v0
	s_waitcnt vmcnt(0)
	ds_write_b64 v1, v[126:127]
	s_waitcnt lgkmcnt(0)
	; wave barrier
	s_and_saveexec_b64 s[4:5], s[0:1]
	s_cbranch_execz .LBB124_26
; %bb.17:
	s_andn2_b64 vcc, exec, s[6:7]
	s_cbranch_vccnz .LBB124_19
; %bb.18:
	scratch_load_dwordx2 v[126:127], v19, off
	ds_read_b64 v[128:129], v1
	s_waitcnt vmcnt(0) lgkmcnt(0)
	v_mul_f64 v[126:127], v[126:127], v[128:129]
	s_cbranch_execz .LBB124_20
	s_branch .LBB124_21
.LBB124_19:
                                        ; implicit-def: $vgpr126_vgpr127
.LBB124_20:
	ds_read_b64 v[126:127], v1
.LBB124_21:
	s_and_saveexec_b64 s[8:9], s[2:3]
	s_cbranch_execz .LBB124_25
; %bb.22:
	v_subrev_u32_e32 v128, 58, v0
	s_movk_i32 s69, 0x3c0
	s_mov_b64 s[2:3], 0
.LBB124_23:                             ; =>This Inner Loop Header: Depth=1
	scratch_load_dwordx2 v[130:131], off, s68
	v_mov_b32_e32 v129, s69
	ds_read_b64 v[132:133], v129
	v_add_u32_e32 v128, -1, v128
	s_add_i32 s69, s69, 8
	s_add_i32 s68, s68, 8
	v_cmp_eq_u32_e32 vcc, 0, v128
	s_or_b64 s[2:3], vcc, s[2:3]
	s_waitcnt vmcnt(0) lgkmcnt(0)
	v_fmac_f64_e32 v[126:127], v[130:131], v[132:133]
	s_andn2_b64 exec, exec, s[2:3]
	s_cbranch_execnz .LBB124_23
; %bb.24:
	s_or_b64 exec, exec, s[2:3]
.LBB124_25:
	s_or_b64 exec, exec, s[8:9]
	v_mov_b32_e32 v128, 0
	ds_read_b64 v[128:129], v128 offset:456
	s_waitcnt lgkmcnt(0)
	v_mul_f64 v[126:127], v[126:127], v[128:129]
	scratch_store_dwordx2 off, v[126:127], off offset:456
.LBB124_26:
	s_or_b64 exec, exec, s[4:5]
	scratch_load_dwordx2 v[126:127], off, off offset:448
	v_cmp_lt_u32_e64 s[2:3], 56, v0
	s_waitcnt vmcnt(0)
	ds_write_b64 v1, v[126:127]
	s_waitcnt lgkmcnt(0)
	; wave barrier
	s_and_saveexec_b64 s[4:5], s[2:3]
	s_cbranch_execz .LBB124_36
; %bb.27:
	s_andn2_b64 vcc, exec, s[6:7]
	s_cbranch_vccnz .LBB124_29
; %bb.28:
	scratch_load_dwordx2 v[126:127], v19, off
	ds_read_b64 v[128:129], v1
	s_waitcnt vmcnt(0) lgkmcnt(0)
	v_mul_f64 v[126:127], v[126:127], v[128:129]
	s_cbranch_execz .LBB124_30
	s_branch .LBB124_31
.LBB124_29:
                                        ; implicit-def: $vgpr126_vgpr127
.LBB124_30:
	ds_read_b64 v[126:127], v1
.LBB124_31:
	s_and_saveexec_b64 s[8:9], s[0:1]
	s_cbranch_execz .LBB124_35
; %bb.32:
	v_subrev_u32_e32 v128, 57, v0
	s_movk_i32 s68, 0x3b8
	s_mov_b64 s[0:1], 0
.LBB124_33:                             ; =>This Inner Loop Header: Depth=1
	scratch_load_dwordx2 v[130:131], off, s67
	v_mov_b32_e32 v129, s68
	ds_read_b64 v[132:133], v129
	v_add_u32_e32 v128, -1, v128
	s_add_i32 s68, s68, 8
	s_add_i32 s67, s67, 8
	v_cmp_eq_u32_e32 vcc, 0, v128
	s_or_b64 s[0:1], vcc, s[0:1]
	s_waitcnt vmcnt(0) lgkmcnt(0)
	v_fmac_f64_e32 v[126:127], v[130:131], v[132:133]
	s_andn2_b64 exec, exec, s[0:1]
	s_cbranch_execnz .LBB124_33
; %bb.34:
	s_or_b64 exec, exec, s[0:1]
.LBB124_35:
	s_or_b64 exec, exec, s[8:9]
	v_mov_b32_e32 v128, 0
	ds_read_b64 v[128:129], v128 offset:448
	s_waitcnt lgkmcnt(0)
	v_mul_f64 v[126:127], v[126:127], v[128:129]
	scratch_store_dwordx2 off, v[126:127], off offset:448
.LBB124_36:
	;; [unrolled: 53-line block ×8, first 2 shown]
	s_or_b64 exec, exec, s[4:5]
	scratch_load_dwordx2 v[126:127], off, off offset:392
	v_cmp_lt_u32_e64 s[0:1], 49, v0
	s_waitcnt vmcnt(0)
	ds_write_b64 v1, v[126:127]
	s_waitcnt lgkmcnt(0)
	; wave barrier
	s_and_saveexec_b64 s[4:5], s[0:1]
	s_cbranch_execz .LBB124_106
; %bb.97:
	s_andn2_b64 vcc, exec, s[6:7]
	s_cbranch_vccnz .LBB124_99
; %bb.98:
	scratch_load_dwordx2 v[126:127], v19, off
	ds_read_b64 v[128:129], v1
	s_waitcnt vmcnt(0) lgkmcnt(0)
	v_mul_f64 v[126:127], v[126:127], v[128:129]
	s_cbranch_execz .LBB124_100
	s_branch .LBB124_101
.LBB124_99:
                                        ; implicit-def: $vgpr126_vgpr127
.LBB124_100:
	ds_read_b64 v[126:127], v1
.LBB124_101:
	s_and_saveexec_b64 s[8:9], s[2:3]
	s_cbranch_execz .LBB124_105
; %bb.102:
	v_subrev_u32_e32 v128, 50, v0
	s_movk_i32 s61, 0x380
	s_mov_b64 s[2:3], 0
.LBB124_103:                            ; =>This Inner Loop Header: Depth=1
	scratch_load_dwordx2 v[130:131], off, s60
	v_mov_b32_e32 v129, s61
	ds_read_b64 v[132:133], v129
	v_add_u32_e32 v128, -1, v128
	s_add_i32 s61, s61, 8
	s_add_i32 s60, s60, 8
	v_cmp_eq_u32_e32 vcc, 0, v128
	s_or_b64 s[2:3], vcc, s[2:3]
	s_waitcnt vmcnt(0) lgkmcnt(0)
	v_fmac_f64_e32 v[126:127], v[130:131], v[132:133]
	s_andn2_b64 exec, exec, s[2:3]
	s_cbranch_execnz .LBB124_103
; %bb.104:
	s_or_b64 exec, exec, s[2:3]
.LBB124_105:
	s_or_b64 exec, exec, s[8:9]
	v_mov_b32_e32 v128, 0
	ds_read_b64 v[128:129], v128 offset:392
	s_waitcnt lgkmcnt(0)
	v_mul_f64 v[126:127], v[126:127], v[128:129]
	scratch_store_dwordx2 off, v[126:127], off offset:392
.LBB124_106:
	s_or_b64 exec, exec, s[4:5]
	scratch_load_dwordx2 v[126:127], off, off offset:384
	v_cmp_lt_u32_e64 s[2:3], 48, v0
	s_waitcnt vmcnt(0)
	ds_write_b64 v1, v[126:127]
	s_waitcnt lgkmcnt(0)
	; wave barrier
	s_and_saveexec_b64 s[4:5], s[2:3]
	s_cbranch_execz .LBB124_116
; %bb.107:
	s_andn2_b64 vcc, exec, s[6:7]
	s_cbranch_vccnz .LBB124_109
; %bb.108:
	scratch_load_dwordx2 v[126:127], v19, off
	ds_read_b64 v[128:129], v1
	s_waitcnt vmcnt(0) lgkmcnt(0)
	v_mul_f64 v[126:127], v[126:127], v[128:129]
	s_cbranch_execz .LBB124_110
	s_branch .LBB124_111
.LBB124_109:
                                        ; implicit-def: $vgpr126_vgpr127
.LBB124_110:
	ds_read_b64 v[126:127], v1
.LBB124_111:
	s_and_saveexec_b64 s[8:9], s[0:1]
	s_cbranch_execz .LBB124_115
; %bb.112:
	v_subrev_u32_e32 v128, 49, v0
	s_movk_i32 s60, 0x378
	s_mov_b64 s[0:1], 0
.LBB124_113:                            ; =>This Inner Loop Header: Depth=1
	scratch_load_dwordx2 v[130:131], off, s59
	v_mov_b32_e32 v129, s60
	ds_read_b64 v[132:133], v129
	v_add_u32_e32 v128, -1, v128
	s_add_i32 s60, s60, 8
	s_add_i32 s59, s59, 8
	v_cmp_eq_u32_e32 vcc, 0, v128
	s_or_b64 s[0:1], vcc, s[0:1]
	s_waitcnt vmcnt(0) lgkmcnt(0)
	v_fmac_f64_e32 v[126:127], v[130:131], v[132:133]
	s_andn2_b64 exec, exec, s[0:1]
	s_cbranch_execnz .LBB124_113
; %bb.114:
	s_or_b64 exec, exec, s[0:1]
.LBB124_115:
	s_or_b64 exec, exec, s[8:9]
	v_mov_b32_e32 v128, 0
	ds_read_b64 v[128:129], v128 offset:384
	s_waitcnt lgkmcnt(0)
	v_mul_f64 v[126:127], v[126:127], v[128:129]
	scratch_store_dwordx2 off, v[126:127], off offset:384
.LBB124_116:
	;; [unrolled: 53-line block ×34, first 2 shown]
	s_or_b64 exec, exec, s[4:5]
	scratch_load_dwordx2 v[126:127], off, off offset:120
	v_cmp_lt_u32_e64 s[0:1], 15, v0
	s_waitcnt vmcnt(0)
	ds_write_b64 v1, v[126:127]
	s_waitcnt lgkmcnt(0)
	; wave barrier
	s_and_saveexec_b64 s[4:5], s[0:1]
	s_cbranch_execz .LBB124_446
; %bb.437:
	s_andn2_b64 vcc, exec, s[6:7]
	s_cbranch_vccnz .LBB124_439
; %bb.438:
	scratch_load_dwordx2 v[126:127], v19, off
	ds_read_b64 v[128:129], v1
	s_waitcnt vmcnt(0) lgkmcnt(0)
	v_mul_f64 v[126:127], v[126:127], v[128:129]
	s_cbranch_execz .LBB124_440
	s_branch .LBB124_441
.LBB124_439:
                                        ; implicit-def: $vgpr126_vgpr127
.LBB124_440:
	ds_read_b64 v[126:127], v1
.LBB124_441:
	s_and_saveexec_b64 s[8:9], s[2:3]
	s_cbranch_execz .LBB124_445
; %bb.442:
	v_add_u32_e32 v128, -16, v0
	s_movk_i32 s26, 0x270
	s_mov_b64 s[2:3], 0
.LBB124_443:                            ; =>This Inner Loop Header: Depth=1
	scratch_load_dwordx2 v[130:131], off, s25
	v_mov_b32_e32 v129, s26
	ds_read_b64 v[132:133], v129
	v_add_u32_e32 v128, -1, v128
	s_add_i32 s26, s26, 8
	s_add_i32 s25, s25, 8
	v_cmp_eq_u32_e32 vcc, 0, v128
	s_or_b64 s[2:3], vcc, s[2:3]
	s_waitcnt vmcnt(0) lgkmcnt(0)
	v_fmac_f64_e32 v[126:127], v[130:131], v[132:133]
	s_andn2_b64 exec, exec, s[2:3]
	s_cbranch_execnz .LBB124_443
; %bb.444:
	s_or_b64 exec, exec, s[2:3]
.LBB124_445:
	s_or_b64 exec, exec, s[8:9]
	v_mov_b32_e32 v128, 0
	ds_read_b64 v[128:129], v128 offset:120
	s_waitcnt lgkmcnt(0)
	v_mul_f64 v[126:127], v[126:127], v[128:129]
	scratch_store_dwordx2 off, v[126:127], off offset:120
.LBB124_446:
	s_or_b64 exec, exec, s[4:5]
	scratch_load_dwordx2 v[126:127], off, off offset:112
	v_cmp_lt_u32_e64 s[2:3], 14, v0
	s_waitcnt vmcnt(0)
	ds_write_b64 v1, v[126:127]
	s_waitcnt lgkmcnt(0)
	; wave barrier
	s_and_saveexec_b64 s[4:5], s[2:3]
	s_cbranch_execz .LBB124_456
; %bb.447:
	s_andn2_b64 vcc, exec, s[6:7]
	s_cbranch_vccnz .LBB124_449
; %bb.448:
	scratch_load_dwordx2 v[126:127], v19, off
	ds_read_b64 v[128:129], v1
	s_waitcnt vmcnt(0) lgkmcnt(0)
	v_mul_f64 v[126:127], v[126:127], v[128:129]
	s_cbranch_execz .LBB124_450
	s_branch .LBB124_451
.LBB124_449:
                                        ; implicit-def: $vgpr126_vgpr127
.LBB124_450:
	ds_read_b64 v[126:127], v1
.LBB124_451:
	s_and_saveexec_b64 s[8:9], s[0:1]
	s_cbranch_execz .LBB124_455
; %bb.452:
	v_add_u32_e32 v128, -15, v0
	s_movk_i32 s25, 0x268
	s_mov_b64 s[0:1], 0
.LBB124_453:                            ; =>This Inner Loop Header: Depth=1
	scratch_load_dwordx2 v[130:131], off, s24
	v_mov_b32_e32 v129, s25
	ds_read_b64 v[132:133], v129
	v_add_u32_e32 v128, -1, v128
	s_add_i32 s25, s25, 8
	s_add_i32 s24, s24, 8
	v_cmp_eq_u32_e32 vcc, 0, v128
	s_or_b64 s[0:1], vcc, s[0:1]
	s_waitcnt vmcnt(0) lgkmcnt(0)
	v_fmac_f64_e32 v[126:127], v[130:131], v[132:133]
	s_andn2_b64 exec, exec, s[0:1]
	s_cbranch_execnz .LBB124_453
; %bb.454:
	s_or_b64 exec, exec, s[0:1]
.LBB124_455:
	s_or_b64 exec, exec, s[8:9]
	v_mov_b32_e32 v128, 0
	ds_read_b64 v[128:129], v128 offset:112
	s_waitcnt lgkmcnt(0)
	v_mul_f64 v[126:127], v[126:127], v[128:129]
	scratch_store_dwordx2 off, v[126:127], off offset:112
.LBB124_456:
	;; [unrolled: 53-line block ×15, first 2 shown]
	s_or_b64 exec, exec, s[4:5]
	scratch_load_dwordx2 v[126:127], off, off
	v_cmp_ne_u32_e32 vcc, 0, v0
	s_waitcnt vmcnt(0)
	ds_write_b64 v1, v[126:127]
	s_waitcnt lgkmcnt(0)
	; wave barrier
	s_and_saveexec_b64 s[2:3], vcc
	s_cbranch_execz .LBB124_596
; %bb.587:
	s_andn2_b64 vcc, exec, s[6:7]
	s_cbranch_vccnz .LBB124_589
; %bb.588:
	scratch_load_dwordx2 v[126:127], v19, off
	ds_read_b64 v[128:129], v1
	s_waitcnt vmcnt(0) lgkmcnt(0)
	v_mul_f64 v[126:127], v[126:127], v[128:129]
	s_cbranch_execz .LBB124_590
	s_branch .LBB124_591
.LBB124_589:
                                        ; implicit-def: $vgpr126_vgpr127
.LBB124_590:
	ds_read_b64 v[126:127], v1
.LBB124_591:
	s_and_saveexec_b64 s[4:5], s[0:1]
	s_cbranch_execz .LBB124_595
; %bb.592:
	v_add_u32_e32 v128, -1, v0
	s_movk_i32 s8, 0x1f8
	s_mov_b64 s[0:1], 0
.LBB124_593:                            ; =>This Inner Loop Header: Depth=1
	scratch_load_dwordx2 v[130:131], off, s10
	v_mov_b32_e32 v129, s8
	ds_read_b64 v[132:133], v129
	v_add_u32_e32 v128, -1, v128
	s_add_i32 s8, s8, 8
	s_add_i32 s10, s10, 8
	v_cmp_eq_u32_e32 vcc, 0, v128
	s_or_b64 s[0:1], vcc, s[0:1]
	s_waitcnt vmcnt(0) lgkmcnt(0)
	v_fmac_f64_e32 v[126:127], v[130:131], v[132:133]
	s_andn2_b64 exec, exec, s[0:1]
	s_cbranch_execnz .LBB124_593
; %bb.594:
	s_or_b64 exec, exec, s[0:1]
.LBB124_595:
	s_or_b64 exec, exec, s[4:5]
	v_mov_b32_e32 v128, 0
	ds_read_b64 v[128:129], v128
	s_waitcnt lgkmcnt(0)
	v_mul_f64 v[126:127], v[126:127], v[128:129]
	scratch_store_dwordx2 off, v[126:127], off
.LBB124_596:
	s_or_b64 exec, exec, s[2:3]
	s_mov_b64 s[0:1], 0
.LBB124_597:
	s_and_b64 vcc, exec, s[0:1]
	s_cbranch_vccz .LBB124_1189
; %bb.598:
	scratch_load_dwordx2 v[126:127], off, off offset:8
	v_cmp_eq_u32_e64 s[2:3], 0, v0
	s_waitcnt vmcnt(0)
	ds_write_b64 v1, v[126:127]
	s_waitcnt lgkmcnt(0)
	; wave barrier
	s_and_saveexec_b64 s[0:1], s[2:3]
	s_cbranch_execz .LBB124_604
; %bb.599:
	s_and_b64 vcc, exec, s[6:7]
	s_cbranch_vccz .LBB124_601
; %bb.600:
	scratch_load_dwordx2 v[126:127], v19, off
	ds_read_b64 v[128:129], v1
	s_waitcnt vmcnt(0) lgkmcnt(0)
	v_mul_f64 v[126:127], v[126:127], v[128:129]
	s_cbranch_execz .LBB124_602
	s_branch .LBB124_603
.LBB124_601:
                                        ; implicit-def: $vgpr126_vgpr127
.LBB124_602:
	ds_read_b64 v[126:127], v1
.LBB124_603:
	v_mov_b32_e32 v128, 0
	ds_read_b64 v[128:129], v128 offset:8
	s_waitcnt lgkmcnt(0)
	v_mul_f64 v[126:127], v[126:127], v[128:129]
	scratch_store_dwordx2 off, v[126:127], off offset:8
.LBB124_604:
	s_or_b64 exec, exec, s[0:1]
	scratch_load_dwordx2 v[126:127], off, off offset:16
	v_cndmask_b32_e64 v128, 0, 1, s[6:7]
	v_cmp_gt_u32_e32 vcc, 2, v0
	v_cmp_ne_u32_e64 s[0:1], 1, v128
	s_waitcnt vmcnt(0)
	ds_write_b64 v1, v[126:127]
	s_waitcnt lgkmcnt(0)
	; wave barrier
	s_and_saveexec_b64 s[4:5], vcc
	s_cbranch_execz .LBB124_610
; %bb.605:
	s_and_b64 vcc, exec, s[0:1]
	s_cbranch_vccnz .LBB124_607
; %bb.606:
	scratch_load_dwordx2 v[126:127], v19, off
	ds_read_b64 v[128:129], v1
	s_waitcnt vmcnt(0) lgkmcnt(0)
	v_mul_f64 v[126:127], v[126:127], v[128:129]
	s_cbranch_execz .LBB124_608
	s_branch .LBB124_609
.LBB124_607:
                                        ; implicit-def: $vgpr126_vgpr127
.LBB124_608:
	ds_read_b64 v[126:127], v1
.LBB124_609:
	scratch_load_dwordx2 v[132:133], off, off offset:8
	v_mov_b32_e32 v128, 0
	ds_read2_b64 v[128:131], v128 offset0:2 offset1:63
	s_waitcnt vmcnt(0) lgkmcnt(0)
	v_fma_f64 v[130:131], v[132:133], v[130:131], v[126:127]
	v_cndmask_b32_e64 v127, v127, v131, s[2:3]
	v_cndmask_b32_e64 v126, v126, v130, s[2:3]
	v_mul_f64 v[126:127], v[126:127], v[128:129]
	scratch_store_dwordx2 off, v[126:127], off offset:16
.LBB124_610:
	s_or_b64 exec, exec, s[4:5]
	scratch_load_dwordx2 v[126:127], off, off offset:24
	v_cmp_gt_u32_e32 vcc, 3, v0
	s_waitcnt vmcnt(0)
	ds_write_b64 v1, v[126:127]
	s_waitcnt lgkmcnt(0)
	; wave barrier
	s_and_saveexec_b64 s[4:5], vcc
	s_cbranch_execz .LBB124_618
; %bb.611:
	s_and_b64 vcc, exec, s[0:1]
	s_cbranch_vccnz .LBB124_613
; %bb.612:
	scratch_load_dwordx2 v[126:127], v19, off
	ds_read_b64 v[128:129], v1
	s_waitcnt vmcnt(0) lgkmcnt(0)
	v_mul_f64 v[126:127], v[126:127], v[128:129]
	s_cbranch_execz .LBB124_614
	s_branch .LBB124_615
.LBB124_613:
                                        ; implicit-def: $vgpr126_vgpr127
.LBB124_614:
	ds_read_b64 v[126:127], v1
.LBB124_615:
	v_cmp_ne_u32_e32 vcc, 2, v0
	s_and_saveexec_b64 s[6:7], vcc
	s_cbranch_execz .LBB124_617
; %bb.616:
	scratch_load_dwordx2 v[128:129], v19, off offset:8
	scratch_load_dwordx2 v[130:131], off, off offset:16
	ds_read_b64 v[132:133], v1 offset:8
	v_mov_b32_e32 v134, 0
	ds_read_b64 v[134:135], v134 offset:512
	s_waitcnt vmcnt(1) lgkmcnt(1)
	v_fmac_f64_e32 v[126:127], v[128:129], v[132:133]
	s_waitcnt vmcnt(0) lgkmcnt(0)
	v_fma_f64 v[128:129], v[130:131], v[134:135], v[126:127]
	v_cndmask_b32_e64 v127, v127, v129, s[2:3]
	v_cndmask_b32_e64 v126, v126, v128, s[2:3]
.LBB124_617:
	s_or_b64 exec, exec, s[6:7]
	v_mov_b32_e32 v128, 0
	ds_read_b64 v[128:129], v128 offset:24
	s_waitcnt lgkmcnt(0)
	v_mul_f64 v[126:127], v[126:127], v[128:129]
	scratch_store_dwordx2 off, v[126:127], off offset:24
.LBB124_618:
	s_or_b64 exec, exec, s[4:5]
	scratch_load_dwordx2 v[126:127], off, off offset:32
	v_cmp_gt_u32_e32 vcc, 4, v0
	s_waitcnt vmcnt(0)
	ds_write_b64 v1, v[126:127]
	s_waitcnt lgkmcnt(0)
	; wave barrier
	s_and_saveexec_b64 s[2:3], vcc
	s_cbranch_execz .LBB124_628
; %bb.619:
	s_and_b64 vcc, exec, s[0:1]
	s_cbranch_vccnz .LBB124_621
; %bb.620:
	scratch_load_dwordx2 v[126:127], v19, off
	ds_read_b64 v[128:129], v1
	s_waitcnt vmcnt(0) lgkmcnt(0)
	v_mul_f64 v[126:127], v[126:127], v[128:129]
	s_cbranch_execz .LBB124_622
	s_branch .LBB124_623
.LBB124_621:
                                        ; implicit-def: $vgpr126_vgpr127
.LBB124_622:
	ds_read_b64 v[126:127], v1
.LBB124_623:
	v_cmp_ne_u32_e32 vcc, 3, v0
	s_and_saveexec_b64 s[4:5], vcc
	s_cbranch_execz .LBB124_627
; %bb.624:
	s_mov_b32 s6, 0
	v_add_u32_e32 v128, 0x1f8, v18
	v_add3_u32 v129, v18, s6, 8
	s_mov_b64 s[6:7], 0
	v_mov_b32_e32 v130, v0
.LBB124_625:                            ; =>This Inner Loop Header: Depth=1
	scratch_load_dwordx2 v[132:133], v129, off
	ds_read_b64 v[134:135], v128
	v_add_u32_e32 v130, 1, v130
	v_cmp_lt_u32_e32 vcc, 2, v130
	v_add_u32_e32 v128, 8, v128
	v_add_u32_e32 v129, 8, v129
	s_or_b64 s[6:7], vcc, s[6:7]
	s_waitcnt vmcnt(0) lgkmcnt(0)
	v_fmac_f64_e32 v[126:127], v[132:133], v[134:135]
	s_andn2_b64 exec, exec, s[6:7]
	s_cbranch_execnz .LBB124_625
; %bb.626:
	s_or_b64 exec, exec, s[6:7]
.LBB124_627:
	s_or_b64 exec, exec, s[4:5]
	v_mov_b32_e32 v128, 0
	ds_read_b64 v[128:129], v128 offset:32
	s_waitcnt lgkmcnt(0)
	v_mul_f64 v[126:127], v[126:127], v[128:129]
	scratch_store_dwordx2 off, v[126:127], off offset:32
.LBB124_628:
	s_or_b64 exec, exec, s[2:3]
	scratch_load_dwordx2 v[126:127], off, off offset:40
	v_cmp_gt_u32_e32 vcc, 5, v0
	s_waitcnt vmcnt(0)
	ds_write_b64 v1, v[126:127]
	s_waitcnt lgkmcnt(0)
	; wave barrier
	s_and_saveexec_b64 s[2:3], vcc
	s_cbranch_execz .LBB124_638
; %bb.629:
	s_and_b64 vcc, exec, s[0:1]
	s_cbranch_vccnz .LBB124_631
; %bb.630:
	scratch_load_dwordx2 v[126:127], v19, off
	ds_read_b64 v[128:129], v1
	s_waitcnt vmcnt(0) lgkmcnt(0)
	v_mul_f64 v[126:127], v[126:127], v[128:129]
	s_cbranch_execz .LBB124_632
	s_branch .LBB124_633
.LBB124_631:
                                        ; implicit-def: $vgpr126_vgpr127
.LBB124_632:
	ds_read_b64 v[126:127], v1
.LBB124_633:
	v_cmp_ne_u32_e32 vcc, 4, v0
	s_and_saveexec_b64 s[4:5], vcc
	s_cbranch_execz .LBB124_637
; %bb.634:
	s_mov_b32 s6, 0
	v_add_u32_e32 v128, 0x1f8, v18
	v_add3_u32 v129, v18, s6, 8
	s_mov_b64 s[6:7], 0
	v_mov_b32_e32 v130, v0
.LBB124_635:                            ; =>This Inner Loop Header: Depth=1
	scratch_load_dwordx2 v[132:133], v129, off
	ds_read_b64 v[134:135], v128
	v_add_u32_e32 v130, 1, v130
	v_cmp_lt_u32_e32 vcc, 3, v130
	v_add_u32_e32 v128, 8, v128
	v_add_u32_e32 v129, 8, v129
	s_or_b64 s[6:7], vcc, s[6:7]
	s_waitcnt vmcnt(0) lgkmcnt(0)
	v_fmac_f64_e32 v[126:127], v[132:133], v[134:135]
	s_andn2_b64 exec, exec, s[6:7]
	s_cbranch_execnz .LBB124_635
; %bb.636:
	s_or_b64 exec, exec, s[6:7]
.LBB124_637:
	s_or_b64 exec, exec, s[4:5]
	v_mov_b32_e32 v128, 0
	ds_read_b64 v[128:129], v128 offset:40
	s_waitcnt lgkmcnt(0)
	v_mul_f64 v[126:127], v[126:127], v[128:129]
	scratch_store_dwordx2 off, v[126:127], off offset:40
.LBB124_638:
	;; [unrolled: 55-line block ×38, first 2 shown]
	s_or_b64 exec, exec, s[2:3]
	scratch_load_dwordx2 v[126:127], off, off offset:336
	v_cmp_gt_u32_e32 vcc, 42, v0
	s_waitcnt vmcnt(0)
	ds_write_b64 v1, v[126:127]
	s_waitcnt lgkmcnt(0)
	; wave barrier
	s_and_saveexec_b64 s[2:3], vcc
	s_cbranch_execz .LBB124_1008
; %bb.999:
	s_and_b64 vcc, exec, s[0:1]
	s_cbranch_vccnz .LBB124_1001
; %bb.1000:
	scratch_load_dwordx2 v[126:127], v19, off
	ds_read_b64 v[128:129], v1
	s_waitcnt vmcnt(0) lgkmcnt(0)
	v_mul_f64 v[126:127], v[126:127], v[128:129]
	s_cbranch_execz .LBB124_1002
	s_branch .LBB124_1003
.LBB124_1001:
                                        ; implicit-def: $vgpr126_vgpr127
.LBB124_1002:
	ds_read_b64 v[126:127], v1
.LBB124_1003:
	v_cmp_ne_u32_e32 vcc, 41, v0
	s_and_saveexec_b64 s[4:5], vcc
	s_cbranch_execz .LBB124_1007
; %bb.1004:
	s_mov_b32 s6, 0
	v_add_u32_e32 v128, 0x1f8, v18
	v_add3_u32 v129, v18, s6, 8
	s_mov_b64 s[6:7], 0
	v_mov_b32_e32 v130, v0
.LBB124_1005:                           ; =>This Inner Loop Header: Depth=1
	scratch_load_dwordx2 v[132:133], v129, off
	ds_read_b64 v[134:135], v128
	v_add_u32_e32 v130, 1, v130
	v_cmp_lt_u32_e32 vcc, 40, v130
	v_add_u32_e32 v128, 8, v128
	v_add_u32_e32 v129, 8, v129
	s_or_b64 s[6:7], vcc, s[6:7]
	s_waitcnt vmcnt(0) lgkmcnt(0)
	v_fmac_f64_e32 v[126:127], v[132:133], v[134:135]
	s_andn2_b64 exec, exec, s[6:7]
	s_cbranch_execnz .LBB124_1005
; %bb.1006:
	s_or_b64 exec, exec, s[6:7]
.LBB124_1007:
	s_or_b64 exec, exec, s[4:5]
	v_mov_b32_e32 v128, 0
	ds_read_b64 v[128:129], v128 offset:336
	s_waitcnt lgkmcnt(0)
	v_mul_f64 v[126:127], v[126:127], v[128:129]
	scratch_store_dwordx2 off, v[126:127], off offset:336
.LBB124_1008:
	s_or_b64 exec, exec, s[2:3]
	scratch_load_dwordx2 v[126:127], off, off offset:344
	v_cmp_gt_u32_e32 vcc, 43, v0
	s_waitcnt vmcnt(0)
	ds_write_b64 v1, v[126:127]
	s_waitcnt lgkmcnt(0)
	; wave barrier
	s_and_saveexec_b64 s[2:3], vcc
	s_cbranch_execz .LBB124_1018
; %bb.1009:
	s_and_b64 vcc, exec, s[0:1]
	s_cbranch_vccnz .LBB124_1011
; %bb.1010:
	scratch_load_dwordx2 v[126:127], v19, off
	ds_read_b64 v[128:129], v1
	s_waitcnt vmcnt(0) lgkmcnt(0)
	v_mul_f64 v[126:127], v[126:127], v[128:129]
	s_cbranch_execz .LBB124_1012
	s_branch .LBB124_1013
.LBB124_1011:
                                        ; implicit-def: $vgpr126_vgpr127
.LBB124_1012:
	ds_read_b64 v[126:127], v1
.LBB124_1013:
	v_cmp_ne_u32_e32 vcc, 42, v0
	s_and_saveexec_b64 s[4:5], vcc
	s_cbranch_execz .LBB124_1017
; %bb.1014:
	s_mov_b32 s6, 0
	v_add_u32_e32 v128, 0x1f8, v18
	v_add3_u32 v129, v18, s6, 8
	s_mov_b64 s[6:7], 0
	v_mov_b32_e32 v130, v0
.LBB124_1015:                           ; =>This Inner Loop Header: Depth=1
	scratch_load_dwordx2 v[132:133], v129, off
	ds_read_b64 v[134:135], v128
	v_add_u32_e32 v130, 1, v130
	v_cmp_lt_u32_e32 vcc, 41, v130
	v_add_u32_e32 v128, 8, v128
	v_add_u32_e32 v129, 8, v129
	s_or_b64 s[6:7], vcc, s[6:7]
	s_waitcnt vmcnt(0) lgkmcnt(0)
	v_fmac_f64_e32 v[126:127], v[132:133], v[134:135]
	s_andn2_b64 exec, exec, s[6:7]
	s_cbranch_execnz .LBB124_1015
; %bb.1016:
	s_or_b64 exec, exec, s[6:7]
.LBB124_1017:
	s_or_b64 exec, exec, s[4:5]
	v_mov_b32_e32 v128, 0
	ds_read_b64 v[128:129], v128 offset:344
	s_waitcnt lgkmcnt(0)
	v_mul_f64 v[126:127], v[126:127], v[128:129]
	scratch_store_dwordx2 off, v[126:127], off offset:344
.LBB124_1018:
	;; [unrolled: 55-line block ×17, first 2 shown]
	s_or_b64 exec, exec, s[2:3]
	scratch_load_dwordx2 v[126:127], off, off offset:472
	v_cmp_gt_u32_e64 s[2:3], 59, v0
	s_waitcnt vmcnt(0)
	ds_write_b64 v1, v[126:127]
	s_waitcnt lgkmcnt(0)
	; wave barrier
	s_and_saveexec_b64 s[4:5], s[2:3]
	s_cbranch_execz .LBB124_1178
; %bb.1169:
	s_and_b64 vcc, exec, s[0:1]
	s_cbranch_vccnz .LBB124_1171
; %bb.1170:
	scratch_load_dwordx2 v[126:127], v19, off
	ds_read_b64 v[128:129], v1
	s_waitcnt vmcnt(0) lgkmcnt(0)
	v_mul_f64 v[126:127], v[126:127], v[128:129]
	s_cbranch_execz .LBB124_1172
	s_branch .LBB124_1173
.LBB124_1171:
                                        ; implicit-def: $vgpr126_vgpr127
.LBB124_1172:
	ds_read_b64 v[126:127], v1
.LBB124_1173:
	v_cmp_ne_u32_e32 vcc, 58, v0
	s_and_saveexec_b64 s[6:7], vcc
	s_cbranch_execz .LBB124_1177
; %bb.1174:
	s_mov_b32 s8, 0
	v_add_u32_e32 v128, 0x1f8, v18
	v_add3_u32 v129, v18, s8, 8
	s_mov_b64 s[8:9], 0
	v_mov_b32_e32 v130, v0
.LBB124_1175:                           ; =>This Inner Loop Header: Depth=1
	scratch_load_dwordx2 v[132:133], v129, off
	ds_read_b64 v[134:135], v128
	v_add_u32_e32 v130, 1, v130
	v_cmp_lt_u32_e32 vcc, 57, v130
	v_add_u32_e32 v128, 8, v128
	v_add_u32_e32 v129, 8, v129
	s_or_b64 s[8:9], vcc, s[8:9]
	s_waitcnt vmcnt(0) lgkmcnt(0)
	v_fmac_f64_e32 v[126:127], v[132:133], v[134:135]
	s_andn2_b64 exec, exec, s[8:9]
	s_cbranch_execnz .LBB124_1175
; %bb.1176:
	s_or_b64 exec, exec, s[8:9]
.LBB124_1177:
	s_or_b64 exec, exec, s[6:7]
	v_mov_b32_e32 v128, 0
	ds_read_b64 v[128:129], v128 offset:472
	s_waitcnt lgkmcnt(0)
	v_mul_f64 v[126:127], v[126:127], v[128:129]
	scratch_store_dwordx2 off, v[126:127], off offset:472
.LBB124_1178:
	s_or_b64 exec, exec, s[4:5]
	scratch_load_dwordx2 v[126:127], off, off offset:480
	v_cmp_ne_u32_e32 vcc, 60, v0
	s_waitcnt vmcnt(0)
	ds_write_b64 v1, v[126:127]
	s_waitcnt lgkmcnt(0)
	; wave barrier
	s_and_saveexec_b64 s[4:5], vcc
	s_cbranch_execz .LBB124_1188
; %bb.1179:
	s_and_b64 vcc, exec, s[0:1]
	s_cbranch_vccnz .LBB124_1181
; %bb.1180:
	scratch_load_dwordx2 v[126:127], v19, off
	ds_read_b64 v[128:129], v1
	s_waitcnt vmcnt(0) lgkmcnt(0)
	v_mul_f64 v[126:127], v[126:127], v[128:129]
	s_cbranch_execz .LBB124_1182
	s_branch .LBB124_1183
.LBB124_1181:
                                        ; implicit-def: $vgpr126_vgpr127
.LBB124_1182:
	ds_read_b64 v[126:127], v1
.LBB124_1183:
	s_and_saveexec_b64 s[0:1], s[2:3]
	s_cbranch_execz .LBB124_1187
; %bb.1184:
	s_mov_b32 s2, 0
	v_add_u32_e32 v1, 0x1f8, v18
	v_add3_u32 v18, v18, s2, 8
	s_mov_b64 s[2:3], 0
.LBB124_1185:                           ; =>This Inner Loop Header: Depth=1
	scratch_load_dwordx2 v[128:129], v18, off
	ds_read_b64 v[130:131], v1
	v_add_u32_e32 v0, 1, v0
	v_cmp_lt_u32_e32 vcc, 58, v0
	v_add_u32_e32 v1, 8, v1
	v_add_u32_e32 v18, 8, v18
	s_or_b64 s[2:3], vcc, s[2:3]
	s_waitcnt vmcnt(0) lgkmcnt(0)
	v_fmac_f64_e32 v[126:127], v[128:129], v[130:131]
	s_andn2_b64 exec, exec, s[2:3]
	s_cbranch_execnz .LBB124_1185
; %bb.1186:
	s_or_b64 exec, exec, s[2:3]
.LBB124_1187:
	s_or_b64 exec, exec, s[0:1]
	v_mov_b32_e32 v0, 0
	ds_read_b64 v[0:1], v0 offset:480
	s_waitcnt lgkmcnt(0)
	v_mul_f64 v[0:1], v[126:127], v[0:1]
	scratch_store_dwordx2 off, v[0:1], off offset:480
.LBB124_1188:
	s_or_b64 exec, exec, s[4:5]
.LBB124_1189:
	scratch_load_dwordx2 v[0:1], off, off
	s_waitcnt vmcnt(0)
	flat_store_dwordx2 v[2:3], v[0:1]
	scratch_load_dwordx2 v[0:1], off, off offset:8
	s_waitcnt vmcnt(0)
	flat_store_dwordx2 v[4:5], v[0:1]
	scratch_load_dwordx2 v[0:1], off, off offset:16
	;; [unrolled: 3-line block ×60, first 2 shown]
	s_waitcnt vmcnt(0)
	flat_store_dwordx2 v[124:125], v[0:1]
.LBB124_1190:
	s_endpgm
	.section	.rodata,"a",@progbits
	.p2align	6, 0x0
	.amdhsa_kernel _ZN9rocsolver6v33100L18trti2_kernel_smallILi61EdPKPdEEv13rocblas_fill_17rocblas_diagonal_T1_iil
		.amdhsa_group_segment_fixed_size 984
		.amdhsa_private_segment_fixed_size 496
		.amdhsa_kernarg_size 32
		.amdhsa_user_sgpr_count 2
		.amdhsa_user_sgpr_dispatch_ptr 0
		.amdhsa_user_sgpr_queue_ptr 0
		.amdhsa_user_sgpr_kernarg_segment_ptr 1
		.amdhsa_user_sgpr_dispatch_id 0
		.amdhsa_user_sgpr_kernarg_preload_length 0
		.amdhsa_user_sgpr_kernarg_preload_offset 0
		.amdhsa_user_sgpr_private_segment_size 0
		.amdhsa_uses_dynamic_stack 0
		.amdhsa_enable_private_segment 1
		.amdhsa_system_sgpr_workgroup_id_x 1
		.amdhsa_system_sgpr_workgroup_id_y 0
		.amdhsa_system_sgpr_workgroup_id_z 0
		.amdhsa_system_sgpr_workgroup_info 0
		.amdhsa_system_vgpr_workitem_id 0
		.amdhsa_next_free_vgpr 136
		.amdhsa_next_free_sgpr 70
		.amdhsa_accum_offset 136
		.amdhsa_reserve_vcc 1
		.amdhsa_float_round_mode_32 0
		.amdhsa_float_round_mode_16_64 0
		.amdhsa_float_denorm_mode_32 3
		.amdhsa_float_denorm_mode_16_64 3
		.amdhsa_dx10_clamp 1
		.amdhsa_ieee_mode 1
		.amdhsa_fp16_overflow 0
		.amdhsa_tg_split 0
		.amdhsa_exception_fp_ieee_invalid_op 0
		.amdhsa_exception_fp_denorm_src 0
		.amdhsa_exception_fp_ieee_div_zero 0
		.amdhsa_exception_fp_ieee_overflow 0
		.amdhsa_exception_fp_ieee_underflow 0
		.amdhsa_exception_fp_ieee_inexact 0
		.amdhsa_exception_int_div_zero 0
	.end_amdhsa_kernel
	.section	.text._ZN9rocsolver6v33100L18trti2_kernel_smallILi61EdPKPdEEv13rocblas_fill_17rocblas_diagonal_T1_iil,"axG",@progbits,_ZN9rocsolver6v33100L18trti2_kernel_smallILi61EdPKPdEEv13rocblas_fill_17rocblas_diagonal_T1_iil,comdat
.Lfunc_end124:
	.size	_ZN9rocsolver6v33100L18trti2_kernel_smallILi61EdPKPdEEv13rocblas_fill_17rocblas_diagonal_T1_iil, .Lfunc_end124-_ZN9rocsolver6v33100L18trti2_kernel_smallILi61EdPKPdEEv13rocblas_fill_17rocblas_diagonal_T1_iil
                                        ; -- End function
	.set _ZN9rocsolver6v33100L18trti2_kernel_smallILi61EdPKPdEEv13rocblas_fill_17rocblas_diagonal_T1_iil.num_vgpr, 136
	.set _ZN9rocsolver6v33100L18trti2_kernel_smallILi61EdPKPdEEv13rocblas_fill_17rocblas_diagonal_T1_iil.num_agpr, 0
	.set _ZN9rocsolver6v33100L18trti2_kernel_smallILi61EdPKPdEEv13rocblas_fill_17rocblas_diagonal_T1_iil.numbered_sgpr, 70
	.set _ZN9rocsolver6v33100L18trti2_kernel_smallILi61EdPKPdEEv13rocblas_fill_17rocblas_diagonal_T1_iil.num_named_barrier, 0
	.set _ZN9rocsolver6v33100L18trti2_kernel_smallILi61EdPKPdEEv13rocblas_fill_17rocblas_diagonal_T1_iil.private_seg_size, 496
	.set _ZN9rocsolver6v33100L18trti2_kernel_smallILi61EdPKPdEEv13rocblas_fill_17rocblas_diagonal_T1_iil.uses_vcc, 1
	.set _ZN9rocsolver6v33100L18trti2_kernel_smallILi61EdPKPdEEv13rocblas_fill_17rocblas_diagonal_T1_iil.uses_flat_scratch, 0
	.set _ZN9rocsolver6v33100L18trti2_kernel_smallILi61EdPKPdEEv13rocblas_fill_17rocblas_diagonal_T1_iil.has_dyn_sized_stack, 0
	.set _ZN9rocsolver6v33100L18trti2_kernel_smallILi61EdPKPdEEv13rocblas_fill_17rocblas_diagonal_T1_iil.has_recursion, 0
	.set _ZN9rocsolver6v33100L18trti2_kernel_smallILi61EdPKPdEEv13rocblas_fill_17rocblas_diagonal_T1_iil.has_indirect_call, 0
	.section	.AMDGPU.csdata,"",@progbits
; Kernel info:
; codeLenInByte = 29768
; TotalNumSgprs: 76
; NumVgprs: 136
; NumAgprs: 0
; TotalNumVgprs: 136
; ScratchSize: 496
; MemoryBound: 0
; FloatMode: 240
; IeeeMode: 1
; LDSByteSize: 984 bytes/workgroup (compile time only)
; SGPRBlocks: 9
; VGPRBlocks: 16
; NumSGPRsForWavesPerEU: 76
; NumVGPRsForWavesPerEU: 136
; AccumOffset: 136
; Occupancy: 3
; WaveLimiterHint : 1
; COMPUTE_PGM_RSRC2:SCRATCH_EN: 1
; COMPUTE_PGM_RSRC2:USER_SGPR: 2
; COMPUTE_PGM_RSRC2:TRAP_HANDLER: 0
; COMPUTE_PGM_RSRC2:TGID_X_EN: 1
; COMPUTE_PGM_RSRC2:TGID_Y_EN: 0
; COMPUTE_PGM_RSRC2:TGID_Z_EN: 0
; COMPUTE_PGM_RSRC2:TIDIG_COMP_CNT: 0
; COMPUTE_PGM_RSRC3_GFX90A:ACCUM_OFFSET: 33
; COMPUTE_PGM_RSRC3_GFX90A:TG_SPLIT: 0
	.section	.text._ZN9rocsolver6v33100L18trti2_kernel_smallILi62EdPKPdEEv13rocblas_fill_17rocblas_diagonal_T1_iil,"axG",@progbits,_ZN9rocsolver6v33100L18trti2_kernel_smallILi62EdPKPdEEv13rocblas_fill_17rocblas_diagonal_T1_iil,comdat
	.globl	_ZN9rocsolver6v33100L18trti2_kernel_smallILi62EdPKPdEEv13rocblas_fill_17rocblas_diagonal_T1_iil ; -- Begin function _ZN9rocsolver6v33100L18trti2_kernel_smallILi62EdPKPdEEv13rocblas_fill_17rocblas_diagonal_T1_iil
	.p2align	8
	.type	_ZN9rocsolver6v33100L18trti2_kernel_smallILi62EdPKPdEEv13rocblas_fill_17rocblas_diagonal_T1_iil,@function
_ZN9rocsolver6v33100L18trti2_kernel_smallILi62EdPKPdEEv13rocblas_fill_17rocblas_diagonal_T1_iil: ; @_ZN9rocsolver6v33100L18trti2_kernel_smallILi62EdPKPdEEv13rocblas_fill_17rocblas_diagonal_T1_iil
; %bb.0:
	v_cmp_gt_u32_e32 vcc, 62, v0
	s_and_saveexec_b64 s[4:5], vcc
	s_cbranch_execz .LBB125_1210
; %bb.1:
	s_load_dwordx2 s[8:9], s[0:1], 0x10
	s_load_dwordx4 s[4:7], s[0:1], 0x0
	s_ashr_i32 s3, s2, 31
	s_lshl_b64 s[0:1], s[2:3], 3
	v_lshlrev_b32_e32 v18, 3, v0
	s_waitcnt lgkmcnt(0)
	s_ashr_i32 s3, s8, 31
	s_add_u32 s0, s6, s0
	s_addc_u32 s1, s7, s1
	s_load_dwordx2 s[0:1], s[0:1], 0x0
	s_mov_b32 s2, s8
	s_lshl_b64 s[2:3], s[2:3], 3
	v_mov_b32_e32 v19, 0
	s_waitcnt lgkmcnt(0)
	s_add_u32 s0, s0, s2
	s_addc_u32 s1, s1, s3
	v_lshl_add_u64 v[2:3], s[0:1], 0, v[18:19]
	flat_load_dwordx2 v[6:7], v[2:3]
	s_mov_b32 s2, s9
	s_ashr_i32 s3, s9, 31
	v_lshl_add_u64 v[4:5], s[2:3], 3, v[2:3]
	s_add_i32 s2, s9, s9
	v_add_u32_e32 v10, s2, v0
	v_ashrrev_i32_e32 v11, 31, v10
	s_cmpk_lg_i32 s5, 0x84
	s_cselect_b64 s[6:7], -1, 0
	s_cmpk_eq_i32 s5, 0x84
	s_waitcnt vmcnt(0) lgkmcnt(0)
	scratch_store_dwordx2 off, v[6:7], off
	flat_load_dwordx2 v[8:9], v[4:5]
	v_lshl_add_u64 v[6:7], v[10:11], 3, s[0:1]
	v_add_u32_e32 v10, s9, v10
	v_ashrrev_i32_e32 v11, 31, v10
	v_add_u32_e32 v14, s9, v10
	v_ashrrev_i32_e32 v15, 31, v14
	s_waitcnt vmcnt(0) lgkmcnt(0)
	scratch_store_dwordx2 off, v[8:9], off offset:8
	flat_load_dwordx2 v[12:13], v[6:7]
	v_lshl_add_u64 v[8:9], v[10:11], 3, s[0:1]
	v_lshl_add_u64 v[10:11], v[14:15], 3, s[0:1]
	v_add_u32_e32 v14, s9, v14
	v_ashrrev_i32_e32 v15, 31, v14
	v_add_u32_e32 v20, s9, v14
	v_ashrrev_i32_e32 v21, 31, v20
	s_waitcnt vmcnt(0) lgkmcnt(0)
	scratch_store_dwordx2 off, v[12:13], off offset:16
	flat_load_dwordx2 v[12:13], v[8:9]
	s_waitcnt vmcnt(0) lgkmcnt(0)
	scratch_store_dwordx2 off, v[12:13], off offset:24
	flat_load_dwordx2 v[16:17], v[10:11]
	v_lshl_add_u64 v[12:13], v[14:15], 3, s[0:1]
	v_lshl_add_u64 v[14:15], v[20:21], 3, s[0:1]
	v_add_u32_e32 v20, s9, v20
	v_ashrrev_i32_e32 v21, 31, v20
	v_add_u32_e32 v24, s9, v20
	v_ashrrev_i32_e32 v25, 31, v24
	s_waitcnt vmcnt(0) lgkmcnt(0)
	scratch_store_dwordx2 off, v[16:17], off offset:32
	flat_load_dwordx2 v[16:17], v[12:13]
	;; [unrolled: 12-line block ×28, first 2 shown]
	s_waitcnt vmcnt(0) lgkmcnt(0)
	scratch_store_dwordx2 off, v[122:123], off offset:456
	flat_load_dwordx2 v[126:127], v[120:121]
	v_lshl_add_u64 v[122:123], v[124:125], 3, s[0:1]
	v_lshl_add_u64 v[124:125], v[128:129], 3, s[0:1]
	s_waitcnt vmcnt(0) lgkmcnt(0)
	scratch_store_dwordx2 off, v[126:127], off offset:464
	flat_load_dwordx2 v[126:127], v[122:123]
	s_waitcnt vmcnt(0) lgkmcnt(0)
	scratch_store_dwordx2 off, v[126:127], off offset:472
	flat_load_dwordx2 v[130:131], v[124:125]
	v_add_u32_e32 v126, s9, v128
	v_ashrrev_i32_e32 v127, 31, v126
	v_lshl_add_u64 v[126:127], v[126:127], 3, s[0:1]
	s_waitcnt vmcnt(0) lgkmcnt(0)
	scratch_store_dwordx2 off, v[130:131], off offset:480
	flat_load_dwordx2 v[128:129], v[126:127]
	s_waitcnt vmcnt(0) lgkmcnt(0)
	scratch_store_dwordx2 off, v[128:129], off offset:488
	v_mov_b64_e32 v[128:129], -1.0
	s_cbranch_scc1 .LBB125_3
; %bb.2:
	scratch_load_dwordx2 v[128:129], v18, off
	s_waitcnt vmcnt(0)
	v_div_scale_f64 v[130:131], s[0:1], v[128:129], v[128:129], 1.0
	v_rcp_f64_e32 v[132:133], v[130:131]
	v_div_scale_f64 v[134:135], vcc, 1.0, v[128:129], 1.0
	v_fma_f64 v[136:137], -v[130:131], v[132:133], 1.0
	v_fmac_f64_e32 v[132:133], v[132:133], v[136:137]
	v_fma_f64 v[136:137], -v[130:131], v[132:133], 1.0
	v_fmac_f64_e32 v[132:133], v[132:133], v[136:137]
	v_mul_f64 v[136:137], v[134:135], v[132:133]
	v_fma_f64 v[130:131], -v[130:131], v[136:137], v[134:135]
	v_div_fmas_f64 v[130:131], v[130:131], v[132:133], v[136:137]
	v_div_fixup_f64 v[128:129], v[130:131], v[128:129], 1.0
	scratch_store_dwordx2 v18, v[128:129], off
	v_xor_b32_e32 v129, 0x80000000, v129
.LBB125_3:
	s_cmpk_eq_i32 s4, 0x79
	v_add_u32_e32 v1, 0x1f0, v18
	v_mov_b32_e32 v19, v18
	s_mov_b64 s[0:1], -1
	ds_write_b64 v18, v[128:129]
	s_cbranch_scc1 .LBB125_607
; %bb.4:
	scratch_load_dwordx2 v[128:129], off, off offset:480
	s_movk_i32 s8, 0x48
	s_movk_i32 s9, 0x50
	;; [unrolled: 1-line block ×51, first 2 shown]
	v_cmp_eq_u32_e64 s[0:1], 61, v0
	s_waitcnt vmcnt(0)
	ds_write_b64 v1, v[128:129]
	s_waitcnt lgkmcnt(0)
	; wave barrier
	s_and_saveexec_b64 s[2:3], s[0:1]
	s_cbranch_execz .LBB125_10
; %bb.5:
	s_and_b64 vcc, exec, s[6:7]
	s_cbranch_vccz .LBB125_7
; %bb.6:
	scratch_load_dwordx2 v[128:129], v19, off
	ds_read_b64 v[130:131], v1
	s_waitcnt vmcnt(0) lgkmcnt(0)
	v_mul_f64 v[128:129], v[128:129], v[130:131]
	s_cbranch_execz .LBB125_8
	s_branch .LBB125_9
.LBB125_7:
                                        ; implicit-def: $vgpr128_vgpr129
.LBB125_8:
	ds_read_b64 v[128:129], v1
.LBB125_9:
	v_mov_b32_e32 v130, 0
	ds_read_b64 v[130:131], v130 offset:480
	s_waitcnt lgkmcnt(0)
	v_mul_f64 v[128:129], v[128:129], v[130:131]
	scratch_store_dwordx2 off, v[128:129], off offset:480
.LBB125_10:
	s_or_b64 exec, exec, s[2:3]
	scratch_load_dwordx2 v[128:129], off, off offset:472
	s_or_b32 s10, 0, 8
	s_mov_b32 s11, 16
	s_mov_b32 s12, 24
	;; [unrolled: 1-line block ×9, first 2 shown]
	v_cmp_lt_u32_e64 s[2:3], 59, v0
	s_waitcnt vmcnt(0)
	ds_write_b64 v1, v[128:129]
	s_waitcnt lgkmcnt(0)
	; wave barrier
	s_and_saveexec_b64 s[4:5], s[2:3]
	s_cbranch_execz .LBB125_16
; %bb.11:
	s_andn2_b64 vcc, exec, s[6:7]
	s_cbranch_vccnz .LBB125_13
; %bb.12:
	scratch_load_dwordx2 v[128:129], v19, off
	ds_read_b64 v[130:131], v1
	s_waitcnt vmcnt(0) lgkmcnt(0)
	v_mul_f64 v[128:129], v[128:129], v[130:131]
	s_cbranch_execz .LBB125_14
	s_branch .LBB125_15
.LBB125_13:
                                        ; implicit-def: $vgpr128_vgpr129
.LBB125_14:
	ds_read_b64 v[128:129], v1
.LBB125_15:
	scratch_load_dwordx2 v[134:135], off, off offset:480
	v_mov_b32_e32 v130, 0
	ds_read2_b64 v[130:133], v130 offset0:59 offset1:122
	s_waitcnt vmcnt(0) lgkmcnt(0)
	v_fma_f64 v[132:133], v[134:135], v[132:133], v[128:129]
	v_cndmask_b32_e64 v129, v129, v133, s[0:1]
	v_cndmask_b32_e64 v128, v128, v132, s[0:1]
	v_mul_f64 v[128:129], v[128:129], v[130:131]
	scratch_store_dwordx2 off, v[128:129], off offset:472
.LBB125_16:
	s_or_b64 exec, exec, s[4:5]
	scratch_load_dwordx2 v[128:129], off, off offset:464
	v_cmp_lt_u32_e64 s[0:1], 58, v0
	s_waitcnt vmcnt(0)
	ds_write_b64 v1, v[128:129]
	s_waitcnt lgkmcnt(0)
	; wave barrier
	s_and_saveexec_b64 s[4:5], s[0:1]
	s_cbranch_execz .LBB125_26
; %bb.17:
	s_andn2_b64 vcc, exec, s[6:7]
	s_cbranch_vccnz .LBB125_19
; %bb.18:
	scratch_load_dwordx2 v[128:129], v19, off
	ds_read_b64 v[130:131], v1
	s_waitcnt vmcnt(0) lgkmcnt(0)
	v_mul_f64 v[128:129], v[128:129], v[130:131]
	s_cbranch_execz .LBB125_20
	s_branch .LBB125_21
.LBB125_19:
                                        ; implicit-def: $vgpr128_vgpr129
.LBB125_20:
	ds_read_b64 v[128:129], v1
.LBB125_21:
	s_and_saveexec_b64 s[8:9], s[2:3]
	s_cbranch_execz .LBB125_25
; %bb.22:
	v_subrev_u32_e32 v130, 59, v0
	s_movk_i32 s70, 0x3c8
	s_mov_b64 s[2:3], 0
.LBB125_23:                             ; =>This Inner Loop Header: Depth=1
	scratch_load_dwordx2 v[132:133], off, s69
	v_mov_b32_e32 v131, s70
	ds_read_b64 v[134:135], v131
	v_add_u32_e32 v130, -1, v130
	s_add_i32 s70, s70, 8
	s_add_i32 s69, s69, 8
	v_cmp_eq_u32_e32 vcc, 0, v130
	s_or_b64 s[2:3], vcc, s[2:3]
	s_waitcnt vmcnt(0) lgkmcnt(0)
	v_fmac_f64_e32 v[128:129], v[132:133], v[134:135]
	s_andn2_b64 exec, exec, s[2:3]
	s_cbranch_execnz .LBB125_23
; %bb.24:
	s_or_b64 exec, exec, s[2:3]
.LBB125_25:
	s_or_b64 exec, exec, s[8:9]
	v_mov_b32_e32 v130, 0
	ds_read_b64 v[130:131], v130 offset:464
	s_waitcnt lgkmcnt(0)
	v_mul_f64 v[128:129], v[128:129], v[130:131]
	scratch_store_dwordx2 off, v[128:129], off offset:464
.LBB125_26:
	s_or_b64 exec, exec, s[4:5]
	scratch_load_dwordx2 v[128:129], off, off offset:456
	v_cmp_lt_u32_e64 s[2:3], 57, v0
	s_waitcnt vmcnt(0)
	ds_write_b64 v1, v[128:129]
	s_waitcnt lgkmcnt(0)
	; wave barrier
	s_and_saveexec_b64 s[4:5], s[2:3]
	s_cbranch_execz .LBB125_36
; %bb.27:
	s_andn2_b64 vcc, exec, s[6:7]
	s_cbranch_vccnz .LBB125_29
; %bb.28:
	scratch_load_dwordx2 v[128:129], v19, off
	ds_read_b64 v[130:131], v1
	s_waitcnt vmcnt(0) lgkmcnt(0)
	v_mul_f64 v[128:129], v[128:129], v[130:131]
	s_cbranch_execz .LBB125_30
	s_branch .LBB125_31
.LBB125_29:
                                        ; implicit-def: $vgpr128_vgpr129
.LBB125_30:
	ds_read_b64 v[128:129], v1
.LBB125_31:
	s_and_saveexec_b64 s[8:9], s[0:1]
	s_cbranch_execz .LBB125_35
; %bb.32:
	v_subrev_u32_e32 v130, 58, v0
	s_movk_i32 s69, 0x3c0
	s_mov_b64 s[0:1], 0
.LBB125_33:                             ; =>This Inner Loop Header: Depth=1
	scratch_load_dwordx2 v[132:133], off, s68
	v_mov_b32_e32 v131, s69
	ds_read_b64 v[134:135], v131
	v_add_u32_e32 v130, -1, v130
	s_add_i32 s69, s69, 8
	s_add_i32 s68, s68, 8
	v_cmp_eq_u32_e32 vcc, 0, v130
	s_or_b64 s[0:1], vcc, s[0:1]
	s_waitcnt vmcnt(0) lgkmcnt(0)
	v_fmac_f64_e32 v[128:129], v[132:133], v[134:135]
	s_andn2_b64 exec, exec, s[0:1]
	s_cbranch_execnz .LBB125_33
; %bb.34:
	s_or_b64 exec, exec, s[0:1]
.LBB125_35:
	s_or_b64 exec, exec, s[8:9]
	v_mov_b32_e32 v130, 0
	ds_read_b64 v[130:131], v130 offset:456
	s_waitcnt lgkmcnt(0)
	v_mul_f64 v[128:129], v[128:129], v[130:131]
	scratch_store_dwordx2 off, v[128:129], off offset:456
.LBB125_36:
	;; [unrolled: 53-line block ×8, first 2 shown]
	s_or_b64 exec, exec, s[4:5]
	scratch_load_dwordx2 v[128:129], off, off offset:400
	v_cmp_lt_u32_e64 s[0:1], 50, v0
	s_waitcnt vmcnt(0)
	ds_write_b64 v1, v[128:129]
	s_waitcnt lgkmcnt(0)
	; wave barrier
	s_and_saveexec_b64 s[4:5], s[0:1]
	s_cbranch_execz .LBB125_106
; %bb.97:
	s_andn2_b64 vcc, exec, s[6:7]
	s_cbranch_vccnz .LBB125_99
; %bb.98:
	scratch_load_dwordx2 v[128:129], v19, off
	ds_read_b64 v[130:131], v1
	s_waitcnt vmcnt(0) lgkmcnt(0)
	v_mul_f64 v[128:129], v[128:129], v[130:131]
	s_cbranch_execz .LBB125_100
	s_branch .LBB125_101
.LBB125_99:
                                        ; implicit-def: $vgpr128_vgpr129
.LBB125_100:
	ds_read_b64 v[128:129], v1
.LBB125_101:
	s_and_saveexec_b64 s[8:9], s[2:3]
	s_cbranch_execz .LBB125_105
; %bb.102:
	v_subrev_u32_e32 v130, 51, v0
	s_movk_i32 s62, 0x388
	s_mov_b64 s[2:3], 0
.LBB125_103:                            ; =>This Inner Loop Header: Depth=1
	scratch_load_dwordx2 v[132:133], off, s61
	v_mov_b32_e32 v131, s62
	ds_read_b64 v[134:135], v131
	v_add_u32_e32 v130, -1, v130
	s_add_i32 s62, s62, 8
	s_add_i32 s61, s61, 8
	v_cmp_eq_u32_e32 vcc, 0, v130
	s_or_b64 s[2:3], vcc, s[2:3]
	s_waitcnt vmcnt(0) lgkmcnt(0)
	v_fmac_f64_e32 v[128:129], v[132:133], v[134:135]
	s_andn2_b64 exec, exec, s[2:3]
	s_cbranch_execnz .LBB125_103
; %bb.104:
	s_or_b64 exec, exec, s[2:3]
.LBB125_105:
	s_or_b64 exec, exec, s[8:9]
	v_mov_b32_e32 v130, 0
	ds_read_b64 v[130:131], v130 offset:400
	s_waitcnt lgkmcnt(0)
	v_mul_f64 v[128:129], v[128:129], v[130:131]
	scratch_store_dwordx2 off, v[128:129], off offset:400
.LBB125_106:
	s_or_b64 exec, exec, s[4:5]
	scratch_load_dwordx2 v[128:129], off, off offset:392
	v_cmp_lt_u32_e64 s[2:3], 49, v0
	s_waitcnt vmcnt(0)
	ds_write_b64 v1, v[128:129]
	s_waitcnt lgkmcnt(0)
	; wave barrier
	s_and_saveexec_b64 s[4:5], s[2:3]
	s_cbranch_execz .LBB125_116
; %bb.107:
	s_andn2_b64 vcc, exec, s[6:7]
	s_cbranch_vccnz .LBB125_109
; %bb.108:
	scratch_load_dwordx2 v[128:129], v19, off
	ds_read_b64 v[130:131], v1
	s_waitcnt vmcnt(0) lgkmcnt(0)
	v_mul_f64 v[128:129], v[128:129], v[130:131]
	s_cbranch_execz .LBB125_110
	s_branch .LBB125_111
.LBB125_109:
                                        ; implicit-def: $vgpr128_vgpr129
.LBB125_110:
	ds_read_b64 v[128:129], v1
.LBB125_111:
	s_and_saveexec_b64 s[8:9], s[0:1]
	s_cbranch_execz .LBB125_115
; %bb.112:
	v_subrev_u32_e32 v130, 50, v0
	s_movk_i32 s61, 0x380
	s_mov_b64 s[0:1], 0
.LBB125_113:                            ; =>This Inner Loop Header: Depth=1
	scratch_load_dwordx2 v[132:133], off, s60
	v_mov_b32_e32 v131, s61
	ds_read_b64 v[134:135], v131
	v_add_u32_e32 v130, -1, v130
	s_add_i32 s61, s61, 8
	s_add_i32 s60, s60, 8
	v_cmp_eq_u32_e32 vcc, 0, v130
	s_or_b64 s[0:1], vcc, s[0:1]
	s_waitcnt vmcnt(0) lgkmcnt(0)
	v_fmac_f64_e32 v[128:129], v[132:133], v[134:135]
	s_andn2_b64 exec, exec, s[0:1]
	s_cbranch_execnz .LBB125_113
; %bb.114:
	s_or_b64 exec, exec, s[0:1]
.LBB125_115:
	s_or_b64 exec, exec, s[8:9]
	v_mov_b32_e32 v130, 0
	ds_read_b64 v[130:131], v130 offset:392
	s_waitcnt lgkmcnt(0)
	v_mul_f64 v[128:129], v[128:129], v[130:131]
	scratch_store_dwordx2 off, v[128:129], off offset:392
.LBB125_116:
	;; [unrolled: 53-line block ×35, first 2 shown]
	s_or_b64 exec, exec, s[4:5]
	scratch_load_dwordx2 v[128:129], off, off offset:120
	v_cmp_lt_u32_e64 s[2:3], 15, v0
	s_waitcnt vmcnt(0)
	ds_write_b64 v1, v[128:129]
	s_waitcnt lgkmcnt(0)
	; wave barrier
	s_and_saveexec_b64 s[4:5], s[2:3]
	s_cbranch_execz .LBB125_456
; %bb.447:
	s_andn2_b64 vcc, exec, s[6:7]
	s_cbranch_vccnz .LBB125_449
; %bb.448:
	scratch_load_dwordx2 v[128:129], v19, off
	ds_read_b64 v[130:131], v1
	s_waitcnt vmcnt(0) lgkmcnt(0)
	v_mul_f64 v[128:129], v[128:129], v[130:131]
	s_cbranch_execz .LBB125_450
	s_branch .LBB125_451
.LBB125_449:
                                        ; implicit-def: $vgpr128_vgpr129
.LBB125_450:
	ds_read_b64 v[128:129], v1
.LBB125_451:
	s_and_saveexec_b64 s[8:9], s[0:1]
	s_cbranch_execz .LBB125_455
; %bb.452:
	v_add_u32_e32 v130, -16, v0
	s_movk_i32 s26, 0x270
	s_mov_b64 s[0:1], 0
.LBB125_453:                            ; =>This Inner Loop Header: Depth=1
	scratch_load_dwordx2 v[132:133], off, s25
	v_mov_b32_e32 v131, s26
	ds_read_b64 v[134:135], v131
	v_add_u32_e32 v130, -1, v130
	s_add_i32 s26, s26, 8
	s_add_i32 s25, s25, 8
	v_cmp_eq_u32_e32 vcc, 0, v130
	s_or_b64 s[0:1], vcc, s[0:1]
	s_waitcnt vmcnt(0) lgkmcnt(0)
	v_fmac_f64_e32 v[128:129], v[132:133], v[134:135]
	s_andn2_b64 exec, exec, s[0:1]
	s_cbranch_execnz .LBB125_453
; %bb.454:
	s_or_b64 exec, exec, s[0:1]
.LBB125_455:
	s_or_b64 exec, exec, s[8:9]
	v_mov_b32_e32 v130, 0
	ds_read_b64 v[130:131], v130 offset:120
	s_waitcnt lgkmcnt(0)
	v_mul_f64 v[128:129], v[128:129], v[130:131]
	scratch_store_dwordx2 off, v[128:129], off offset:120
.LBB125_456:
	s_or_b64 exec, exec, s[4:5]
	scratch_load_dwordx2 v[128:129], off, off offset:112
	v_cmp_lt_u32_e64 s[0:1], 14, v0
	s_waitcnt vmcnt(0)
	ds_write_b64 v1, v[128:129]
	s_waitcnt lgkmcnt(0)
	; wave barrier
	s_and_saveexec_b64 s[4:5], s[0:1]
	s_cbranch_execz .LBB125_466
; %bb.457:
	s_andn2_b64 vcc, exec, s[6:7]
	s_cbranch_vccnz .LBB125_459
; %bb.458:
	scratch_load_dwordx2 v[128:129], v19, off
	ds_read_b64 v[130:131], v1
	s_waitcnt vmcnt(0) lgkmcnt(0)
	v_mul_f64 v[128:129], v[128:129], v[130:131]
	s_cbranch_execz .LBB125_460
	s_branch .LBB125_461
.LBB125_459:
                                        ; implicit-def: $vgpr128_vgpr129
.LBB125_460:
	ds_read_b64 v[128:129], v1
.LBB125_461:
	s_and_saveexec_b64 s[8:9], s[2:3]
	s_cbranch_execz .LBB125_465
; %bb.462:
	v_add_u32_e32 v130, -15, v0
	s_movk_i32 s25, 0x268
	s_mov_b64 s[2:3], 0
.LBB125_463:                            ; =>This Inner Loop Header: Depth=1
	scratch_load_dwordx2 v[132:133], off, s24
	v_mov_b32_e32 v131, s25
	ds_read_b64 v[134:135], v131
	v_add_u32_e32 v130, -1, v130
	s_add_i32 s25, s25, 8
	s_add_i32 s24, s24, 8
	v_cmp_eq_u32_e32 vcc, 0, v130
	s_or_b64 s[2:3], vcc, s[2:3]
	s_waitcnt vmcnt(0) lgkmcnt(0)
	v_fmac_f64_e32 v[128:129], v[132:133], v[134:135]
	s_andn2_b64 exec, exec, s[2:3]
	s_cbranch_execnz .LBB125_463
; %bb.464:
	s_or_b64 exec, exec, s[2:3]
.LBB125_465:
	s_or_b64 exec, exec, s[8:9]
	v_mov_b32_e32 v130, 0
	ds_read_b64 v[130:131], v130 offset:112
	s_waitcnt lgkmcnt(0)
	v_mul_f64 v[128:129], v[128:129], v[130:131]
	scratch_store_dwordx2 off, v[128:129], off offset:112
.LBB125_466:
	;; [unrolled: 53-line block ×15, first 2 shown]
	s_or_b64 exec, exec, s[4:5]
	scratch_load_dwordx2 v[128:129], off, off
	v_cmp_ne_u32_e32 vcc, 0, v0
	s_waitcnt vmcnt(0)
	ds_write_b64 v1, v[128:129]
	s_waitcnt lgkmcnt(0)
	; wave barrier
	s_and_saveexec_b64 s[0:1], vcc
	s_cbranch_execz .LBB125_606
; %bb.597:
	s_andn2_b64 vcc, exec, s[6:7]
	s_cbranch_vccnz .LBB125_599
; %bb.598:
	scratch_load_dwordx2 v[128:129], v19, off
	ds_read_b64 v[130:131], v1
	s_waitcnt vmcnt(0) lgkmcnt(0)
	v_mul_f64 v[128:129], v[128:129], v[130:131]
	s_cbranch_execz .LBB125_600
	s_branch .LBB125_601
.LBB125_599:
                                        ; implicit-def: $vgpr128_vgpr129
.LBB125_600:
	ds_read_b64 v[128:129], v1
.LBB125_601:
	s_and_saveexec_b64 s[4:5], s[2:3]
	s_cbranch_execz .LBB125_605
; %bb.602:
	v_add_u32_e32 v130, -1, v0
	s_movk_i32 s8, 0x1f8
	s_mov_b64 s[2:3], 0
.LBB125_603:                            ; =>This Inner Loop Header: Depth=1
	scratch_load_dwordx2 v[132:133], off, s10
	v_mov_b32_e32 v131, s8
	ds_read_b64 v[134:135], v131
	v_add_u32_e32 v130, -1, v130
	s_add_i32 s8, s8, 8
	s_add_i32 s10, s10, 8
	v_cmp_eq_u32_e32 vcc, 0, v130
	s_or_b64 s[2:3], vcc, s[2:3]
	s_waitcnt vmcnt(0) lgkmcnt(0)
	v_fmac_f64_e32 v[128:129], v[132:133], v[134:135]
	s_andn2_b64 exec, exec, s[2:3]
	s_cbranch_execnz .LBB125_603
; %bb.604:
	s_or_b64 exec, exec, s[2:3]
.LBB125_605:
	s_or_b64 exec, exec, s[4:5]
	v_mov_b32_e32 v130, 0
	ds_read_b64 v[130:131], v130
	s_waitcnt lgkmcnt(0)
	v_mul_f64 v[128:129], v[128:129], v[130:131]
	scratch_store_dwordx2 off, v[128:129], off
.LBB125_606:
	s_or_b64 exec, exec, s[0:1]
	s_mov_b64 s[0:1], 0
.LBB125_607:
	s_and_b64 vcc, exec, s[0:1]
	s_cbranch_vccz .LBB125_1209
; %bb.608:
	scratch_load_dwordx2 v[128:129], off, off offset:8
	v_cmp_eq_u32_e64 s[2:3], 0, v0
	s_waitcnt vmcnt(0)
	ds_write_b64 v1, v[128:129]
	s_waitcnt lgkmcnt(0)
	; wave barrier
	s_and_saveexec_b64 s[0:1], s[2:3]
	s_cbranch_execz .LBB125_614
; %bb.609:
	s_and_b64 vcc, exec, s[6:7]
	s_cbranch_vccz .LBB125_611
; %bb.610:
	scratch_load_dwordx2 v[128:129], v19, off
	ds_read_b64 v[130:131], v1
	s_waitcnt vmcnt(0) lgkmcnt(0)
	v_mul_f64 v[128:129], v[128:129], v[130:131]
	s_cbranch_execz .LBB125_612
	s_branch .LBB125_613
.LBB125_611:
                                        ; implicit-def: $vgpr128_vgpr129
.LBB125_612:
	ds_read_b64 v[128:129], v1
.LBB125_613:
	v_mov_b32_e32 v130, 0
	ds_read_b64 v[130:131], v130 offset:8
	s_waitcnt lgkmcnt(0)
	v_mul_f64 v[128:129], v[128:129], v[130:131]
	scratch_store_dwordx2 off, v[128:129], off offset:8
.LBB125_614:
	s_or_b64 exec, exec, s[0:1]
	scratch_load_dwordx2 v[128:129], off, off offset:16
	v_cndmask_b32_e64 v130, 0, 1, s[6:7]
	v_cmp_gt_u32_e32 vcc, 2, v0
	v_cmp_ne_u32_e64 s[0:1], 1, v130
	s_waitcnt vmcnt(0)
	ds_write_b64 v1, v[128:129]
	s_waitcnt lgkmcnt(0)
	; wave barrier
	s_and_saveexec_b64 s[4:5], vcc
	s_cbranch_execz .LBB125_620
; %bb.615:
	s_and_b64 vcc, exec, s[0:1]
	s_cbranch_vccnz .LBB125_617
; %bb.616:
	scratch_load_dwordx2 v[128:129], v19, off
	ds_read_b64 v[130:131], v1
	s_waitcnt vmcnt(0) lgkmcnt(0)
	v_mul_f64 v[128:129], v[128:129], v[130:131]
	s_cbranch_execz .LBB125_618
	s_branch .LBB125_619
.LBB125_617:
                                        ; implicit-def: $vgpr128_vgpr129
.LBB125_618:
	ds_read_b64 v[128:129], v1
.LBB125_619:
	scratch_load_dwordx2 v[134:135], off, off offset:8
	v_mov_b32_e32 v130, 0
	ds_read2_b64 v[130:133], v130 offset0:2 offset1:63
	s_waitcnt vmcnt(0) lgkmcnt(0)
	v_fma_f64 v[132:133], v[134:135], v[132:133], v[128:129]
	v_cndmask_b32_e64 v129, v129, v133, s[2:3]
	v_cndmask_b32_e64 v128, v128, v132, s[2:3]
	v_mul_f64 v[128:129], v[128:129], v[130:131]
	scratch_store_dwordx2 off, v[128:129], off offset:16
.LBB125_620:
	s_or_b64 exec, exec, s[4:5]
	scratch_load_dwordx2 v[128:129], off, off offset:24
	v_cmp_gt_u32_e32 vcc, 3, v0
	s_waitcnt vmcnt(0)
	ds_write_b64 v1, v[128:129]
	s_waitcnt lgkmcnt(0)
	; wave barrier
	s_and_saveexec_b64 s[4:5], vcc
	s_cbranch_execz .LBB125_628
; %bb.621:
	s_and_b64 vcc, exec, s[0:1]
	s_cbranch_vccnz .LBB125_623
; %bb.622:
	scratch_load_dwordx2 v[128:129], v19, off
	ds_read_b64 v[130:131], v1
	s_waitcnt vmcnt(0) lgkmcnt(0)
	v_mul_f64 v[128:129], v[128:129], v[130:131]
	s_cbranch_execz .LBB125_624
	s_branch .LBB125_625
.LBB125_623:
                                        ; implicit-def: $vgpr128_vgpr129
.LBB125_624:
	ds_read_b64 v[128:129], v1
.LBB125_625:
	v_cmp_ne_u32_e32 vcc, 2, v0
	s_and_saveexec_b64 s[6:7], vcc
	s_cbranch_execz .LBB125_627
; %bb.626:
	scratch_load_dwordx2 v[130:131], v19, off offset:8
	scratch_load_dwordx2 v[132:133], off, off offset:16
	ds_read_b64 v[134:135], v1 offset:8
	v_mov_b32_e32 v136, 0
	ds_read_b64 v[136:137], v136 offset:512
	s_waitcnt vmcnt(1) lgkmcnt(1)
	v_fmac_f64_e32 v[128:129], v[130:131], v[134:135]
	s_waitcnt vmcnt(0) lgkmcnt(0)
	v_fma_f64 v[130:131], v[132:133], v[136:137], v[128:129]
	v_cndmask_b32_e64 v129, v129, v131, s[2:3]
	v_cndmask_b32_e64 v128, v128, v130, s[2:3]
.LBB125_627:
	s_or_b64 exec, exec, s[6:7]
	v_mov_b32_e32 v130, 0
	ds_read_b64 v[130:131], v130 offset:24
	s_waitcnt lgkmcnt(0)
	v_mul_f64 v[128:129], v[128:129], v[130:131]
	scratch_store_dwordx2 off, v[128:129], off offset:24
.LBB125_628:
	s_or_b64 exec, exec, s[4:5]
	scratch_load_dwordx2 v[128:129], off, off offset:32
	v_cmp_gt_u32_e32 vcc, 4, v0
	s_waitcnt vmcnt(0)
	ds_write_b64 v1, v[128:129]
	s_waitcnt lgkmcnt(0)
	; wave barrier
	s_and_saveexec_b64 s[2:3], vcc
	s_cbranch_execz .LBB125_638
; %bb.629:
	s_and_b64 vcc, exec, s[0:1]
	s_cbranch_vccnz .LBB125_631
; %bb.630:
	scratch_load_dwordx2 v[128:129], v19, off
	ds_read_b64 v[130:131], v1
	s_waitcnt vmcnt(0) lgkmcnt(0)
	v_mul_f64 v[128:129], v[128:129], v[130:131]
	s_cbranch_execz .LBB125_632
	s_branch .LBB125_633
.LBB125_631:
                                        ; implicit-def: $vgpr128_vgpr129
.LBB125_632:
	ds_read_b64 v[128:129], v1
.LBB125_633:
	v_cmp_ne_u32_e32 vcc, 3, v0
	s_and_saveexec_b64 s[4:5], vcc
	s_cbranch_execz .LBB125_637
; %bb.634:
	s_mov_b32 s6, 0
	v_add_u32_e32 v130, 0x1f8, v18
	v_add3_u32 v131, v18, s6, 8
	s_mov_b64 s[6:7], 0
	v_mov_b32_e32 v132, v0
.LBB125_635:                            ; =>This Inner Loop Header: Depth=1
	scratch_load_dwordx2 v[134:135], v131, off
	ds_read_b64 v[136:137], v130
	v_add_u32_e32 v132, 1, v132
	v_cmp_lt_u32_e32 vcc, 2, v132
	v_add_u32_e32 v130, 8, v130
	v_add_u32_e32 v131, 8, v131
	s_or_b64 s[6:7], vcc, s[6:7]
	s_waitcnt vmcnt(0) lgkmcnt(0)
	v_fmac_f64_e32 v[128:129], v[134:135], v[136:137]
	s_andn2_b64 exec, exec, s[6:7]
	s_cbranch_execnz .LBB125_635
; %bb.636:
	s_or_b64 exec, exec, s[6:7]
.LBB125_637:
	s_or_b64 exec, exec, s[4:5]
	v_mov_b32_e32 v130, 0
	ds_read_b64 v[130:131], v130 offset:32
	s_waitcnt lgkmcnt(0)
	v_mul_f64 v[128:129], v[128:129], v[130:131]
	scratch_store_dwordx2 off, v[128:129], off offset:32
.LBB125_638:
	s_or_b64 exec, exec, s[2:3]
	scratch_load_dwordx2 v[128:129], off, off offset:40
	v_cmp_gt_u32_e32 vcc, 5, v0
	s_waitcnt vmcnt(0)
	ds_write_b64 v1, v[128:129]
	s_waitcnt lgkmcnt(0)
	; wave barrier
	s_and_saveexec_b64 s[2:3], vcc
	s_cbranch_execz .LBB125_648
; %bb.639:
	s_and_b64 vcc, exec, s[0:1]
	s_cbranch_vccnz .LBB125_641
; %bb.640:
	scratch_load_dwordx2 v[128:129], v19, off
	ds_read_b64 v[130:131], v1
	s_waitcnt vmcnt(0) lgkmcnt(0)
	v_mul_f64 v[128:129], v[128:129], v[130:131]
	s_cbranch_execz .LBB125_642
	s_branch .LBB125_643
.LBB125_641:
                                        ; implicit-def: $vgpr128_vgpr129
.LBB125_642:
	ds_read_b64 v[128:129], v1
.LBB125_643:
	v_cmp_ne_u32_e32 vcc, 4, v0
	s_and_saveexec_b64 s[4:5], vcc
	s_cbranch_execz .LBB125_647
; %bb.644:
	s_mov_b32 s6, 0
	v_add_u32_e32 v130, 0x1f8, v18
	v_add3_u32 v131, v18, s6, 8
	s_mov_b64 s[6:7], 0
	v_mov_b32_e32 v132, v0
.LBB125_645:                            ; =>This Inner Loop Header: Depth=1
	scratch_load_dwordx2 v[134:135], v131, off
	ds_read_b64 v[136:137], v130
	v_add_u32_e32 v132, 1, v132
	v_cmp_lt_u32_e32 vcc, 3, v132
	v_add_u32_e32 v130, 8, v130
	v_add_u32_e32 v131, 8, v131
	s_or_b64 s[6:7], vcc, s[6:7]
	s_waitcnt vmcnt(0) lgkmcnt(0)
	v_fmac_f64_e32 v[128:129], v[134:135], v[136:137]
	s_andn2_b64 exec, exec, s[6:7]
	s_cbranch_execnz .LBB125_645
; %bb.646:
	s_or_b64 exec, exec, s[6:7]
.LBB125_647:
	s_or_b64 exec, exec, s[4:5]
	v_mov_b32_e32 v130, 0
	ds_read_b64 v[130:131], v130 offset:40
	s_waitcnt lgkmcnt(0)
	v_mul_f64 v[128:129], v[128:129], v[130:131]
	scratch_store_dwordx2 off, v[128:129], off offset:40
.LBB125_648:
	;; [unrolled: 55-line block ×37, first 2 shown]
	s_or_b64 exec, exec, s[2:3]
	scratch_load_dwordx2 v[128:129], off, off offset:328
	v_cmp_gt_u32_e32 vcc, 41, v0
	s_waitcnt vmcnt(0)
	ds_write_b64 v1, v[128:129]
	s_waitcnt lgkmcnt(0)
	; wave barrier
	s_and_saveexec_b64 s[2:3], vcc
	s_cbranch_execz .LBB125_1008
; %bb.999:
	s_and_b64 vcc, exec, s[0:1]
	s_cbranch_vccnz .LBB125_1001
; %bb.1000:
	scratch_load_dwordx2 v[128:129], v19, off
	ds_read_b64 v[130:131], v1
	s_waitcnt vmcnt(0) lgkmcnt(0)
	v_mul_f64 v[128:129], v[128:129], v[130:131]
	s_cbranch_execz .LBB125_1002
	s_branch .LBB125_1003
.LBB125_1001:
                                        ; implicit-def: $vgpr128_vgpr129
.LBB125_1002:
	ds_read_b64 v[128:129], v1
.LBB125_1003:
	v_cmp_ne_u32_e32 vcc, 40, v0
	s_and_saveexec_b64 s[4:5], vcc
	s_cbranch_execz .LBB125_1007
; %bb.1004:
	s_mov_b32 s6, 0
	v_add_u32_e32 v130, 0x1f8, v18
	v_add3_u32 v131, v18, s6, 8
	s_mov_b64 s[6:7], 0
	v_mov_b32_e32 v132, v0
.LBB125_1005:                           ; =>This Inner Loop Header: Depth=1
	scratch_load_dwordx2 v[134:135], v131, off
	ds_read_b64 v[136:137], v130
	v_add_u32_e32 v132, 1, v132
	v_cmp_lt_u32_e32 vcc, 39, v132
	v_add_u32_e32 v130, 8, v130
	v_add_u32_e32 v131, 8, v131
	s_or_b64 s[6:7], vcc, s[6:7]
	s_waitcnt vmcnt(0) lgkmcnt(0)
	v_fmac_f64_e32 v[128:129], v[134:135], v[136:137]
	s_andn2_b64 exec, exec, s[6:7]
	s_cbranch_execnz .LBB125_1005
; %bb.1006:
	s_or_b64 exec, exec, s[6:7]
.LBB125_1007:
	s_or_b64 exec, exec, s[4:5]
	v_mov_b32_e32 v130, 0
	ds_read_b64 v[130:131], v130 offset:328
	s_waitcnt lgkmcnt(0)
	v_mul_f64 v[128:129], v[128:129], v[130:131]
	scratch_store_dwordx2 off, v[128:129], off offset:328
.LBB125_1008:
	s_or_b64 exec, exec, s[2:3]
	scratch_load_dwordx2 v[128:129], off, off offset:336
	v_cmp_gt_u32_e32 vcc, 42, v0
	s_waitcnt vmcnt(0)
	ds_write_b64 v1, v[128:129]
	s_waitcnt lgkmcnt(0)
	; wave barrier
	s_and_saveexec_b64 s[2:3], vcc
	s_cbranch_execz .LBB125_1018
; %bb.1009:
	s_and_b64 vcc, exec, s[0:1]
	s_cbranch_vccnz .LBB125_1011
; %bb.1010:
	scratch_load_dwordx2 v[128:129], v19, off
	ds_read_b64 v[130:131], v1
	s_waitcnt vmcnt(0) lgkmcnt(0)
	v_mul_f64 v[128:129], v[128:129], v[130:131]
	s_cbranch_execz .LBB125_1012
	s_branch .LBB125_1013
.LBB125_1011:
                                        ; implicit-def: $vgpr128_vgpr129
.LBB125_1012:
	ds_read_b64 v[128:129], v1
.LBB125_1013:
	v_cmp_ne_u32_e32 vcc, 41, v0
	s_and_saveexec_b64 s[4:5], vcc
	s_cbranch_execz .LBB125_1017
; %bb.1014:
	s_mov_b32 s6, 0
	v_add_u32_e32 v130, 0x1f8, v18
	v_add3_u32 v131, v18, s6, 8
	s_mov_b64 s[6:7], 0
	v_mov_b32_e32 v132, v0
.LBB125_1015:                           ; =>This Inner Loop Header: Depth=1
	scratch_load_dwordx2 v[134:135], v131, off
	ds_read_b64 v[136:137], v130
	v_add_u32_e32 v132, 1, v132
	v_cmp_lt_u32_e32 vcc, 40, v132
	v_add_u32_e32 v130, 8, v130
	v_add_u32_e32 v131, 8, v131
	s_or_b64 s[6:7], vcc, s[6:7]
	s_waitcnt vmcnt(0) lgkmcnt(0)
	v_fmac_f64_e32 v[128:129], v[134:135], v[136:137]
	s_andn2_b64 exec, exec, s[6:7]
	s_cbranch_execnz .LBB125_1015
; %bb.1016:
	s_or_b64 exec, exec, s[6:7]
.LBB125_1017:
	s_or_b64 exec, exec, s[4:5]
	v_mov_b32_e32 v130, 0
	ds_read_b64 v[130:131], v130 offset:336
	s_waitcnt lgkmcnt(0)
	v_mul_f64 v[128:129], v[128:129], v[130:131]
	scratch_store_dwordx2 off, v[128:129], off offset:336
.LBB125_1018:
	;; [unrolled: 55-line block ×19, first 2 shown]
	s_or_b64 exec, exec, s[2:3]
	scratch_load_dwordx2 v[128:129], off, off offset:480
	v_cmp_gt_u32_e64 s[2:3], 60, v0
	s_waitcnt vmcnt(0)
	ds_write_b64 v1, v[128:129]
	s_waitcnt lgkmcnt(0)
	; wave barrier
	s_and_saveexec_b64 s[4:5], s[2:3]
	s_cbranch_execz .LBB125_1198
; %bb.1189:
	s_and_b64 vcc, exec, s[0:1]
	s_cbranch_vccnz .LBB125_1191
; %bb.1190:
	scratch_load_dwordx2 v[128:129], v19, off
	ds_read_b64 v[130:131], v1
	s_waitcnt vmcnt(0) lgkmcnt(0)
	v_mul_f64 v[128:129], v[128:129], v[130:131]
	s_cbranch_execz .LBB125_1192
	s_branch .LBB125_1193
.LBB125_1191:
                                        ; implicit-def: $vgpr128_vgpr129
.LBB125_1192:
	ds_read_b64 v[128:129], v1
.LBB125_1193:
	v_cmp_ne_u32_e32 vcc, 59, v0
	s_and_saveexec_b64 s[6:7], vcc
	s_cbranch_execz .LBB125_1197
; %bb.1194:
	s_mov_b32 s8, 0
	v_add_u32_e32 v130, 0x1f8, v18
	v_add3_u32 v131, v18, s8, 8
	s_mov_b64 s[8:9], 0
	v_mov_b32_e32 v132, v0
.LBB125_1195:                           ; =>This Inner Loop Header: Depth=1
	scratch_load_dwordx2 v[134:135], v131, off
	ds_read_b64 v[136:137], v130
	v_add_u32_e32 v132, 1, v132
	v_cmp_lt_u32_e32 vcc, 58, v132
	v_add_u32_e32 v130, 8, v130
	v_add_u32_e32 v131, 8, v131
	s_or_b64 s[8:9], vcc, s[8:9]
	s_waitcnt vmcnt(0) lgkmcnt(0)
	v_fmac_f64_e32 v[128:129], v[134:135], v[136:137]
	s_andn2_b64 exec, exec, s[8:9]
	s_cbranch_execnz .LBB125_1195
; %bb.1196:
	s_or_b64 exec, exec, s[8:9]
.LBB125_1197:
	s_or_b64 exec, exec, s[6:7]
	v_mov_b32_e32 v130, 0
	ds_read_b64 v[130:131], v130 offset:480
	s_waitcnt lgkmcnt(0)
	v_mul_f64 v[128:129], v[128:129], v[130:131]
	scratch_store_dwordx2 off, v[128:129], off offset:480
.LBB125_1198:
	s_or_b64 exec, exec, s[4:5]
	scratch_load_dwordx2 v[128:129], off, off offset:488
	v_cmp_ne_u32_e32 vcc, 61, v0
	s_waitcnt vmcnt(0)
	ds_write_b64 v1, v[128:129]
	s_waitcnt lgkmcnt(0)
	; wave barrier
	s_and_saveexec_b64 s[4:5], vcc
	s_cbranch_execz .LBB125_1208
; %bb.1199:
	s_and_b64 vcc, exec, s[0:1]
	s_cbranch_vccnz .LBB125_1201
; %bb.1200:
	scratch_load_dwordx2 v[128:129], v19, off
	ds_read_b64 v[130:131], v1
	s_waitcnt vmcnt(0) lgkmcnt(0)
	v_mul_f64 v[128:129], v[128:129], v[130:131]
	s_cbranch_execz .LBB125_1202
	s_branch .LBB125_1203
.LBB125_1201:
                                        ; implicit-def: $vgpr128_vgpr129
.LBB125_1202:
	ds_read_b64 v[128:129], v1
.LBB125_1203:
	s_and_saveexec_b64 s[0:1], s[2:3]
	s_cbranch_execz .LBB125_1207
; %bb.1204:
	s_mov_b32 s2, 0
	v_add_u32_e32 v1, 0x1f8, v18
	v_add3_u32 v18, v18, s2, 8
	s_mov_b64 s[2:3], 0
.LBB125_1205:                           ; =>This Inner Loop Header: Depth=1
	scratch_load_dwordx2 v[130:131], v18, off
	ds_read_b64 v[132:133], v1
	v_add_u32_e32 v0, 1, v0
	v_cmp_lt_u32_e32 vcc, 59, v0
	v_add_u32_e32 v1, 8, v1
	v_add_u32_e32 v18, 8, v18
	s_or_b64 s[2:3], vcc, s[2:3]
	s_waitcnt vmcnt(0) lgkmcnt(0)
	v_fmac_f64_e32 v[128:129], v[130:131], v[132:133]
	s_andn2_b64 exec, exec, s[2:3]
	s_cbranch_execnz .LBB125_1205
; %bb.1206:
	s_or_b64 exec, exec, s[2:3]
.LBB125_1207:
	s_or_b64 exec, exec, s[0:1]
	v_mov_b32_e32 v0, 0
	ds_read_b64 v[0:1], v0 offset:488
	s_waitcnt lgkmcnt(0)
	v_mul_f64 v[0:1], v[128:129], v[0:1]
	scratch_store_dwordx2 off, v[0:1], off offset:488
.LBB125_1208:
	s_or_b64 exec, exec, s[4:5]
.LBB125_1209:
	scratch_load_dwordx2 v[0:1], off, off
	s_waitcnt vmcnt(0)
	flat_store_dwordx2 v[2:3], v[0:1]
	scratch_load_dwordx2 v[0:1], off, off offset:8
	s_waitcnt vmcnt(0)
	flat_store_dwordx2 v[4:5], v[0:1]
	scratch_load_dwordx2 v[0:1], off, off offset:16
	;; [unrolled: 3-line block ×61, first 2 shown]
	s_waitcnt vmcnt(0)
	flat_store_dwordx2 v[126:127], v[0:1]
.LBB125_1210:
	s_endpgm
	.section	.rodata,"a",@progbits
	.p2align	6, 0x0
	.amdhsa_kernel _ZN9rocsolver6v33100L18trti2_kernel_smallILi62EdPKPdEEv13rocblas_fill_17rocblas_diagonal_T1_iil
		.amdhsa_group_segment_fixed_size 992
		.amdhsa_private_segment_fixed_size 512
		.amdhsa_kernarg_size 32
		.amdhsa_user_sgpr_count 2
		.amdhsa_user_sgpr_dispatch_ptr 0
		.amdhsa_user_sgpr_queue_ptr 0
		.amdhsa_user_sgpr_kernarg_segment_ptr 1
		.amdhsa_user_sgpr_dispatch_id 0
		.amdhsa_user_sgpr_kernarg_preload_length 0
		.amdhsa_user_sgpr_kernarg_preload_offset 0
		.amdhsa_user_sgpr_private_segment_size 0
		.amdhsa_uses_dynamic_stack 0
		.amdhsa_enable_private_segment 1
		.amdhsa_system_sgpr_workgroup_id_x 1
		.amdhsa_system_sgpr_workgroup_id_y 0
		.amdhsa_system_sgpr_workgroup_id_z 0
		.amdhsa_system_sgpr_workgroup_info 0
		.amdhsa_system_vgpr_workitem_id 0
		.amdhsa_next_free_vgpr 138
		.amdhsa_next_free_sgpr 71
		.amdhsa_accum_offset 140
		.amdhsa_reserve_vcc 1
		.amdhsa_float_round_mode_32 0
		.amdhsa_float_round_mode_16_64 0
		.amdhsa_float_denorm_mode_32 3
		.amdhsa_float_denorm_mode_16_64 3
		.amdhsa_dx10_clamp 1
		.amdhsa_ieee_mode 1
		.amdhsa_fp16_overflow 0
		.amdhsa_tg_split 0
		.amdhsa_exception_fp_ieee_invalid_op 0
		.amdhsa_exception_fp_denorm_src 0
		.amdhsa_exception_fp_ieee_div_zero 0
		.amdhsa_exception_fp_ieee_overflow 0
		.amdhsa_exception_fp_ieee_underflow 0
		.amdhsa_exception_fp_ieee_inexact 0
		.amdhsa_exception_int_div_zero 0
	.end_amdhsa_kernel
	.section	.text._ZN9rocsolver6v33100L18trti2_kernel_smallILi62EdPKPdEEv13rocblas_fill_17rocblas_diagonal_T1_iil,"axG",@progbits,_ZN9rocsolver6v33100L18trti2_kernel_smallILi62EdPKPdEEv13rocblas_fill_17rocblas_diagonal_T1_iil,comdat
.Lfunc_end125:
	.size	_ZN9rocsolver6v33100L18trti2_kernel_smallILi62EdPKPdEEv13rocblas_fill_17rocblas_diagonal_T1_iil, .Lfunc_end125-_ZN9rocsolver6v33100L18trti2_kernel_smallILi62EdPKPdEEv13rocblas_fill_17rocblas_diagonal_T1_iil
                                        ; -- End function
	.set _ZN9rocsolver6v33100L18trti2_kernel_smallILi62EdPKPdEEv13rocblas_fill_17rocblas_diagonal_T1_iil.num_vgpr, 138
	.set _ZN9rocsolver6v33100L18trti2_kernel_smallILi62EdPKPdEEv13rocblas_fill_17rocblas_diagonal_T1_iil.num_agpr, 0
	.set _ZN9rocsolver6v33100L18trti2_kernel_smallILi62EdPKPdEEv13rocblas_fill_17rocblas_diagonal_T1_iil.numbered_sgpr, 71
	.set _ZN9rocsolver6v33100L18trti2_kernel_smallILi62EdPKPdEEv13rocblas_fill_17rocblas_diagonal_T1_iil.num_named_barrier, 0
	.set _ZN9rocsolver6v33100L18trti2_kernel_smallILi62EdPKPdEEv13rocblas_fill_17rocblas_diagonal_T1_iil.private_seg_size, 512
	.set _ZN9rocsolver6v33100L18trti2_kernel_smallILi62EdPKPdEEv13rocblas_fill_17rocblas_diagonal_T1_iil.uses_vcc, 1
	.set _ZN9rocsolver6v33100L18trti2_kernel_smallILi62EdPKPdEEv13rocblas_fill_17rocblas_diagonal_T1_iil.uses_flat_scratch, 0
	.set _ZN9rocsolver6v33100L18trti2_kernel_smallILi62EdPKPdEEv13rocblas_fill_17rocblas_diagonal_T1_iil.has_dyn_sized_stack, 0
	.set _ZN9rocsolver6v33100L18trti2_kernel_smallILi62EdPKPdEEv13rocblas_fill_17rocblas_diagonal_T1_iil.has_recursion, 0
	.set _ZN9rocsolver6v33100L18trti2_kernel_smallILi62EdPKPdEEv13rocblas_fill_17rocblas_diagonal_T1_iil.has_indirect_call, 0
	.section	.AMDGPU.csdata,"",@progbits
; Kernel info:
; codeLenInByte = 30264
; TotalNumSgprs: 77
; NumVgprs: 138
; NumAgprs: 0
; TotalNumVgprs: 138
; ScratchSize: 512
; MemoryBound: 0
; FloatMode: 240
; IeeeMode: 1
; LDSByteSize: 992 bytes/workgroup (compile time only)
; SGPRBlocks: 9
; VGPRBlocks: 17
; NumSGPRsForWavesPerEU: 77
; NumVGPRsForWavesPerEU: 138
; AccumOffset: 140
; Occupancy: 3
; WaveLimiterHint : 1
; COMPUTE_PGM_RSRC2:SCRATCH_EN: 1
; COMPUTE_PGM_RSRC2:USER_SGPR: 2
; COMPUTE_PGM_RSRC2:TRAP_HANDLER: 0
; COMPUTE_PGM_RSRC2:TGID_X_EN: 1
; COMPUTE_PGM_RSRC2:TGID_Y_EN: 0
; COMPUTE_PGM_RSRC2:TGID_Z_EN: 0
; COMPUTE_PGM_RSRC2:TIDIG_COMP_CNT: 0
; COMPUTE_PGM_RSRC3_GFX90A:ACCUM_OFFSET: 34
; COMPUTE_PGM_RSRC3_GFX90A:TG_SPLIT: 0
	.section	.text._ZN9rocsolver6v33100L18trti2_kernel_smallILi63EdPKPdEEv13rocblas_fill_17rocblas_diagonal_T1_iil,"axG",@progbits,_ZN9rocsolver6v33100L18trti2_kernel_smallILi63EdPKPdEEv13rocblas_fill_17rocblas_diagonal_T1_iil,comdat
	.globl	_ZN9rocsolver6v33100L18trti2_kernel_smallILi63EdPKPdEEv13rocblas_fill_17rocblas_diagonal_T1_iil ; -- Begin function _ZN9rocsolver6v33100L18trti2_kernel_smallILi63EdPKPdEEv13rocblas_fill_17rocblas_diagonal_T1_iil
	.p2align	8
	.type	_ZN9rocsolver6v33100L18trti2_kernel_smallILi63EdPKPdEEv13rocblas_fill_17rocblas_diagonal_T1_iil,@function
_ZN9rocsolver6v33100L18trti2_kernel_smallILi63EdPKPdEEv13rocblas_fill_17rocblas_diagonal_T1_iil: ; @_ZN9rocsolver6v33100L18trti2_kernel_smallILi63EdPKPdEEv13rocblas_fill_17rocblas_diagonal_T1_iil
; %bb.0:
	v_cmp_gt_u32_e32 vcc, 63, v0
	s_and_saveexec_b64 s[4:5], vcc
	s_cbranch_execz .LBB126_1230
; %bb.1:
	s_load_dwordx2 s[8:9], s[0:1], 0x10
	s_load_dwordx4 s[4:7], s[0:1], 0x0
	s_ashr_i32 s3, s2, 31
	s_lshl_b64 s[0:1], s[2:3], 3
	v_lshlrev_b32_e32 v18, 3, v0
	s_waitcnt lgkmcnt(0)
	s_ashr_i32 s3, s8, 31
	s_add_u32 s0, s6, s0
	s_addc_u32 s1, s7, s1
	s_load_dwordx2 s[0:1], s[0:1], 0x0
	s_mov_b32 s2, s8
	s_lshl_b64 s[2:3], s[2:3], 3
	v_mov_b32_e32 v19, 0
	s_waitcnt lgkmcnt(0)
	s_add_u32 s0, s0, s2
	s_addc_u32 s1, s1, s3
	v_lshl_add_u64 v[2:3], s[0:1], 0, v[18:19]
	flat_load_dwordx2 v[6:7], v[2:3]
	s_mov_b32 s2, s9
	s_ashr_i32 s3, s9, 31
	v_lshl_add_u64 v[4:5], s[2:3], 3, v[2:3]
	s_add_i32 s2, s9, s9
	v_add_u32_e32 v10, s2, v0
	v_ashrrev_i32_e32 v11, 31, v10
	s_cmpk_lg_i32 s5, 0x84
	s_cselect_b64 s[6:7], -1, 0
	s_cmpk_eq_i32 s5, 0x84
	s_waitcnt vmcnt(0) lgkmcnt(0)
	scratch_store_dwordx2 off, v[6:7], off
	flat_load_dwordx2 v[8:9], v[4:5]
	v_lshl_add_u64 v[6:7], v[10:11], 3, s[0:1]
	v_add_u32_e32 v10, s9, v10
	v_ashrrev_i32_e32 v11, 31, v10
	v_add_u32_e32 v14, s9, v10
	v_ashrrev_i32_e32 v15, 31, v14
	s_waitcnt vmcnt(0) lgkmcnt(0)
	scratch_store_dwordx2 off, v[8:9], off offset:8
	flat_load_dwordx2 v[12:13], v[6:7]
	v_lshl_add_u64 v[8:9], v[10:11], 3, s[0:1]
	v_lshl_add_u64 v[10:11], v[14:15], 3, s[0:1]
	v_add_u32_e32 v14, s9, v14
	v_ashrrev_i32_e32 v15, 31, v14
	v_add_u32_e32 v20, s9, v14
	v_ashrrev_i32_e32 v21, 31, v20
	s_waitcnt vmcnt(0) lgkmcnt(0)
	scratch_store_dwordx2 off, v[12:13], off offset:16
	flat_load_dwordx2 v[12:13], v[8:9]
	s_waitcnt vmcnt(0) lgkmcnt(0)
	scratch_store_dwordx2 off, v[12:13], off offset:24
	flat_load_dwordx2 v[16:17], v[10:11]
	v_lshl_add_u64 v[12:13], v[14:15], 3, s[0:1]
	v_lshl_add_u64 v[14:15], v[20:21], 3, s[0:1]
	v_add_u32_e32 v20, s9, v20
	v_ashrrev_i32_e32 v21, 31, v20
	v_add_u32_e32 v24, s9, v20
	v_ashrrev_i32_e32 v25, 31, v24
	s_waitcnt vmcnt(0) lgkmcnt(0)
	scratch_store_dwordx2 off, v[16:17], off offset:32
	flat_load_dwordx2 v[16:17], v[12:13]
	;; [unrolled: 12-line block ×28, first 2 shown]
	s_waitcnt vmcnt(0) lgkmcnt(0)
	scratch_store_dwordx2 off, v[122:123], off offset:456
	flat_load_dwordx2 v[126:127], v[120:121]
	v_lshl_add_u64 v[122:123], v[124:125], 3, s[0:1]
	v_lshl_add_u64 v[124:125], v[128:129], 3, s[0:1]
	v_add_u32_e32 v128, s9, v128
	v_ashrrev_i32_e32 v129, 31, v128
	s_waitcnt vmcnt(0) lgkmcnt(0)
	scratch_store_dwordx2 off, v[126:127], off offset:464
	flat_load_dwordx2 v[126:127], v[122:123]
	s_waitcnt vmcnt(0) lgkmcnt(0)
	scratch_store_dwordx2 off, v[126:127], off offset:472
	flat_load_dwordx2 v[130:131], v[124:125]
	v_lshl_add_u64 v[126:127], v[128:129], 3, s[0:1]
	v_add_u32_e32 v128, s9, v128
	v_ashrrev_i32_e32 v129, 31, v128
	v_lshl_add_u64 v[128:129], v[128:129], 3, s[0:1]
	s_waitcnt vmcnt(0) lgkmcnt(0)
	scratch_store_dwordx2 off, v[130:131], off offset:480
	flat_load_dwordx2 v[130:131], v[126:127]
	s_waitcnt vmcnt(0) lgkmcnt(0)
	scratch_store_dwordx2 off, v[130:131], off offset:488
	flat_load_dwordx2 v[130:131], v[128:129]
	s_waitcnt vmcnt(0) lgkmcnt(0)
	scratch_store_dwordx2 off, v[130:131], off offset:496
	v_mov_b64_e32 v[130:131], -1.0
	s_cbranch_scc1 .LBB126_3
; %bb.2:
	scratch_load_dwordx2 v[130:131], v18, off
	s_waitcnt vmcnt(0)
	v_div_scale_f64 v[132:133], s[0:1], v[130:131], v[130:131], 1.0
	v_rcp_f64_e32 v[134:135], v[132:133]
	v_div_scale_f64 v[136:137], vcc, 1.0, v[130:131], 1.0
	v_fma_f64 v[138:139], -v[132:133], v[134:135], 1.0
	v_fmac_f64_e32 v[134:135], v[134:135], v[138:139]
	v_fma_f64 v[138:139], -v[132:133], v[134:135], 1.0
	v_fmac_f64_e32 v[134:135], v[134:135], v[138:139]
	v_mul_f64 v[138:139], v[136:137], v[134:135]
	v_fma_f64 v[132:133], -v[132:133], v[138:139], v[136:137]
	v_div_fmas_f64 v[132:133], v[132:133], v[134:135], v[138:139]
	v_div_fixup_f64 v[130:131], v[132:133], v[130:131], 1.0
	scratch_store_dwordx2 v18, v[130:131], off
	v_xor_b32_e32 v131, 0x80000000, v131
.LBB126_3:
	s_cmpk_eq_i32 s4, 0x79
	v_or_b32_e32 v1, 0x200, v18
	v_mov_b32_e32 v19, v18
	s_mov_b64 s[0:1], -1
	ds_write_b64 v18, v[130:131]
	s_cbranch_scc1 .LBB126_617
; %bb.4:
	scratch_load_dwordx2 v[130:131], off, off offset:488
	s_movk_i32 s8, 0x48
	s_movk_i32 s9, 0x50
	;; [unrolled: 1-line block ×52, first 2 shown]
	v_cmp_eq_u32_e64 s[0:1], 62, v0
	s_waitcnt vmcnt(0)
	ds_write_b64 v1, v[130:131]
	s_waitcnt lgkmcnt(0)
	; wave barrier
	s_and_saveexec_b64 s[2:3], s[0:1]
	s_cbranch_execz .LBB126_10
; %bb.5:
	s_and_b64 vcc, exec, s[6:7]
	s_cbranch_vccz .LBB126_7
; %bb.6:
	scratch_load_dwordx2 v[130:131], v19, off
	ds_read_b64 v[132:133], v1
	s_waitcnt vmcnt(0) lgkmcnt(0)
	v_mul_f64 v[130:131], v[130:131], v[132:133]
	s_cbranch_execz .LBB126_8
	s_branch .LBB126_9
.LBB126_7:
                                        ; implicit-def: $vgpr130_vgpr131
.LBB126_8:
	ds_read_b64 v[130:131], v1
.LBB126_9:
	v_mov_b32_e32 v132, 0
	ds_read_b64 v[132:133], v132 offset:488
	s_waitcnt lgkmcnt(0)
	v_mul_f64 v[130:131], v[130:131], v[132:133]
	scratch_store_dwordx2 off, v[130:131], off offset:488
.LBB126_10:
	s_or_b64 exec, exec, s[2:3]
	scratch_load_dwordx2 v[130:131], off, off offset:480
	s_or_b32 s10, 0, 8
	s_mov_b32 s11, 16
	s_mov_b32 s12, 24
	;; [unrolled: 1-line block ×9, first 2 shown]
	v_cmp_lt_u32_e64 s[2:3], 60, v0
	s_waitcnt vmcnt(0)
	ds_write_b64 v1, v[130:131]
	s_waitcnt lgkmcnt(0)
	; wave barrier
	s_and_saveexec_b64 s[4:5], s[2:3]
	s_cbranch_execz .LBB126_16
; %bb.11:
	s_andn2_b64 vcc, exec, s[6:7]
	s_cbranch_vccnz .LBB126_13
; %bb.12:
	scratch_load_dwordx2 v[130:131], v19, off
	ds_read_b64 v[132:133], v1
	s_waitcnt vmcnt(0) lgkmcnt(0)
	v_mul_f64 v[130:131], v[130:131], v[132:133]
	s_cbranch_execz .LBB126_14
	s_branch .LBB126_15
.LBB126_13:
                                        ; implicit-def: $vgpr130_vgpr131
.LBB126_14:
	ds_read_b64 v[130:131], v1
.LBB126_15:
	scratch_load_dwordx2 v[136:137], off, off offset:488
	v_mov_b32_e32 v132, 0
	ds_read2_b64 v[132:135], v132 offset0:60 offset1:125
	s_waitcnt vmcnt(0) lgkmcnt(0)
	v_fma_f64 v[134:135], v[136:137], v[134:135], v[130:131]
	v_cndmask_b32_e64 v131, v131, v135, s[0:1]
	v_cndmask_b32_e64 v130, v130, v134, s[0:1]
	v_mul_f64 v[130:131], v[130:131], v[132:133]
	scratch_store_dwordx2 off, v[130:131], off offset:480
.LBB126_16:
	s_or_b64 exec, exec, s[4:5]
	scratch_load_dwordx2 v[130:131], off, off offset:472
	v_cmp_lt_u32_e64 s[0:1], 59, v0
	s_waitcnt vmcnt(0)
	ds_write_b64 v1, v[130:131]
	s_waitcnt lgkmcnt(0)
	; wave barrier
	s_and_saveexec_b64 s[4:5], s[0:1]
	s_cbranch_execz .LBB126_26
; %bb.17:
	s_andn2_b64 vcc, exec, s[6:7]
	s_cbranch_vccnz .LBB126_19
; %bb.18:
	scratch_load_dwordx2 v[130:131], v19, off
	ds_read_b64 v[132:133], v1
	s_waitcnt vmcnt(0) lgkmcnt(0)
	v_mul_f64 v[130:131], v[130:131], v[132:133]
	s_cbranch_execz .LBB126_20
	s_branch .LBB126_21
.LBB126_19:
                                        ; implicit-def: $vgpr130_vgpr131
.LBB126_20:
	ds_read_b64 v[130:131], v1
.LBB126_21:
	s_and_saveexec_b64 s[8:9], s[2:3]
	s_cbranch_execz .LBB126_25
; %bb.22:
	v_subrev_u32_e32 v132, 60, v0
	s_movk_i32 s71, 0x3e0
	s_mov_b64 s[2:3], 0
.LBB126_23:                             ; =>This Inner Loop Header: Depth=1
	scratch_load_dwordx2 v[134:135], off, s70
	v_mov_b32_e32 v133, s71
	ds_read_b64 v[136:137], v133
	v_add_u32_e32 v132, -1, v132
	s_add_i32 s71, s71, 8
	s_add_i32 s70, s70, 8
	v_cmp_eq_u32_e32 vcc, 0, v132
	s_or_b64 s[2:3], vcc, s[2:3]
	s_waitcnt vmcnt(0) lgkmcnt(0)
	v_fmac_f64_e32 v[130:131], v[134:135], v[136:137]
	s_andn2_b64 exec, exec, s[2:3]
	s_cbranch_execnz .LBB126_23
; %bb.24:
	s_or_b64 exec, exec, s[2:3]
.LBB126_25:
	s_or_b64 exec, exec, s[8:9]
	v_mov_b32_e32 v132, 0
	ds_read_b64 v[132:133], v132 offset:472
	s_waitcnt lgkmcnt(0)
	v_mul_f64 v[130:131], v[130:131], v[132:133]
	scratch_store_dwordx2 off, v[130:131], off offset:472
.LBB126_26:
	s_or_b64 exec, exec, s[4:5]
	scratch_load_dwordx2 v[130:131], off, off offset:464
	v_cmp_lt_u32_e64 s[2:3], 58, v0
	s_waitcnt vmcnt(0)
	ds_write_b64 v1, v[130:131]
	s_waitcnt lgkmcnt(0)
	; wave barrier
	s_and_saveexec_b64 s[4:5], s[2:3]
	s_cbranch_execz .LBB126_36
; %bb.27:
	s_andn2_b64 vcc, exec, s[6:7]
	s_cbranch_vccnz .LBB126_29
; %bb.28:
	scratch_load_dwordx2 v[130:131], v19, off
	ds_read_b64 v[132:133], v1
	s_waitcnt vmcnt(0) lgkmcnt(0)
	v_mul_f64 v[130:131], v[130:131], v[132:133]
	s_cbranch_execz .LBB126_30
	s_branch .LBB126_31
.LBB126_29:
                                        ; implicit-def: $vgpr130_vgpr131
.LBB126_30:
	ds_read_b64 v[130:131], v1
.LBB126_31:
	s_and_saveexec_b64 s[8:9], s[0:1]
	s_cbranch_execz .LBB126_35
; %bb.32:
	v_subrev_u32_e32 v132, 59, v0
	s_movk_i32 s70, 0x3d8
	s_mov_b64 s[0:1], 0
.LBB126_33:                             ; =>This Inner Loop Header: Depth=1
	scratch_load_dwordx2 v[134:135], off, s69
	v_mov_b32_e32 v133, s70
	ds_read_b64 v[136:137], v133
	v_add_u32_e32 v132, -1, v132
	s_add_i32 s70, s70, 8
	s_add_i32 s69, s69, 8
	v_cmp_eq_u32_e32 vcc, 0, v132
	s_or_b64 s[0:1], vcc, s[0:1]
	s_waitcnt vmcnt(0) lgkmcnt(0)
	v_fmac_f64_e32 v[130:131], v[134:135], v[136:137]
	s_andn2_b64 exec, exec, s[0:1]
	s_cbranch_execnz .LBB126_33
; %bb.34:
	s_or_b64 exec, exec, s[0:1]
.LBB126_35:
	s_or_b64 exec, exec, s[8:9]
	v_mov_b32_e32 v132, 0
	ds_read_b64 v[132:133], v132 offset:464
	s_waitcnt lgkmcnt(0)
	v_mul_f64 v[130:131], v[130:131], v[132:133]
	scratch_store_dwordx2 off, v[130:131], off offset:464
.LBB126_36:
	;; [unrolled: 53-line block ×8, first 2 shown]
	s_or_b64 exec, exec, s[4:5]
	scratch_load_dwordx2 v[130:131], off, off offset:408
	v_cmp_lt_u32_e64 s[0:1], 51, v0
	s_waitcnt vmcnt(0)
	ds_write_b64 v1, v[130:131]
	s_waitcnt lgkmcnt(0)
	; wave barrier
	s_and_saveexec_b64 s[4:5], s[0:1]
	s_cbranch_execz .LBB126_106
; %bb.97:
	s_andn2_b64 vcc, exec, s[6:7]
	s_cbranch_vccnz .LBB126_99
; %bb.98:
	scratch_load_dwordx2 v[130:131], v19, off
	ds_read_b64 v[132:133], v1
	s_waitcnt vmcnt(0) lgkmcnt(0)
	v_mul_f64 v[130:131], v[130:131], v[132:133]
	s_cbranch_execz .LBB126_100
	s_branch .LBB126_101
.LBB126_99:
                                        ; implicit-def: $vgpr130_vgpr131
.LBB126_100:
	ds_read_b64 v[130:131], v1
.LBB126_101:
	s_and_saveexec_b64 s[8:9], s[2:3]
	s_cbranch_execz .LBB126_105
; %bb.102:
	v_subrev_u32_e32 v132, 52, v0
	s_movk_i32 s63, 0x3a0
	s_mov_b64 s[2:3], 0
.LBB126_103:                            ; =>This Inner Loop Header: Depth=1
	scratch_load_dwordx2 v[134:135], off, s62
	v_mov_b32_e32 v133, s63
	ds_read_b64 v[136:137], v133
	v_add_u32_e32 v132, -1, v132
	s_add_i32 s63, s63, 8
	s_add_i32 s62, s62, 8
	v_cmp_eq_u32_e32 vcc, 0, v132
	s_or_b64 s[2:3], vcc, s[2:3]
	s_waitcnt vmcnt(0) lgkmcnt(0)
	v_fmac_f64_e32 v[130:131], v[134:135], v[136:137]
	s_andn2_b64 exec, exec, s[2:3]
	s_cbranch_execnz .LBB126_103
; %bb.104:
	s_or_b64 exec, exec, s[2:3]
.LBB126_105:
	s_or_b64 exec, exec, s[8:9]
	v_mov_b32_e32 v132, 0
	ds_read_b64 v[132:133], v132 offset:408
	s_waitcnt lgkmcnt(0)
	v_mul_f64 v[130:131], v[130:131], v[132:133]
	scratch_store_dwordx2 off, v[130:131], off offset:408
.LBB126_106:
	s_or_b64 exec, exec, s[4:5]
	scratch_load_dwordx2 v[130:131], off, off offset:400
	v_cmp_lt_u32_e64 s[2:3], 50, v0
	s_waitcnt vmcnt(0)
	ds_write_b64 v1, v[130:131]
	s_waitcnt lgkmcnt(0)
	; wave barrier
	s_and_saveexec_b64 s[4:5], s[2:3]
	s_cbranch_execz .LBB126_116
; %bb.107:
	s_andn2_b64 vcc, exec, s[6:7]
	s_cbranch_vccnz .LBB126_109
; %bb.108:
	scratch_load_dwordx2 v[130:131], v19, off
	ds_read_b64 v[132:133], v1
	s_waitcnt vmcnt(0) lgkmcnt(0)
	v_mul_f64 v[130:131], v[130:131], v[132:133]
	s_cbranch_execz .LBB126_110
	s_branch .LBB126_111
.LBB126_109:
                                        ; implicit-def: $vgpr130_vgpr131
.LBB126_110:
	ds_read_b64 v[130:131], v1
.LBB126_111:
	s_and_saveexec_b64 s[8:9], s[0:1]
	s_cbranch_execz .LBB126_115
; %bb.112:
	v_subrev_u32_e32 v132, 51, v0
	s_movk_i32 s62, 0x398
	s_mov_b64 s[0:1], 0
.LBB126_113:                            ; =>This Inner Loop Header: Depth=1
	scratch_load_dwordx2 v[134:135], off, s61
	v_mov_b32_e32 v133, s62
	ds_read_b64 v[136:137], v133
	v_add_u32_e32 v132, -1, v132
	s_add_i32 s62, s62, 8
	s_add_i32 s61, s61, 8
	v_cmp_eq_u32_e32 vcc, 0, v132
	s_or_b64 s[0:1], vcc, s[0:1]
	s_waitcnt vmcnt(0) lgkmcnt(0)
	v_fmac_f64_e32 v[130:131], v[134:135], v[136:137]
	s_andn2_b64 exec, exec, s[0:1]
	s_cbranch_execnz .LBB126_113
; %bb.114:
	s_or_b64 exec, exec, s[0:1]
.LBB126_115:
	s_or_b64 exec, exec, s[8:9]
	v_mov_b32_e32 v132, 0
	ds_read_b64 v[132:133], v132 offset:400
	s_waitcnt lgkmcnt(0)
	v_mul_f64 v[130:131], v[130:131], v[132:133]
	scratch_store_dwordx2 off, v[130:131], off offset:400
.LBB126_116:
	;; [unrolled: 53-line block ×36, first 2 shown]
	s_or_b64 exec, exec, s[4:5]
	scratch_load_dwordx2 v[130:131], off, off offset:120
	v_cmp_lt_u32_e64 s[0:1], 15, v0
	s_waitcnt vmcnt(0)
	ds_write_b64 v1, v[130:131]
	s_waitcnt lgkmcnt(0)
	; wave barrier
	s_and_saveexec_b64 s[4:5], s[0:1]
	s_cbranch_execz .LBB126_466
; %bb.457:
	s_andn2_b64 vcc, exec, s[6:7]
	s_cbranch_vccnz .LBB126_459
; %bb.458:
	scratch_load_dwordx2 v[130:131], v19, off
	ds_read_b64 v[132:133], v1
	s_waitcnt vmcnt(0) lgkmcnt(0)
	v_mul_f64 v[130:131], v[130:131], v[132:133]
	s_cbranch_execz .LBB126_460
	s_branch .LBB126_461
.LBB126_459:
                                        ; implicit-def: $vgpr130_vgpr131
.LBB126_460:
	ds_read_b64 v[130:131], v1
.LBB126_461:
	s_and_saveexec_b64 s[8:9], s[2:3]
	s_cbranch_execz .LBB126_465
; %bb.462:
	v_add_u32_e32 v132, -16, v0
	s_movk_i32 s26, 0x280
	s_mov_b64 s[2:3], 0
.LBB126_463:                            ; =>This Inner Loop Header: Depth=1
	scratch_load_dwordx2 v[134:135], off, s25
	v_mov_b32_e32 v133, s26
	ds_read_b64 v[136:137], v133
	v_add_u32_e32 v132, -1, v132
	s_add_i32 s26, s26, 8
	s_add_i32 s25, s25, 8
	v_cmp_eq_u32_e32 vcc, 0, v132
	s_or_b64 s[2:3], vcc, s[2:3]
	s_waitcnt vmcnt(0) lgkmcnt(0)
	v_fmac_f64_e32 v[130:131], v[134:135], v[136:137]
	s_andn2_b64 exec, exec, s[2:3]
	s_cbranch_execnz .LBB126_463
; %bb.464:
	s_or_b64 exec, exec, s[2:3]
.LBB126_465:
	s_or_b64 exec, exec, s[8:9]
	v_mov_b32_e32 v132, 0
	ds_read_b64 v[132:133], v132 offset:120
	s_waitcnt lgkmcnt(0)
	v_mul_f64 v[130:131], v[130:131], v[132:133]
	scratch_store_dwordx2 off, v[130:131], off offset:120
.LBB126_466:
	s_or_b64 exec, exec, s[4:5]
	scratch_load_dwordx2 v[130:131], off, off offset:112
	v_cmp_lt_u32_e64 s[2:3], 14, v0
	s_waitcnt vmcnt(0)
	ds_write_b64 v1, v[130:131]
	s_waitcnt lgkmcnt(0)
	; wave barrier
	s_and_saveexec_b64 s[4:5], s[2:3]
	s_cbranch_execz .LBB126_476
; %bb.467:
	s_andn2_b64 vcc, exec, s[6:7]
	s_cbranch_vccnz .LBB126_469
; %bb.468:
	scratch_load_dwordx2 v[130:131], v19, off
	ds_read_b64 v[132:133], v1
	s_waitcnt vmcnt(0) lgkmcnt(0)
	v_mul_f64 v[130:131], v[130:131], v[132:133]
	s_cbranch_execz .LBB126_470
	s_branch .LBB126_471
.LBB126_469:
                                        ; implicit-def: $vgpr130_vgpr131
.LBB126_470:
	ds_read_b64 v[130:131], v1
.LBB126_471:
	s_and_saveexec_b64 s[8:9], s[0:1]
	s_cbranch_execz .LBB126_475
; %bb.472:
	v_add_u32_e32 v132, -15, v0
	s_movk_i32 s25, 0x278
	s_mov_b64 s[0:1], 0
.LBB126_473:                            ; =>This Inner Loop Header: Depth=1
	scratch_load_dwordx2 v[134:135], off, s24
	v_mov_b32_e32 v133, s25
	ds_read_b64 v[136:137], v133
	v_add_u32_e32 v132, -1, v132
	s_add_i32 s25, s25, 8
	s_add_i32 s24, s24, 8
	v_cmp_eq_u32_e32 vcc, 0, v132
	s_or_b64 s[0:1], vcc, s[0:1]
	s_waitcnt vmcnt(0) lgkmcnt(0)
	v_fmac_f64_e32 v[130:131], v[134:135], v[136:137]
	s_andn2_b64 exec, exec, s[0:1]
	s_cbranch_execnz .LBB126_473
; %bb.474:
	s_or_b64 exec, exec, s[0:1]
.LBB126_475:
	s_or_b64 exec, exec, s[8:9]
	v_mov_b32_e32 v132, 0
	ds_read_b64 v[132:133], v132 offset:112
	s_waitcnt lgkmcnt(0)
	v_mul_f64 v[130:131], v[130:131], v[132:133]
	scratch_store_dwordx2 off, v[130:131], off offset:112
.LBB126_476:
	;; [unrolled: 53-line block ×15, first 2 shown]
	s_or_b64 exec, exec, s[4:5]
	scratch_load_dwordx2 v[130:131], off, off
	v_cmp_ne_u32_e32 vcc, 0, v0
	s_waitcnt vmcnt(0)
	ds_write_b64 v1, v[130:131]
	s_waitcnt lgkmcnt(0)
	; wave barrier
	s_and_saveexec_b64 s[2:3], vcc
	s_cbranch_execz .LBB126_616
; %bb.607:
	s_andn2_b64 vcc, exec, s[6:7]
	s_cbranch_vccnz .LBB126_609
; %bb.608:
	scratch_load_dwordx2 v[130:131], v19, off
	ds_read_b64 v[132:133], v1
	s_waitcnt vmcnt(0) lgkmcnt(0)
	v_mul_f64 v[130:131], v[130:131], v[132:133]
	s_cbranch_execz .LBB126_610
	s_branch .LBB126_611
.LBB126_609:
                                        ; implicit-def: $vgpr130_vgpr131
.LBB126_610:
	ds_read_b64 v[130:131], v1
.LBB126_611:
	s_and_saveexec_b64 s[4:5], s[0:1]
	s_cbranch_execz .LBB126_615
; %bb.612:
	v_add_u32_e32 v132, -1, v0
	s_movk_i32 s8, 0x208
	s_mov_b64 s[0:1], 0
.LBB126_613:                            ; =>This Inner Loop Header: Depth=1
	scratch_load_dwordx2 v[134:135], off, s10
	v_mov_b32_e32 v133, s8
	ds_read_b64 v[136:137], v133
	v_add_u32_e32 v132, -1, v132
	s_add_i32 s8, s8, 8
	s_add_i32 s10, s10, 8
	v_cmp_eq_u32_e32 vcc, 0, v132
	s_or_b64 s[0:1], vcc, s[0:1]
	s_waitcnt vmcnt(0) lgkmcnt(0)
	v_fmac_f64_e32 v[130:131], v[134:135], v[136:137]
	s_andn2_b64 exec, exec, s[0:1]
	s_cbranch_execnz .LBB126_613
; %bb.614:
	s_or_b64 exec, exec, s[0:1]
.LBB126_615:
	s_or_b64 exec, exec, s[4:5]
	v_mov_b32_e32 v132, 0
	ds_read_b64 v[132:133], v132
	s_waitcnt lgkmcnt(0)
	v_mul_f64 v[130:131], v[130:131], v[132:133]
	scratch_store_dwordx2 off, v[130:131], off
.LBB126_616:
	s_or_b64 exec, exec, s[2:3]
	s_mov_b64 s[0:1], 0
.LBB126_617:
	s_and_b64 vcc, exec, s[0:1]
	s_cbranch_vccz .LBB126_1229
; %bb.618:
	scratch_load_dwordx2 v[130:131], off, off offset:8
	v_cmp_eq_u32_e64 s[2:3], 0, v0
	s_waitcnt vmcnt(0)
	ds_write_b64 v1, v[130:131]
	s_waitcnt lgkmcnt(0)
	; wave barrier
	s_and_saveexec_b64 s[0:1], s[2:3]
	s_cbranch_execz .LBB126_624
; %bb.619:
	s_and_b64 vcc, exec, s[6:7]
	s_cbranch_vccz .LBB126_621
; %bb.620:
	scratch_load_dwordx2 v[130:131], v19, off
	ds_read_b64 v[132:133], v1
	s_waitcnt vmcnt(0) lgkmcnt(0)
	v_mul_f64 v[130:131], v[130:131], v[132:133]
	s_cbranch_execz .LBB126_622
	s_branch .LBB126_623
.LBB126_621:
                                        ; implicit-def: $vgpr130_vgpr131
.LBB126_622:
	ds_read_b64 v[130:131], v1
.LBB126_623:
	v_mov_b32_e32 v132, 0
	ds_read_b64 v[132:133], v132 offset:8
	s_waitcnt lgkmcnt(0)
	v_mul_f64 v[130:131], v[130:131], v[132:133]
	scratch_store_dwordx2 off, v[130:131], off offset:8
.LBB126_624:
	s_or_b64 exec, exec, s[0:1]
	scratch_load_dwordx2 v[130:131], off, off offset:16
	v_cndmask_b32_e64 v132, 0, 1, s[6:7]
	v_cmp_gt_u32_e32 vcc, 2, v0
	v_cmp_ne_u32_e64 s[0:1], 1, v132
	s_waitcnt vmcnt(0)
	ds_write_b64 v1, v[130:131]
	s_waitcnt lgkmcnt(0)
	; wave barrier
	s_and_saveexec_b64 s[4:5], vcc
	s_cbranch_execz .LBB126_630
; %bb.625:
	s_and_b64 vcc, exec, s[0:1]
	s_cbranch_vccnz .LBB126_627
; %bb.626:
	scratch_load_dwordx2 v[130:131], v19, off
	ds_read_b64 v[132:133], v1
	s_waitcnt vmcnt(0) lgkmcnt(0)
	v_mul_f64 v[130:131], v[130:131], v[132:133]
	s_cbranch_execz .LBB126_628
	s_branch .LBB126_629
.LBB126_627:
                                        ; implicit-def: $vgpr130_vgpr131
.LBB126_628:
	ds_read_b64 v[130:131], v1
.LBB126_629:
	scratch_load_dwordx2 v[136:137], off, off offset:8
	v_mov_b32_e32 v132, 0
	ds_read2_b64 v[132:135], v132 offset0:2 offset1:65
	s_waitcnt vmcnt(0) lgkmcnt(0)
	v_fma_f64 v[134:135], v[136:137], v[134:135], v[130:131]
	v_cndmask_b32_e64 v131, v131, v135, s[2:3]
	v_cndmask_b32_e64 v130, v130, v134, s[2:3]
	v_mul_f64 v[130:131], v[130:131], v[132:133]
	scratch_store_dwordx2 off, v[130:131], off offset:16
.LBB126_630:
	s_or_b64 exec, exec, s[4:5]
	scratch_load_dwordx2 v[130:131], off, off offset:24
	v_cmp_gt_u32_e32 vcc, 3, v0
	s_waitcnt vmcnt(0)
	ds_write_b64 v1, v[130:131]
	s_waitcnt lgkmcnt(0)
	; wave barrier
	s_and_saveexec_b64 s[4:5], vcc
	s_cbranch_execz .LBB126_638
; %bb.631:
	s_and_b64 vcc, exec, s[0:1]
	s_cbranch_vccnz .LBB126_633
; %bb.632:
	scratch_load_dwordx2 v[130:131], v19, off
	ds_read_b64 v[132:133], v1
	s_waitcnt vmcnt(0) lgkmcnt(0)
	v_mul_f64 v[130:131], v[130:131], v[132:133]
	s_cbranch_execz .LBB126_634
	s_branch .LBB126_635
.LBB126_633:
                                        ; implicit-def: $vgpr130_vgpr131
.LBB126_634:
	ds_read_b64 v[130:131], v1
.LBB126_635:
	v_cmp_ne_u32_e32 vcc, 2, v0
	s_and_saveexec_b64 s[6:7], vcc
	s_cbranch_execz .LBB126_637
; %bb.636:
	scratch_load_dwordx2 v[132:133], v19, off offset:8
	scratch_load_dwordx2 v[134:135], off, off offset:16
	ds_read_b64 v[136:137], v1 offset:8
	v_mov_b32_e32 v138, 0
	ds_read_b64 v[138:139], v138 offset:528
	s_waitcnt vmcnt(1) lgkmcnt(1)
	v_fmac_f64_e32 v[130:131], v[132:133], v[136:137]
	s_waitcnt vmcnt(0) lgkmcnt(0)
	v_fma_f64 v[132:133], v[134:135], v[138:139], v[130:131]
	v_cndmask_b32_e64 v131, v131, v133, s[2:3]
	v_cndmask_b32_e64 v130, v130, v132, s[2:3]
.LBB126_637:
	s_or_b64 exec, exec, s[6:7]
	v_mov_b32_e32 v132, 0
	ds_read_b64 v[132:133], v132 offset:24
	s_waitcnt lgkmcnt(0)
	v_mul_f64 v[130:131], v[130:131], v[132:133]
	scratch_store_dwordx2 off, v[130:131], off offset:24
.LBB126_638:
	s_or_b64 exec, exec, s[4:5]
	scratch_load_dwordx2 v[130:131], off, off offset:32
	v_cmp_gt_u32_e32 vcc, 4, v0
	s_waitcnt vmcnt(0)
	ds_write_b64 v1, v[130:131]
	s_waitcnt lgkmcnt(0)
	; wave barrier
	s_and_saveexec_b64 s[2:3], vcc
	s_cbranch_execz .LBB126_648
; %bb.639:
	s_and_b64 vcc, exec, s[0:1]
	s_cbranch_vccnz .LBB126_641
; %bb.640:
	scratch_load_dwordx2 v[130:131], v19, off
	ds_read_b64 v[132:133], v1
	s_waitcnt vmcnt(0) lgkmcnt(0)
	v_mul_f64 v[130:131], v[130:131], v[132:133]
	s_cbranch_execz .LBB126_642
	s_branch .LBB126_643
.LBB126_641:
                                        ; implicit-def: $vgpr130_vgpr131
.LBB126_642:
	ds_read_b64 v[130:131], v1
.LBB126_643:
	v_cmp_ne_u32_e32 vcc, 3, v0
	s_and_saveexec_b64 s[4:5], vcc
	s_cbranch_execz .LBB126_647
; %bb.644:
	s_mov_b32 s6, 0
	v_add_u32_e32 v132, 0x208, v18
	v_add3_u32 v133, v18, s6, 8
	s_mov_b64 s[6:7], 0
	v_mov_b32_e32 v134, v0
.LBB126_645:                            ; =>This Inner Loop Header: Depth=1
	scratch_load_dwordx2 v[136:137], v133, off
	ds_read_b64 v[138:139], v132
	v_add_u32_e32 v134, 1, v134
	v_cmp_lt_u32_e32 vcc, 2, v134
	v_add_u32_e32 v132, 8, v132
	v_add_u32_e32 v133, 8, v133
	s_or_b64 s[6:7], vcc, s[6:7]
	s_waitcnt vmcnt(0) lgkmcnt(0)
	v_fmac_f64_e32 v[130:131], v[136:137], v[138:139]
	s_andn2_b64 exec, exec, s[6:7]
	s_cbranch_execnz .LBB126_645
; %bb.646:
	s_or_b64 exec, exec, s[6:7]
.LBB126_647:
	s_or_b64 exec, exec, s[4:5]
	v_mov_b32_e32 v132, 0
	ds_read_b64 v[132:133], v132 offset:32
	s_waitcnt lgkmcnt(0)
	v_mul_f64 v[130:131], v[130:131], v[132:133]
	scratch_store_dwordx2 off, v[130:131], off offset:32
.LBB126_648:
	s_or_b64 exec, exec, s[2:3]
	scratch_load_dwordx2 v[130:131], off, off offset:40
	v_cmp_gt_u32_e32 vcc, 5, v0
	s_waitcnt vmcnt(0)
	ds_write_b64 v1, v[130:131]
	s_waitcnt lgkmcnt(0)
	; wave barrier
	s_and_saveexec_b64 s[2:3], vcc
	s_cbranch_execz .LBB126_658
; %bb.649:
	s_and_b64 vcc, exec, s[0:1]
	s_cbranch_vccnz .LBB126_651
; %bb.650:
	scratch_load_dwordx2 v[130:131], v19, off
	ds_read_b64 v[132:133], v1
	s_waitcnt vmcnt(0) lgkmcnt(0)
	v_mul_f64 v[130:131], v[130:131], v[132:133]
	s_cbranch_execz .LBB126_652
	s_branch .LBB126_653
.LBB126_651:
                                        ; implicit-def: $vgpr130_vgpr131
.LBB126_652:
	ds_read_b64 v[130:131], v1
.LBB126_653:
	v_cmp_ne_u32_e32 vcc, 4, v0
	s_and_saveexec_b64 s[4:5], vcc
	s_cbranch_execz .LBB126_657
; %bb.654:
	s_mov_b32 s6, 0
	v_add_u32_e32 v132, 0x208, v18
	v_add3_u32 v133, v18, s6, 8
	s_mov_b64 s[6:7], 0
	v_mov_b32_e32 v134, v0
.LBB126_655:                            ; =>This Inner Loop Header: Depth=1
	scratch_load_dwordx2 v[136:137], v133, off
	ds_read_b64 v[138:139], v132
	v_add_u32_e32 v134, 1, v134
	v_cmp_lt_u32_e32 vcc, 3, v134
	v_add_u32_e32 v132, 8, v132
	v_add_u32_e32 v133, 8, v133
	s_or_b64 s[6:7], vcc, s[6:7]
	s_waitcnt vmcnt(0) lgkmcnt(0)
	v_fmac_f64_e32 v[130:131], v[136:137], v[138:139]
	s_andn2_b64 exec, exec, s[6:7]
	s_cbranch_execnz .LBB126_655
; %bb.656:
	s_or_b64 exec, exec, s[6:7]
.LBB126_657:
	s_or_b64 exec, exec, s[4:5]
	v_mov_b32_e32 v132, 0
	ds_read_b64 v[132:133], v132 offset:40
	s_waitcnt lgkmcnt(0)
	v_mul_f64 v[130:131], v[130:131], v[132:133]
	scratch_store_dwordx2 off, v[130:131], off offset:40
.LBB126_658:
	;; [unrolled: 55-line block ×36, first 2 shown]
	s_or_b64 exec, exec, s[2:3]
	scratch_load_dwordx2 v[130:131], off, off offset:320
	v_cmp_gt_u32_e32 vcc, 40, v0
	s_waitcnt vmcnt(0)
	ds_write_b64 v1, v[130:131]
	s_waitcnt lgkmcnt(0)
	; wave barrier
	s_and_saveexec_b64 s[2:3], vcc
	s_cbranch_execz .LBB126_1008
; %bb.999:
	s_and_b64 vcc, exec, s[0:1]
	s_cbranch_vccnz .LBB126_1001
; %bb.1000:
	scratch_load_dwordx2 v[130:131], v19, off
	ds_read_b64 v[132:133], v1
	s_waitcnt vmcnt(0) lgkmcnt(0)
	v_mul_f64 v[130:131], v[130:131], v[132:133]
	s_cbranch_execz .LBB126_1002
	s_branch .LBB126_1003
.LBB126_1001:
                                        ; implicit-def: $vgpr130_vgpr131
.LBB126_1002:
	ds_read_b64 v[130:131], v1
.LBB126_1003:
	v_cmp_ne_u32_e32 vcc, 39, v0
	s_and_saveexec_b64 s[4:5], vcc
	s_cbranch_execz .LBB126_1007
; %bb.1004:
	s_mov_b32 s6, 0
	v_add_u32_e32 v132, 0x208, v18
	v_add3_u32 v133, v18, s6, 8
	s_mov_b64 s[6:7], 0
	v_mov_b32_e32 v134, v0
.LBB126_1005:                           ; =>This Inner Loop Header: Depth=1
	scratch_load_dwordx2 v[136:137], v133, off
	ds_read_b64 v[138:139], v132
	v_add_u32_e32 v134, 1, v134
	v_cmp_lt_u32_e32 vcc, 38, v134
	v_add_u32_e32 v132, 8, v132
	v_add_u32_e32 v133, 8, v133
	s_or_b64 s[6:7], vcc, s[6:7]
	s_waitcnt vmcnt(0) lgkmcnt(0)
	v_fmac_f64_e32 v[130:131], v[136:137], v[138:139]
	s_andn2_b64 exec, exec, s[6:7]
	s_cbranch_execnz .LBB126_1005
; %bb.1006:
	s_or_b64 exec, exec, s[6:7]
.LBB126_1007:
	s_or_b64 exec, exec, s[4:5]
	v_mov_b32_e32 v132, 0
	ds_read_b64 v[132:133], v132 offset:320
	s_waitcnt lgkmcnt(0)
	v_mul_f64 v[130:131], v[130:131], v[132:133]
	scratch_store_dwordx2 off, v[130:131], off offset:320
.LBB126_1008:
	s_or_b64 exec, exec, s[2:3]
	scratch_load_dwordx2 v[130:131], off, off offset:328
	v_cmp_gt_u32_e32 vcc, 41, v0
	s_waitcnt vmcnt(0)
	ds_write_b64 v1, v[130:131]
	s_waitcnt lgkmcnt(0)
	; wave barrier
	s_and_saveexec_b64 s[2:3], vcc
	s_cbranch_execz .LBB126_1018
; %bb.1009:
	s_and_b64 vcc, exec, s[0:1]
	s_cbranch_vccnz .LBB126_1011
; %bb.1010:
	scratch_load_dwordx2 v[130:131], v19, off
	ds_read_b64 v[132:133], v1
	s_waitcnt vmcnt(0) lgkmcnt(0)
	v_mul_f64 v[130:131], v[130:131], v[132:133]
	s_cbranch_execz .LBB126_1012
	s_branch .LBB126_1013
.LBB126_1011:
                                        ; implicit-def: $vgpr130_vgpr131
.LBB126_1012:
	ds_read_b64 v[130:131], v1
.LBB126_1013:
	v_cmp_ne_u32_e32 vcc, 40, v0
	s_and_saveexec_b64 s[4:5], vcc
	s_cbranch_execz .LBB126_1017
; %bb.1014:
	s_mov_b32 s6, 0
	v_add_u32_e32 v132, 0x208, v18
	v_add3_u32 v133, v18, s6, 8
	s_mov_b64 s[6:7], 0
	v_mov_b32_e32 v134, v0
.LBB126_1015:                           ; =>This Inner Loop Header: Depth=1
	scratch_load_dwordx2 v[136:137], v133, off
	ds_read_b64 v[138:139], v132
	v_add_u32_e32 v134, 1, v134
	v_cmp_lt_u32_e32 vcc, 39, v134
	v_add_u32_e32 v132, 8, v132
	v_add_u32_e32 v133, 8, v133
	s_or_b64 s[6:7], vcc, s[6:7]
	s_waitcnt vmcnt(0) lgkmcnt(0)
	v_fmac_f64_e32 v[130:131], v[136:137], v[138:139]
	s_andn2_b64 exec, exec, s[6:7]
	s_cbranch_execnz .LBB126_1015
; %bb.1016:
	s_or_b64 exec, exec, s[6:7]
.LBB126_1017:
	s_or_b64 exec, exec, s[4:5]
	v_mov_b32_e32 v132, 0
	ds_read_b64 v[132:133], v132 offset:328
	s_waitcnt lgkmcnt(0)
	v_mul_f64 v[130:131], v[130:131], v[132:133]
	scratch_store_dwordx2 off, v[130:131], off offset:328
.LBB126_1018:
	;; [unrolled: 55-line block ×21, first 2 shown]
	s_or_b64 exec, exec, s[2:3]
	scratch_load_dwordx2 v[130:131], off, off offset:488
	v_cmp_gt_u32_e64 s[2:3], 61, v0
	s_waitcnt vmcnt(0)
	ds_write_b64 v1, v[130:131]
	s_waitcnt lgkmcnt(0)
	; wave barrier
	s_and_saveexec_b64 s[4:5], s[2:3]
	s_cbranch_execz .LBB126_1218
; %bb.1209:
	s_and_b64 vcc, exec, s[0:1]
	s_cbranch_vccnz .LBB126_1211
; %bb.1210:
	scratch_load_dwordx2 v[130:131], v19, off
	ds_read_b64 v[132:133], v1
	s_waitcnt vmcnt(0) lgkmcnt(0)
	v_mul_f64 v[130:131], v[130:131], v[132:133]
	s_cbranch_execz .LBB126_1212
	s_branch .LBB126_1213
.LBB126_1211:
                                        ; implicit-def: $vgpr130_vgpr131
.LBB126_1212:
	ds_read_b64 v[130:131], v1
.LBB126_1213:
	v_cmp_ne_u32_e32 vcc, 60, v0
	s_and_saveexec_b64 s[6:7], vcc
	s_cbranch_execz .LBB126_1217
; %bb.1214:
	s_mov_b32 s8, 0
	v_add_u32_e32 v132, 0x208, v18
	v_add3_u32 v133, v18, s8, 8
	s_mov_b64 s[8:9], 0
	v_mov_b32_e32 v134, v0
.LBB126_1215:                           ; =>This Inner Loop Header: Depth=1
	scratch_load_dwordx2 v[136:137], v133, off
	ds_read_b64 v[138:139], v132
	v_add_u32_e32 v134, 1, v134
	v_cmp_lt_u32_e32 vcc, 59, v134
	v_add_u32_e32 v132, 8, v132
	v_add_u32_e32 v133, 8, v133
	s_or_b64 s[8:9], vcc, s[8:9]
	s_waitcnt vmcnt(0) lgkmcnt(0)
	v_fmac_f64_e32 v[130:131], v[136:137], v[138:139]
	s_andn2_b64 exec, exec, s[8:9]
	s_cbranch_execnz .LBB126_1215
; %bb.1216:
	s_or_b64 exec, exec, s[8:9]
.LBB126_1217:
	s_or_b64 exec, exec, s[6:7]
	v_mov_b32_e32 v132, 0
	ds_read_b64 v[132:133], v132 offset:488
	s_waitcnt lgkmcnt(0)
	v_mul_f64 v[130:131], v[130:131], v[132:133]
	scratch_store_dwordx2 off, v[130:131], off offset:488
.LBB126_1218:
	s_or_b64 exec, exec, s[4:5]
	scratch_load_dwordx2 v[130:131], off, off offset:496
	v_cmp_ne_u32_e32 vcc, 62, v0
	s_waitcnt vmcnt(0)
	ds_write_b64 v1, v[130:131]
	s_waitcnt lgkmcnt(0)
	; wave barrier
	s_and_saveexec_b64 s[4:5], vcc
	s_cbranch_execz .LBB126_1228
; %bb.1219:
	s_and_b64 vcc, exec, s[0:1]
	s_cbranch_vccnz .LBB126_1221
; %bb.1220:
	scratch_load_dwordx2 v[130:131], v19, off
	ds_read_b64 v[132:133], v1
	s_waitcnt vmcnt(0) lgkmcnt(0)
	v_mul_f64 v[130:131], v[130:131], v[132:133]
	s_cbranch_execz .LBB126_1222
	s_branch .LBB126_1223
.LBB126_1221:
                                        ; implicit-def: $vgpr130_vgpr131
.LBB126_1222:
	ds_read_b64 v[130:131], v1
.LBB126_1223:
	s_and_saveexec_b64 s[0:1], s[2:3]
	s_cbranch_execz .LBB126_1227
; %bb.1224:
	s_mov_b32 s2, 0
	v_add_u32_e32 v1, 0x208, v18
	v_add3_u32 v18, v18, s2, 8
	s_mov_b64 s[2:3], 0
.LBB126_1225:                           ; =>This Inner Loop Header: Depth=1
	scratch_load_dwordx2 v[132:133], v18, off
	ds_read_b64 v[134:135], v1
	v_add_u32_e32 v0, 1, v0
	v_cmp_lt_u32_e32 vcc, 60, v0
	v_add_u32_e32 v1, 8, v1
	v_add_u32_e32 v18, 8, v18
	s_or_b64 s[2:3], vcc, s[2:3]
	s_waitcnt vmcnt(0) lgkmcnt(0)
	v_fmac_f64_e32 v[130:131], v[132:133], v[134:135]
	s_andn2_b64 exec, exec, s[2:3]
	s_cbranch_execnz .LBB126_1225
; %bb.1226:
	s_or_b64 exec, exec, s[2:3]
.LBB126_1227:
	s_or_b64 exec, exec, s[0:1]
	v_mov_b32_e32 v0, 0
	ds_read_b64 v[0:1], v0 offset:496
	s_waitcnt lgkmcnt(0)
	v_mul_f64 v[0:1], v[130:131], v[0:1]
	scratch_store_dwordx2 off, v[0:1], off offset:496
.LBB126_1228:
	s_or_b64 exec, exec, s[4:5]
.LBB126_1229:
	scratch_load_dwordx2 v[0:1], off, off
	s_waitcnt vmcnt(0)
	flat_store_dwordx2 v[2:3], v[0:1]
	scratch_load_dwordx2 v[0:1], off, off offset:8
	s_waitcnt vmcnt(0)
	flat_store_dwordx2 v[4:5], v[0:1]
	scratch_load_dwordx2 v[0:1], off, off offset:16
	;; [unrolled: 3-line block ×62, first 2 shown]
	s_waitcnt vmcnt(0)
	flat_store_dwordx2 v[128:129], v[0:1]
.LBB126_1230:
	s_endpgm
	.section	.rodata,"a",@progbits
	.p2align	6, 0x0
	.amdhsa_kernel _ZN9rocsolver6v33100L18trti2_kernel_smallILi63EdPKPdEEv13rocblas_fill_17rocblas_diagonal_T1_iil
		.amdhsa_group_segment_fixed_size 1016
		.amdhsa_private_segment_fixed_size 512
		.amdhsa_kernarg_size 32
		.amdhsa_user_sgpr_count 2
		.amdhsa_user_sgpr_dispatch_ptr 0
		.amdhsa_user_sgpr_queue_ptr 0
		.amdhsa_user_sgpr_kernarg_segment_ptr 1
		.amdhsa_user_sgpr_dispatch_id 0
		.amdhsa_user_sgpr_kernarg_preload_length 0
		.amdhsa_user_sgpr_kernarg_preload_offset 0
		.amdhsa_user_sgpr_private_segment_size 0
		.amdhsa_uses_dynamic_stack 0
		.amdhsa_enable_private_segment 1
		.amdhsa_system_sgpr_workgroup_id_x 1
		.amdhsa_system_sgpr_workgroup_id_y 0
		.amdhsa_system_sgpr_workgroup_id_z 0
		.amdhsa_system_sgpr_workgroup_info 0
		.amdhsa_system_vgpr_workitem_id 0
		.amdhsa_next_free_vgpr 140
		.amdhsa_next_free_sgpr 72
		.amdhsa_accum_offset 140
		.amdhsa_reserve_vcc 1
		.amdhsa_float_round_mode_32 0
		.amdhsa_float_round_mode_16_64 0
		.amdhsa_float_denorm_mode_32 3
		.amdhsa_float_denorm_mode_16_64 3
		.amdhsa_dx10_clamp 1
		.amdhsa_ieee_mode 1
		.amdhsa_fp16_overflow 0
		.amdhsa_tg_split 0
		.amdhsa_exception_fp_ieee_invalid_op 0
		.amdhsa_exception_fp_denorm_src 0
		.amdhsa_exception_fp_ieee_div_zero 0
		.amdhsa_exception_fp_ieee_overflow 0
		.amdhsa_exception_fp_ieee_underflow 0
		.amdhsa_exception_fp_ieee_inexact 0
		.amdhsa_exception_int_div_zero 0
	.end_amdhsa_kernel
	.section	.text._ZN9rocsolver6v33100L18trti2_kernel_smallILi63EdPKPdEEv13rocblas_fill_17rocblas_diagonal_T1_iil,"axG",@progbits,_ZN9rocsolver6v33100L18trti2_kernel_smallILi63EdPKPdEEv13rocblas_fill_17rocblas_diagonal_T1_iil,comdat
.Lfunc_end126:
	.size	_ZN9rocsolver6v33100L18trti2_kernel_smallILi63EdPKPdEEv13rocblas_fill_17rocblas_diagonal_T1_iil, .Lfunc_end126-_ZN9rocsolver6v33100L18trti2_kernel_smallILi63EdPKPdEEv13rocblas_fill_17rocblas_diagonal_T1_iil
                                        ; -- End function
	.set _ZN9rocsolver6v33100L18trti2_kernel_smallILi63EdPKPdEEv13rocblas_fill_17rocblas_diagonal_T1_iil.num_vgpr, 140
	.set _ZN9rocsolver6v33100L18trti2_kernel_smallILi63EdPKPdEEv13rocblas_fill_17rocblas_diagonal_T1_iil.num_agpr, 0
	.set _ZN9rocsolver6v33100L18trti2_kernel_smallILi63EdPKPdEEv13rocblas_fill_17rocblas_diagonal_T1_iil.numbered_sgpr, 72
	.set _ZN9rocsolver6v33100L18trti2_kernel_smallILi63EdPKPdEEv13rocblas_fill_17rocblas_diagonal_T1_iil.num_named_barrier, 0
	.set _ZN9rocsolver6v33100L18trti2_kernel_smallILi63EdPKPdEEv13rocblas_fill_17rocblas_diagonal_T1_iil.private_seg_size, 512
	.set _ZN9rocsolver6v33100L18trti2_kernel_smallILi63EdPKPdEEv13rocblas_fill_17rocblas_diagonal_T1_iil.uses_vcc, 1
	.set _ZN9rocsolver6v33100L18trti2_kernel_smallILi63EdPKPdEEv13rocblas_fill_17rocblas_diagonal_T1_iil.uses_flat_scratch, 0
	.set _ZN9rocsolver6v33100L18trti2_kernel_smallILi63EdPKPdEEv13rocblas_fill_17rocblas_diagonal_T1_iil.has_dyn_sized_stack, 0
	.set _ZN9rocsolver6v33100L18trti2_kernel_smallILi63EdPKPdEEv13rocblas_fill_17rocblas_diagonal_T1_iil.has_recursion, 0
	.set _ZN9rocsolver6v33100L18trti2_kernel_smallILi63EdPKPdEEv13rocblas_fill_17rocblas_diagonal_T1_iil.has_indirect_call, 0
	.section	.AMDGPU.csdata,"",@progbits
; Kernel info:
; codeLenInByte = 30760
; TotalNumSgprs: 78
; NumVgprs: 140
; NumAgprs: 0
; TotalNumVgprs: 140
; ScratchSize: 512
; MemoryBound: 0
; FloatMode: 240
; IeeeMode: 1
; LDSByteSize: 1016 bytes/workgroup (compile time only)
; SGPRBlocks: 9
; VGPRBlocks: 17
; NumSGPRsForWavesPerEU: 78
; NumVGPRsForWavesPerEU: 140
; AccumOffset: 140
; Occupancy: 3
; WaveLimiterHint : 1
; COMPUTE_PGM_RSRC2:SCRATCH_EN: 1
; COMPUTE_PGM_RSRC2:USER_SGPR: 2
; COMPUTE_PGM_RSRC2:TRAP_HANDLER: 0
; COMPUTE_PGM_RSRC2:TGID_X_EN: 1
; COMPUTE_PGM_RSRC2:TGID_Y_EN: 0
; COMPUTE_PGM_RSRC2:TGID_Z_EN: 0
; COMPUTE_PGM_RSRC2:TIDIG_COMP_CNT: 0
; COMPUTE_PGM_RSRC3_GFX90A:ACCUM_OFFSET: 34
; COMPUTE_PGM_RSRC3_GFX90A:TG_SPLIT: 0
	.section	.text._ZN9rocsolver6v33100L18trti2_kernel_smallILi64EdPKPdEEv13rocblas_fill_17rocblas_diagonal_T1_iil,"axG",@progbits,_ZN9rocsolver6v33100L18trti2_kernel_smallILi64EdPKPdEEv13rocblas_fill_17rocblas_diagonal_T1_iil,comdat
	.globl	_ZN9rocsolver6v33100L18trti2_kernel_smallILi64EdPKPdEEv13rocblas_fill_17rocblas_diagonal_T1_iil ; -- Begin function _ZN9rocsolver6v33100L18trti2_kernel_smallILi64EdPKPdEEv13rocblas_fill_17rocblas_diagonal_T1_iil
	.p2align	8
	.type	_ZN9rocsolver6v33100L18trti2_kernel_smallILi64EdPKPdEEv13rocblas_fill_17rocblas_diagonal_T1_iil,@function
_ZN9rocsolver6v33100L18trti2_kernel_smallILi64EdPKPdEEv13rocblas_fill_17rocblas_diagonal_T1_iil: ; @_ZN9rocsolver6v33100L18trti2_kernel_smallILi64EdPKPdEEv13rocblas_fill_17rocblas_diagonal_T1_iil
; %bb.0:
	v_cmp_gt_u32_e32 vcc, 64, v0
	s_and_saveexec_b64 s[4:5], vcc
	s_cbranch_execz .LBB127_1250
; %bb.1:
	s_load_dwordx2 s[8:9], s[0:1], 0x10
	s_load_dwordx4 s[4:7], s[0:1], 0x0
	s_ashr_i32 s3, s2, 31
	s_lshl_b64 s[0:1], s[2:3], 3
	v_lshlrev_b32_e32 v18, 3, v0
	s_waitcnt lgkmcnt(0)
	s_ashr_i32 s3, s8, 31
	s_add_u32 s0, s6, s0
	s_addc_u32 s1, s7, s1
	s_load_dwordx2 s[0:1], s[0:1], 0x0
	s_mov_b32 s2, s8
	s_lshl_b64 s[2:3], s[2:3], 3
	v_mov_b32_e32 v19, 0
	s_waitcnt lgkmcnt(0)
	s_add_u32 s0, s0, s2
	s_addc_u32 s1, s1, s3
	v_lshl_add_u64 v[2:3], s[0:1], 0, v[18:19]
	flat_load_dwordx2 v[6:7], v[2:3]
	s_mov_b32 s2, s9
	s_ashr_i32 s3, s9, 31
	v_lshl_add_u64 v[4:5], s[2:3], 3, v[2:3]
	s_add_i32 s2, s9, s9
	v_add_u32_e32 v10, s2, v0
	v_ashrrev_i32_e32 v11, 31, v10
	s_cmpk_lg_i32 s5, 0x84
	s_cselect_b64 s[6:7], -1, 0
	s_cmpk_eq_i32 s5, 0x84
	s_waitcnt vmcnt(0) lgkmcnt(0)
	scratch_store_dwordx2 off, v[6:7], off
	flat_load_dwordx2 v[8:9], v[4:5]
	v_lshl_add_u64 v[6:7], v[10:11], 3, s[0:1]
	v_add_u32_e32 v10, s9, v10
	v_ashrrev_i32_e32 v11, 31, v10
	v_add_u32_e32 v14, s9, v10
	v_ashrrev_i32_e32 v15, 31, v14
	s_waitcnt vmcnt(0) lgkmcnt(0)
	scratch_store_dwordx2 off, v[8:9], off offset:8
	flat_load_dwordx2 v[12:13], v[6:7]
	v_lshl_add_u64 v[8:9], v[10:11], 3, s[0:1]
	v_lshl_add_u64 v[10:11], v[14:15], 3, s[0:1]
	v_add_u32_e32 v14, s9, v14
	v_ashrrev_i32_e32 v15, 31, v14
	v_add_u32_e32 v20, s9, v14
	v_ashrrev_i32_e32 v21, 31, v20
	s_waitcnt vmcnt(0) lgkmcnt(0)
	scratch_store_dwordx2 off, v[12:13], off offset:16
	flat_load_dwordx2 v[12:13], v[8:9]
	s_waitcnt vmcnt(0) lgkmcnt(0)
	scratch_store_dwordx2 off, v[12:13], off offset:24
	flat_load_dwordx2 v[16:17], v[10:11]
	v_lshl_add_u64 v[12:13], v[14:15], 3, s[0:1]
	v_lshl_add_u64 v[14:15], v[20:21], 3, s[0:1]
	v_add_u32_e32 v20, s9, v20
	v_ashrrev_i32_e32 v21, 31, v20
	v_add_u32_e32 v24, s9, v20
	v_ashrrev_i32_e32 v25, 31, v24
	s_waitcnt vmcnt(0) lgkmcnt(0)
	scratch_store_dwordx2 off, v[16:17], off offset:32
	flat_load_dwordx2 v[16:17], v[12:13]
	;; [unrolled: 12-line block ×29, first 2 shown]
	s_waitcnt vmcnt(0) lgkmcnt(0)
	scratch_store_dwordx2 off, v[126:127], off offset:472
	flat_load_dwordx2 v[130:131], v[124:125]
	v_lshl_add_u64 v[126:127], v[128:129], 3, s[0:1]
	v_lshl_add_u64 v[128:129], v[132:133], 3, s[0:1]
	s_waitcnt vmcnt(0) lgkmcnt(0)
	scratch_store_dwordx2 off, v[130:131], off offset:480
	flat_load_dwordx2 v[130:131], v[126:127]
	s_waitcnt vmcnt(0) lgkmcnt(0)
	scratch_store_dwordx2 off, v[130:131], off offset:488
	flat_load_dwordx2 v[134:135], v[128:129]
	v_add_u32_e32 v130, s9, v132
	v_ashrrev_i32_e32 v131, 31, v130
	v_lshl_add_u64 v[130:131], v[130:131], 3, s[0:1]
	s_waitcnt vmcnt(0) lgkmcnt(0)
	scratch_store_dwordx2 off, v[134:135], off offset:496
	flat_load_dwordx2 v[132:133], v[130:131]
	s_waitcnt vmcnt(0) lgkmcnt(0)
	scratch_store_dwordx2 off, v[132:133], off offset:504
	v_mov_b64_e32 v[132:133], -1.0
	s_cbranch_scc1 .LBB127_3
; %bb.2:
	scratch_load_dwordx2 v[132:133], v18, off
	s_waitcnt vmcnt(0)
	v_div_scale_f64 v[134:135], s[0:1], v[132:133], v[132:133], 1.0
	v_rcp_f64_e32 v[136:137], v[134:135]
	v_div_scale_f64 v[138:139], vcc, 1.0, v[132:133], 1.0
	v_fma_f64 v[140:141], -v[134:135], v[136:137], 1.0
	v_fmac_f64_e32 v[136:137], v[136:137], v[140:141]
	v_fma_f64 v[140:141], -v[134:135], v[136:137], 1.0
	v_fmac_f64_e32 v[136:137], v[136:137], v[140:141]
	v_mul_f64 v[140:141], v[138:139], v[136:137]
	v_fma_f64 v[134:135], -v[134:135], v[140:141], v[138:139]
	v_div_fmas_f64 v[134:135], v[134:135], v[136:137], v[140:141]
	v_div_fixup_f64 v[132:133], v[134:135], v[132:133], 1.0
	scratch_store_dwordx2 v18, v[132:133], off
	v_xor_b32_e32 v133, 0x80000000, v133
.LBB127_3:
	s_cmpk_eq_i32 s4, 0x79
	v_or_b32_e32 v1, 0x200, v18
	v_mov_b32_e32 v19, v18
	s_mov_b64 s[0:1], -1
	ds_write_b64 v18, v[132:133]
	s_cbranch_scc1 .LBB127_627
; %bb.4:
	scratch_load_dwordx2 v[132:133], off, off offset:496
	s_movk_i32 s8, 0x48
	s_movk_i32 s9, 0x50
	;; [unrolled: 1-line block ×53, first 2 shown]
	v_cmp_eq_u32_e64 s[0:1], 63, v0
	s_waitcnt vmcnt(0)
	ds_write_b64 v1, v[132:133]
	s_waitcnt lgkmcnt(0)
	; wave barrier
	s_and_saveexec_b64 s[2:3], s[0:1]
	s_cbranch_execz .LBB127_10
; %bb.5:
	s_and_b64 vcc, exec, s[6:7]
	s_cbranch_vccz .LBB127_7
; %bb.6:
	scratch_load_dwordx2 v[132:133], v19, off
	ds_read_b64 v[134:135], v1
	s_waitcnt vmcnt(0) lgkmcnt(0)
	v_mul_f64 v[132:133], v[132:133], v[134:135]
	s_cbranch_execz .LBB127_8
	s_branch .LBB127_9
.LBB127_7:
                                        ; implicit-def: $vgpr132_vgpr133
.LBB127_8:
	ds_read_b64 v[132:133], v1
.LBB127_9:
	v_mov_b32_e32 v134, 0
	ds_read_b64 v[134:135], v134 offset:496
	s_waitcnt lgkmcnt(0)
	v_mul_f64 v[132:133], v[132:133], v[134:135]
	scratch_store_dwordx2 off, v[132:133], off offset:496
.LBB127_10:
	s_or_b64 exec, exec, s[2:3]
	scratch_load_dwordx2 v[132:133], off, off offset:488
	s_or_b32 s10, 0, 8
	s_mov_b32 s11, 16
	s_mov_b32 s12, 24
	;; [unrolled: 1-line block ×9, first 2 shown]
	v_cmp_lt_u32_e64 s[2:3], 61, v0
	s_waitcnt vmcnt(0)
	ds_write_b64 v1, v[132:133]
	s_waitcnt lgkmcnt(0)
	; wave barrier
	s_and_saveexec_b64 s[4:5], s[2:3]
	s_cbranch_execz .LBB127_16
; %bb.11:
	s_andn2_b64 vcc, exec, s[6:7]
	s_cbranch_vccnz .LBB127_13
; %bb.12:
	scratch_load_dwordx2 v[132:133], v19, off
	ds_read_b64 v[134:135], v1
	s_waitcnt vmcnt(0) lgkmcnt(0)
	v_mul_f64 v[132:133], v[132:133], v[134:135]
	s_cbranch_execz .LBB127_14
	s_branch .LBB127_15
.LBB127_13:
                                        ; implicit-def: $vgpr132_vgpr133
.LBB127_14:
	ds_read_b64 v[132:133], v1
.LBB127_15:
	scratch_load_dwordx2 v[138:139], off, off offset:496
	v_mov_b32_e32 v134, 0
	ds_read2_b64 v[134:137], v134 offset0:61 offset1:126
	s_waitcnt vmcnt(0) lgkmcnt(0)
	v_fma_f64 v[136:137], v[138:139], v[136:137], v[132:133]
	v_cndmask_b32_e64 v133, v133, v137, s[0:1]
	v_cndmask_b32_e64 v132, v132, v136, s[0:1]
	v_mul_f64 v[132:133], v[132:133], v[134:135]
	scratch_store_dwordx2 off, v[132:133], off offset:488
.LBB127_16:
	s_or_b64 exec, exec, s[4:5]
	scratch_load_dwordx2 v[132:133], off, off offset:480
	v_cmp_lt_u32_e64 s[0:1], 60, v0
	s_waitcnt vmcnt(0)
	ds_write_b64 v1, v[132:133]
	s_waitcnt lgkmcnt(0)
	; wave barrier
	s_and_saveexec_b64 s[4:5], s[0:1]
	s_cbranch_execz .LBB127_26
; %bb.17:
	s_andn2_b64 vcc, exec, s[6:7]
	s_cbranch_vccnz .LBB127_19
; %bb.18:
	scratch_load_dwordx2 v[132:133], v19, off
	ds_read_b64 v[134:135], v1
	s_waitcnt vmcnt(0) lgkmcnt(0)
	v_mul_f64 v[132:133], v[132:133], v[134:135]
	s_cbranch_execz .LBB127_20
	s_branch .LBB127_21
.LBB127_19:
                                        ; implicit-def: $vgpr132_vgpr133
.LBB127_20:
	ds_read_b64 v[132:133], v1
.LBB127_21:
	s_and_saveexec_b64 s[8:9], s[2:3]
	s_cbranch_execz .LBB127_25
; %bb.22:
	v_subrev_u32_e32 v134, 61, v0
	s_movk_i32 s72, 0x3e8
	s_mov_b64 s[2:3], 0
.LBB127_23:                             ; =>This Inner Loop Header: Depth=1
	scratch_load_dwordx2 v[136:137], off, s71
	v_mov_b32_e32 v135, s72
	ds_read_b64 v[138:139], v135
	v_add_u32_e32 v134, -1, v134
	s_add_i32 s72, s72, 8
	s_add_i32 s71, s71, 8
	v_cmp_eq_u32_e32 vcc, 0, v134
	s_or_b64 s[2:3], vcc, s[2:3]
	s_waitcnt vmcnt(0) lgkmcnt(0)
	v_fmac_f64_e32 v[132:133], v[136:137], v[138:139]
	s_andn2_b64 exec, exec, s[2:3]
	s_cbranch_execnz .LBB127_23
; %bb.24:
	s_or_b64 exec, exec, s[2:3]
.LBB127_25:
	s_or_b64 exec, exec, s[8:9]
	v_mov_b32_e32 v134, 0
	ds_read_b64 v[134:135], v134 offset:480
	s_waitcnt lgkmcnt(0)
	v_mul_f64 v[132:133], v[132:133], v[134:135]
	scratch_store_dwordx2 off, v[132:133], off offset:480
.LBB127_26:
	s_or_b64 exec, exec, s[4:5]
	scratch_load_dwordx2 v[132:133], off, off offset:472
	v_cmp_lt_u32_e64 s[2:3], 59, v0
	s_waitcnt vmcnt(0)
	ds_write_b64 v1, v[132:133]
	s_waitcnt lgkmcnt(0)
	; wave barrier
	s_and_saveexec_b64 s[4:5], s[2:3]
	s_cbranch_execz .LBB127_36
; %bb.27:
	s_andn2_b64 vcc, exec, s[6:7]
	s_cbranch_vccnz .LBB127_29
; %bb.28:
	scratch_load_dwordx2 v[132:133], v19, off
	ds_read_b64 v[134:135], v1
	s_waitcnt vmcnt(0) lgkmcnt(0)
	v_mul_f64 v[132:133], v[132:133], v[134:135]
	s_cbranch_execz .LBB127_30
	s_branch .LBB127_31
.LBB127_29:
                                        ; implicit-def: $vgpr132_vgpr133
.LBB127_30:
	ds_read_b64 v[132:133], v1
.LBB127_31:
	s_and_saveexec_b64 s[8:9], s[0:1]
	s_cbranch_execz .LBB127_35
; %bb.32:
	v_subrev_u32_e32 v134, 60, v0
	s_movk_i32 s71, 0x3e0
	s_mov_b64 s[0:1], 0
.LBB127_33:                             ; =>This Inner Loop Header: Depth=1
	scratch_load_dwordx2 v[136:137], off, s70
	v_mov_b32_e32 v135, s71
	ds_read_b64 v[138:139], v135
	v_add_u32_e32 v134, -1, v134
	s_add_i32 s71, s71, 8
	s_add_i32 s70, s70, 8
	v_cmp_eq_u32_e32 vcc, 0, v134
	s_or_b64 s[0:1], vcc, s[0:1]
	s_waitcnt vmcnt(0) lgkmcnt(0)
	v_fmac_f64_e32 v[132:133], v[136:137], v[138:139]
	s_andn2_b64 exec, exec, s[0:1]
	s_cbranch_execnz .LBB127_33
; %bb.34:
	s_or_b64 exec, exec, s[0:1]
.LBB127_35:
	s_or_b64 exec, exec, s[8:9]
	v_mov_b32_e32 v134, 0
	ds_read_b64 v[134:135], v134 offset:472
	s_waitcnt lgkmcnt(0)
	v_mul_f64 v[132:133], v[132:133], v[134:135]
	scratch_store_dwordx2 off, v[132:133], off offset:472
.LBB127_36:
	;; [unrolled: 53-line block ×8, first 2 shown]
	s_or_b64 exec, exec, s[4:5]
	scratch_load_dwordx2 v[132:133], off, off offset:416
	v_cmp_lt_u32_e64 s[0:1], 52, v0
	s_waitcnt vmcnt(0)
	ds_write_b64 v1, v[132:133]
	s_waitcnt lgkmcnt(0)
	; wave barrier
	s_and_saveexec_b64 s[4:5], s[0:1]
	s_cbranch_execz .LBB127_106
; %bb.97:
	s_andn2_b64 vcc, exec, s[6:7]
	s_cbranch_vccnz .LBB127_99
; %bb.98:
	scratch_load_dwordx2 v[132:133], v19, off
	ds_read_b64 v[134:135], v1
	s_waitcnt vmcnt(0) lgkmcnt(0)
	v_mul_f64 v[132:133], v[132:133], v[134:135]
	s_cbranch_execz .LBB127_100
	s_branch .LBB127_101
.LBB127_99:
                                        ; implicit-def: $vgpr132_vgpr133
.LBB127_100:
	ds_read_b64 v[132:133], v1
.LBB127_101:
	s_and_saveexec_b64 s[8:9], s[2:3]
	s_cbranch_execz .LBB127_105
; %bb.102:
	v_subrev_u32_e32 v134, 53, v0
	s_movk_i32 s64, 0x3a8
	s_mov_b64 s[2:3], 0
.LBB127_103:                            ; =>This Inner Loop Header: Depth=1
	scratch_load_dwordx2 v[136:137], off, s63
	v_mov_b32_e32 v135, s64
	ds_read_b64 v[138:139], v135
	v_add_u32_e32 v134, -1, v134
	s_add_i32 s64, s64, 8
	s_add_i32 s63, s63, 8
	v_cmp_eq_u32_e32 vcc, 0, v134
	s_or_b64 s[2:3], vcc, s[2:3]
	s_waitcnt vmcnt(0) lgkmcnt(0)
	v_fmac_f64_e32 v[132:133], v[136:137], v[138:139]
	s_andn2_b64 exec, exec, s[2:3]
	s_cbranch_execnz .LBB127_103
; %bb.104:
	s_or_b64 exec, exec, s[2:3]
.LBB127_105:
	s_or_b64 exec, exec, s[8:9]
	v_mov_b32_e32 v134, 0
	ds_read_b64 v[134:135], v134 offset:416
	s_waitcnt lgkmcnt(0)
	v_mul_f64 v[132:133], v[132:133], v[134:135]
	scratch_store_dwordx2 off, v[132:133], off offset:416
.LBB127_106:
	s_or_b64 exec, exec, s[4:5]
	scratch_load_dwordx2 v[132:133], off, off offset:408
	v_cmp_lt_u32_e64 s[2:3], 51, v0
	s_waitcnt vmcnt(0)
	ds_write_b64 v1, v[132:133]
	s_waitcnt lgkmcnt(0)
	; wave barrier
	s_and_saveexec_b64 s[4:5], s[2:3]
	s_cbranch_execz .LBB127_116
; %bb.107:
	s_andn2_b64 vcc, exec, s[6:7]
	s_cbranch_vccnz .LBB127_109
; %bb.108:
	scratch_load_dwordx2 v[132:133], v19, off
	ds_read_b64 v[134:135], v1
	s_waitcnt vmcnt(0) lgkmcnt(0)
	v_mul_f64 v[132:133], v[132:133], v[134:135]
	s_cbranch_execz .LBB127_110
	s_branch .LBB127_111
.LBB127_109:
                                        ; implicit-def: $vgpr132_vgpr133
.LBB127_110:
	ds_read_b64 v[132:133], v1
.LBB127_111:
	s_and_saveexec_b64 s[8:9], s[0:1]
	s_cbranch_execz .LBB127_115
; %bb.112:
	v_subrev_u32_e32 v134, 52, v0
	s_movk_i32 s63, 0x3a0
	s_mov_b64 s[0:1], 0
.LBB127_113:                            ; =>This Inner Loop Header: Depth=1
	scratch_load_dwordx2 v[136:137], off, s62
	v_mov_b32_e32 v135, s63
	ds_read_b64 v[138:139], v135
	v_add_u32_e32 v134, -1, v134
	s_add_i32 s63, s63, 8
	s_add_i32 s62, s62, 8
	v_cmp_eq_u32_e32 vcc, 0, v134
	s_or_b64 s[0:1], vcc, s[0:1]
	s_waitcnt vmcnt(0) lgkmcnt(0)
	v_fmac_f64_e32 v[132:133], v[136:137], v[138:139]
	s_andn2_b64 exec, exec, s[0:1]
	s_cbranch_execnz .LBB127_113
; %bb.114:
	s_or_b64 exec, exec, s[0:1]
.LBB127_115:
	s_or_b64 exec, exec, s[8:9]
	v_mov_b32_e32 v134, 0
	ds_read_b64 v[134:135], v134 offset:408
	s_waitcnt lgkmcnt(0)
	v_mul_f64 v[132:133], v[132:133], v[134:135]
	scratch_store_dwordx2 off, v[132:133], off offset:408
.LBB127_116:
	;; [unrolled: 53-line block ×37, first 2 shown]
	s_or_b64 exec, exec, s[4:5]
	scratch_load_dwordx2 v[132:133], off, off offset:120
	v_cmp_lt_u32_e64 s[2:3], 15, v0
	s_waitcnt vmcnt(0)
	ds_write_b64 v1, v[132:133]
	s_waitcnt lgkmcnt(0)
	; wave barrier
	s_and_saveexec_b64 s[4:5], s[2:3]
	s_cbranch_execz .LBB127_476
; %bb.467:
	s_andn2_b64 vcc, exec, s[6:7]
	s_cbranch_vccnz .LBB127_469
; %bb.468:
	scratch_load_dwordx2 v[132:133], v19, off
	ds_read_b64 v[134:135], v1
	s_waitcnt vmcnt(0) lgkmcnt(0)
	v_mul_f64 v[132:133], v[132:133], v[134:135]
	s_cbranch_execz .LBB127_470
	s_branch .LBB127_471
.LBB127_469:
                                        ; implicit-def: $vgpr132_vgpr133
.LBB127_470:
	ds_read_b64 v[132:133], v1
.LBB127_471:
	s_and_saveexec_b64 s[8:9], s[0:1]
	s_cbranch_execz .LBB127_475
; %bb.472:
	v_add_u32_e32 v134, -16, v0
	s_movk_i32 s26, 0x280
	s_mov_b64 s[0:1], 0
.LBB127_473:                            ; =>This Inner Loop Header: Depth=1
	scratch_load_dwordx2 v[136:137], off, s25
	v_mov_b32_e32 v135, s26
	ds_read_b64 v[138:139], v135
	v_add_u32_e32 v134, -1, v134
	s_add_i32 s26, s26, 8
	s_add_i32 s25, s25, 8
	v_cmp_eq_u32_e32 vcc, 0, v134
	s_or_b64 s[0:1], vcc, s[0:1]
	s_waitcnt vmcnt(0) lgkmcnt(0)
	v_fmac_f64_e32 v[132:133], v[136:137], v[138:139]
	s_andn2_b64 exec, exec, s[0:1]
	s_cbranch_execnz .LBB127_473
; %bb.474:
	s_or_b64 exec, exec, s[0:1]
.LBB127_475:
	s_or_b64 exec, exec, s[8:9]
	v_mov_b32_e32 v134, 0
	ds_read_b64 v[134:135], v134 offset:120
	s_waitcnt lgkmcnt(0)
	v_mul_f64 v[132:133], v[132:133], v[134:135]
	scratch_store_dwordx2 off, v[132:133], off offset:120
.LBB127_476:
	s_or_b64 exec, exec, s[4:5]
	scratch_load_dwordx2 v[132:133], off, off offset:112
	v_cmp_lt_u32_e64 s[0:1], 14, v0
	s_waitcnt vmcnt(0)
	ds_write_b64 v1, v[132:133]
	s_waitcnt lgkmcnt(0)
	; wave barrier
	s_and_saveexec_b64 s[4:5], s[0:1]
	s_cbranch_execz .LBB127_486
; %bb.477:
	s_andn2_b64 vcc, exec, s[6:7]
	s_cbranch_vccnz .LBB127_479
; %bb.478:
	scratch_load_dwordx2 v[132:133], v19, off
	ds_read_b64 v[134:135], v1
	s_waitcnt vmcnt(0) lgkmcnt(0)
	v_mul_f64 v[132:133], v[132:133], v[134:135]
	s_cbranch_execz .LBB127_480
	s_branch .LBB127_481
.LBB127_479:
                                        ; implicit-def: $vgpr132_vgpr133
.LBB127_480:
	ds_read_b64 v[132:133], v1
.LBB127_481:
	s_and_saveexec_b64 s[8:9], s[2:3]
	s_cbranch_execz .LBB127_485
; %bb.482:
	v_add_u32_e32 v134, -15, v0
	s_movk_i32 s25, 0x278
	s_mov_b64 s[2:3], 0
.LBB127_483:                            ; =>This Inner Loop Header: Depth=1
	scratch_load_dwordx2 v[136:137], off, s24
	v_mov_b32_e32 v135, s25
	ds_read_b64 v[138:139], v135
	v_add_u32_e32 v134, -1, v134
	s_add_i32 s25, s25, 8
	s_add_i32 s24, s24, 8
	v_cmp_eq_u32_e32 vcc, 0, v134
	s_or_b64 s[2:3], vcc, s[2:3]
	s_waitcnt vmcnt(0) lgkmcnt(0)
	v_fmac_f64_e32 v[132:133], v[136:137], v[138:139]
	s_andn2_b64 exec, exec, s[2:3]
	s_cbranch_execnz .LBB127_483
; %bb.484:
	s_or_b64 exec, exec, s[2:3]
.LBB127_485:
	s_or_b64 exec, exec, s[8:9]
	v_mov_b32_e32 v134, 0
	ds_read_b64 v[134:135], v134 offset:112
	s_waitcnt lgkmcnt(0)
	v_mul_f64 v[132:133], v[132:133], v[134:135]
	scratch_store_dwordx2 off, v[132:133], off offset:112
.LBB127_486:
	;; [unrolled: 53-line block ×15, first 2 shown]
	s_or_b64 exec, exec, s[4:5]
	scratch_load_dwordx2 v[132:133], off, off
	v_cmp_ne_u32_e32 vcc, 0, v0
	s_waitcnt vmcnt(0)
	ds_write_b64 v1, v[132:133]
	s_waitcnt lgkmcnt(0)
	; wave barrier
	s_and_saveexec_b64 s[0:1], vcc
	s_cbranch_execz .LBB127_626
; %bb.617:
	s_andn2_b64 vcc, exec, s[6:7]
	s_cbranch_vccnz .LBB127_619
; %bb.618:
	scratch_load_dwordx2 v[132:133], v19, off
	ds_read_b64 v[134:135], v1
	s_waitcnt vmcnt(0) lgkmcnt(0)
	v_mul_f64 v[132:133], v[132:133], v[134:135]
	s_cbranch_execz .LBB127_620
	s_branch .LBB127_621
.LBB127_619:
                                        ; implicit-def: $vgpr132_vgpr133
.LBB127_620:
	ds_read_b64 v[132:133], v1
.LBB127_621:
	s_and_saveexec_b64 s[4:5], s[2:3]
	s_cbranch_execz .LBB127_625
; %bb.622:
	v_add_u32_e32 v134, -1, v0
	s_movk_i32 s8, 0x208
	s_mov_b64 s[2:3], 0
.LBB127_623:                            ; =>This Inner Loop Header: Depth=1
	scratch_load_dwordx2 v[136:137], off, s10
	v_mov_b32_e32 v135, s8
	ds_read_b64 v[138:139], v135
	v_add_u32_e32 v134, -1, v134
	s_add_i32 s8, s8, 8
	s_add_i32 s10, s10, 8
	v_cmp_eq_u32_e32 vcc, 0, v134
	s_or_b64 s[2:3], vcc, s[2:3]
	s_waitcnt vmcnt(0) lgkmcnt(0)
	v_fmac_f64_e32 v[132:133], v[136:137], v[138:139]
	s_andn2_b64 exec, exec, s[2:3]
	s_cbranch_execnz .LBB127_623
; %bb.624:
	s_or_b64 exec, exec, s[2:3]
.LBB127_625:
	s_or_b64 exec, exec, s[4:5]
	v_mov_b32_e32 v134, 0
	ds_read_b64 v[134:135], v134
	s_waitcnt lgkmcnt(0)
	v_mul_f64 v[132:133], v[132:133], v[134:135]
	scratch_store_dwordx2 off, v[132:133], off
.LBB127_626:
	s_or_b64 exec, exec, s[0:1]
	s_mov_b64 s[0:1], 0
.LBB127_627:
	s_and_b64 vcc, exec, s[0:1]
	s_cbranch_vccz .LBB127_1249
; %bb.628:
	scratch_load_dwordx2 v[132:133], off, off offset:8
	v_cmp_eq_u32_e64 s[2:3], 0, v0
	s_waitcnt vmcnt(0)
	ds_write_b64 v1, v[132:133]
	s_waitcnt lgkmcnt(0)
	; wave barrier
	s_and_saveexec_b64 s[0:1], s[2:3]
	s_cbranch_execz .LBB127_634
; %bb.629:
	s_and_b64 vcc, exec, s[6:7]
	s_cbranch_vccz .LBB127_631
; %bb.630:
	scratch_load_dwordx2 v[132:133], v19, off
	ds_read_b64 v[134:135], v1
	s_waitcnt vmcnt(0) lgkmcnt(0)
	v_mul_f64 v[132:133], v[132:133], v[134:135]
	s_cbranch_execz .LBB127_632
	s_branch .LBB127_633
.LBB127_631:
                                        ; implicit-def: $vgpr132_vgpr133
.LBB127_632:
	ds_read_b64 v[132:133], v1
.LBB127_633:
	v_mov_b32_e32 v134, 0
	ds_read_b64 v[134:135], v134 offset:8
	s_waitcnt lgkmcnt(0)
	v_mul_f64 v[132:133], v[132:133], v[134:135]
	scratch_store_dwordx2 off, v[132:133], off offset:8
.LBB127_634:
	s_or_b64 exec, exec, s[0:1]
	scratch_load_dwordx2 v[132:133], off, off offset:16
	v_cndmask_b32_e64 v134, 0, 1, s[6:7]
	v_cmp_gt_u32_e32 vcc, 2, v0
	v_cmp_ne_u32_e64 s[0:1], 1, v134
	s_waitcnt vmcnt(0)
	ds_write_b64 v1, v[132:133]
	s_waitcnt lgkmcnt(0)
	; wave barrier
	s_and_saveexec_b64 s[4:5], vcc
	s_cbranch_execz .LBB127_640
; %bb.635:
	s_and_b64 vcc, exec, s[0:1]
	s_cbranch_vccnz .LBB127_637
; %bb.636:
	scratch_load_dwordx2 v[132:133], v19, off
	ds_read_b64 v[134:135], v1
	s_waitcnt vmcnt(0) lgkmcnt(0)
	v_mul_f64 v[132:133], v[132:133], v[134:135]
	s_cbranch_execz .LBB127_638
	s_branch .LBB127_639
.LBB127_637:
                                        ; implicit-def: $vgpr132_vgpr133
.LBB127_638:
	ds_read_b64 v[132:133], v1
.LBB127_639:
	scratch_load_dwordx2 v[138:139], off, off offset:8
	v_mov_b32_e32 v134, 0
	ds_read2_b64 v[134:137], v134 offset0:2 offset1:65
	s_waitcnt vmcnt(0) lgkmcnt(0)
	v_fma_f64 v[136:137], v[138:139], v[136:137], v[132:133]
	v_cndmask_b32_e64 v133, v133, v137, s[2:3]
	v_cndmask_b32_e64 v132, v132, v136, s[2:3]
	v_mul_f64 v[132:133], v[132:133], v[134:135]
	scratch_store_dwordx2 off, v[132:133], off offset:16
.LBB127_640:
	s_or_b64 exec, exec, s[4:5]
	scratch_load_dwordx2 v[132:133], off, off offset:24
	v_cmp_gt_u32_e32 vcc, 3, v0
	s_waitcnt vmcnt(0)
	ds_write_b64 v1, v[132:133]
	s_waitcnt lgkmcnt(0)
	; wave barrier
	s_and_saveexec_b64 s[4:5], vcc
	s_cbranch_execz .LBB127_648
; %bb.641:
	s_and_b64 vcc, exec, s[0:1]
	s_cbranch_vccnz .LBB127_643
; %bb.642:
	scratch_load_dwordx2 v[132:133], v19, off
	ds_read_b64 v[134:135], v1
	s_waitcnt vmcnt(0) lgkmcnt(0)
	v_mul_f64 v[132:133], v[132:133], v[134:135]
	s_cbranch_execz .LBB127_644
	s_branch .LBB127_645
.LBB127_643:
                                        ; implicit-def: $vgpr132_vgpr133
.LBB127_644:
	ds_read_b64 v[132:133], v1
.LBB127_645:
	v_cmp_ne_u32_e32 vcc, 2, v0
	s_and_saveexec_b64 s[6:7], vcc
	s_cbranch_execz .LBB127_647
; %bb.646:
	scratch_load_dwordx2 v[134:135], v19, off offset:8
	scratch_load_dwordx2 v[136:137], off, off offset:16
	ds_read_b64 v[138:139], v1 offset:8
	v_mov_b32_e32 v140, 0
	ds_read_b64 v[140:141], v140 offset:528
	s_waitcnt vmcnt(1) lgkmcnt(1)
	v_fmac_f64_e32 v[132:133], v[134:135], v[138:139]
	s_waitcnt vmcnt(0) lgkmcnt(0)
	v_fma_f64 v[134:135], v[136:137], v[140:141], v[132:133]
	v_cndmask_b32_e64 v133, v133, v135, s[2:3]
	v_cndmask_b32_e64 v132, v132, v134, s[2:3]
.LBB127_647:
	s_or_b64 exec, exec, s[6:7]
	v_mov_b32_e32 v134, 0
	ds_read_b64 v[134:135], v134 offset:24
	s_waitcnt lgkmcnt(0)
	v_mul_f64 v[132:133], v[132:133], v[134:135]
	scratch_store_dwordx2 off, v[132:133], off offset:24
.LBB127_648:
	s_or_b64 exec, exec, s[4:5]
	scratch_load_dwordx2 v[132:133], off, off offset:32
	v_cmp_gt_u32_e32 vcc, 4, v0
	s_waitcnt vmcnt(0)
	ds_write_b64 v1, v[132:133]
	s_waitcnt lgkmcnt(0)
	; wave barrier
	s_and_saveexec_b64 s[2:3], vcc
	s_cbranch_execz .LBB127_658
; %bb.649:
	s_and_b64 vcc, exec, s[0:1]
	s_cbranch_vccnz .LBB127_651
; %bb.650:
	scratch_load_dwordx2 v[132:133], v19, off
	ds_read_b64 v[134:135], v1
	s_waitcnt vmcnt(0) lgkmcnt(0)
	v_mul_f64 v[132:133], v[132:133], v[134:135]
	s_cbranch_execz .LBB127_652
	s_branch .LBB127_653
.LBB127_651:
                                        ; implicit-def: $vgpr132_vgpr133
.LBB127_652:
	ds_read_b64 v[132:133], v1
.LBB127_653:
	v_cmp_ne_u32_e32 vcc, 3, v0
	s_and_saveexec_b64 s[4:5], vcc
	s_cbranch_execz .LBB127_657
; %bb.654:
	s_mov_b32 s6, 0
	v_add_u32_e32 v134, 0x208, v18
	v_add3_u32 v135, v18, s6, 8
	s_mov_b64 s[6:7], 0
	v_mov_b32_e32 v136, v0
.LBB127_655:                            ; =>This Inner Loop Header: Depth=1
	scratch_load_dwordx2 v[138:139], v135, off
	ds_read_b64 v[140:141], v134
	v_add_u32_e32 v136, 1, v136
	v_cmp_lt_u32_e32 vcc, 2, v136
	v_add_u32_e32 v134, 8, v134
	v_add_u32_e32 v135, 8, v135
	s_or_b64 s[6:7], vcc, s[6:7]
	s_waitcnt vmcnt(0) lgkmcnt(0)
	v_fmac_f64_e32 v[132:133], v[138:139], v[140:141]
	s_andn2_b64 exec, exec, s[6:7]
	s_cbranch_execnz .LBB127_655
; %bb.656:
	s_or_b64 exec, exec, s[6:7]
.LBB127_657:
	s_or_b64 exec, exec, s[4:5]
	v_mov_b32_e32 v134, 0
	ds_read_b64 v[134:135], v134 offset:32
	s_waitcnt lgkmcnt(0)
	v_mul_f64 v[132:133], v[132:133], v[134:135]
	scratch_store_dwordx2 off, v[132:133], off offset:32
.LBB127_658:
	s_or_b64 exec, exec, s[2:3]
	scratch_load_dwordx2 v[132:133], off, off offset:40
	v_cmp_gt_u32_e32 vcc, 5, v0
	s_waitcnt vmcnt(0)
	ds_write_b64 v1, v[132:133]
	s_waitcnt lgkmcnt(0)
	; wave barrier
	s_and_saveexec_b64 s[2:3], vcc
	s_cbranch_execz .LBB127_668
; %bb.659:
	s_and_b64 vcc, exec, s[0:1]
	s_cbranch_vccnz .LBB127_661
; %bb.660:
	scratch_load_dwordx2 v[132:133], v19, off
	ds_read_b64 v[134:135], v1
	s_waitcnt vmcnt(0) lgkmcnt(0)
	v_mul_f64 v[132:133], v[132:133], v[134:135]
	s_cbranch_execz .LBB127_662
	s_branch .LBB127_663
.LBB127_661:
                                        ; implicit-def: $vgpr132_vgpr133
.LBB127_662:
	ds_read_b64 v[132:133], v1
.LBB127_663:
	v_cmp_ne_u32_e32 vcc, 4, v0
	s_and_saveexec_b64 s[4:5], vcc
	s_cbranch_execz .LBB127_667
; %bb.664:
	s_mov_b32 s6, 0
	v_add_u32_e32 v134, 0x208, v18
	v_add3_u32 v135, v18, s6, 8
	s_mov_b64 s[6:7], 0
	v_mov_b32_e32 v136, v0
.LBB127_665:                            ; =>This Inner Loop Header: Depth=1
	scratch_load_dwordx2 v[138:139], v135, off
	ds_read_b64 v[140:141], v134
	v_add_u32_e32 v136, 1, v136
	v_cmp_lt_u32_e32 vcc, 3, v136
	v_add_u32_e32 v134, 8, v134
	v_add_u32_e32 v135, 8, v135
	s_or_b64 s[6:7], vcc, s[6:7]
	s_waitcnt vmcnt(0) lgkmcnt(0)
	v_fmac_f64_e32 v[132:133], v[138:139], v[140:141]
	s_andn2_b64 exec, exec, s[6:7]
	s_cbranch_execnz .LBB127_665
; %bb.666:
	s_or_b64 exec, exec, s[6:7]
.LBB127_667:
	s_or_b64 exec, exec, s[4:5]
	v_mov_b32_e32 v134, 0
	ds_read_b64 v[134:135], v134 offset:40
	s_waitcnt lgkmcnt(0)
	v_mul_f64 v[132:133], v[132:133], v[134:135]
	scratch_store_dwordx2 off, v[132:133], off offset:40
.LBB127_668:
	;; [unrolled: 55-line block ×35, first 2 shown]
	s_or_b64 exec, exec, s[2:3]
	scratch_load_dwordx2 v[132:133], off, off offset:312
	v_cmp_gt_u32_e32 vcc, 39, v0
	s_waitcnt vmcnt(0)
	ds_write_b64 v1, v[132:133]
	s_waitcnt lgkmcnt(0)
	; wave barrier
	s_and_saveexec_b64 s[2:3], vcc
	s_cbranch_execz .LBB127_1008
; %bb.999:
	s_and_b64 vcc, exec, s[0:1]
	s_cbranch_vccnz .LBB127_1001
; %bb.1000:
	scratch_load_dwordx2 v[132:133], v19, off
	ds_read_b64 v[134:135], v1
	s_waitcnt vmcnt(0) lgkmcnt(0)
	v_mul_f64 v[132:133], v[132:133], v[134:135]
	s_cbranch_execz .LBB127_1002
	s_branch .LBB127_1003
.LBB127_1001:
                                        ; implicit-def: $vgpr132_vgpr133
.LBB127_1002:
	ds_read_b64 v[132:133], v1
.LBB127_1003:
	v_cmp_ne_u32_e32 vcc, 38, v0
	s_and_saveexec_b64 s[4:5], vcc
	s_cbranch_execz .LBB127_1007
; %bb.1004:
	s_mov_b32 s6, 0
	v_add_u32_e32 v134, 0x208, v18
	v_add3_u32 v135, v18, s6, 8
	s_mov_b64 s[6:7], 0
	v_mov_b32_e32 v136, v0
.LBB127_1005:                           ; =>This Inner Loop Header: Depth=1
	scratch_load_dwordx2 v[138:139], v135, off
	ds_read_b64 v[140:141], v134
	v_add_u32_e32 v136, 1, v136
	v_cmp_lt_u32_e32 vcc, 37, v136
	v_add_u32_e32 v134, 8, v134
	v_add_u32_e32 v135, 8, v135
	s_or_b64 s[6:7], vcc, s[6:7]
	s_waitcnt vmcnt(0) lgkmcnt(0)
	v_fmac_f64_e32 v[132:133], v[138:139], v[140:141]
	s_andn2_b64 exec, exec, s[6:7]
	s_cbranch_execnz .LBB127_1005
; %bb.1006:
	s_or_b64 exec, exec, s[6:7]
.LBB127_1007:
	s_or_b64 exec, exec, s[4:5]
	v_mov_b32_e32 v134, 0
	ds_read_b64 v[134:135], v134 offset:312
	s_waitcnt lgkmcnt(0)
	v_mul_f64 v[132:133], v[132:133], v[134:135]
	scratch_store_dwordx2 off, v[132:133], off offset:312
.LBB127_1008:
	s_or_b64 exec, exec, s[2:3]
	scratch_load_dwordx2 v[132:133], off, off offset:320
	v_cmp_gt_u32_e32 vcc, 40, v0
	s_waitcnt vmcnt(0)
	ds_write_b64 v1, v[132:133]
	s_waitcnt lgkmcnt(0)
	; wave barrier
	s_and_saveexec_b64 s[2:3], vcc
	s_cbranch_execz .LBB127_1018
; %bb.1009:
	s_and_b64 vcc, exec, s[0:1]
	s_cbranch_vccnz .LBB127_1011
; %bb.1010:
	scratch_load_dwordx2 v[132:133], v19, off
	ds_read_b64 v[134:135], v1
	s_waitcnt vmcnt(0) lgkmcnt(0)
	v_mul_f64 v[132:133], v[132:133], v[134:135]
	s_cbranch_execz .LBB127_1012
	s_branch .LBB127_1013
.LBB127_1011:
                                        ; implicit-def: $vgpr132_vgpr133
.LBB127_1012:
	ds_read_b64 v[132:133], v1
.LBB127_1013:
	v_cmp_ne_u32_e32 vcc, 39, v0
	s_and_saveexec_b64 s[4:5], vcc
	s_cbranch_execz .LBB127_1017
; %bb.1014:
	s_mov_b32 s6, 0
	v_add_u32_e32 v134, 0x208, v18
	v_add3_u32 v135, v18, s6, 8
	s_mov_b64 s[6:7], 0
	v_mov_b32_e32 v136, v0
.LBB127_1015:                           ; =>This Inner Loop Header: Depth=1
	scratch_load_dwordx2 v[138:139], v135, off
	ds_read_b64 v[140:141], v134
	v_add_u32_e32 v136, 1, v136
	v_cmp_lt_u32_e32 vcc, 38, v136
	v_add_u32_e32 v134, 8, v134
	v_add_u32_e32 v135, 8, v135
	s_or_b64 s[6:7], vcc, s[6:7]
	s_waitcnt vmcnt(0) lgkmcnt(0)
	v_fmac_f64_e32 v[132:133], v[138:139], v[140:141]
	s_andn2_b64 exec, exec, s[6:7]
	s_cbranch_execnz .LBB127_1015
; %bb.1016:
	s_or_b64 exec, exec, s[6:7]
.LBB127_1017:
	s_or_b64 exec, exec, s[4:5]
	v_mov_b32_e32 v134, 0
	ds_read_b64 v[134:135], v134 offset:320
	s_waitcnt lgkmcnt(0)
	v_mul_f64 v[132:133], v[132:133], v[134:135]
	scratch_store_dwordx2 off, v[132:133], off offset:320
.LBB127_1018:
	;; [unrolled: 55-line block ×23, first 2 shown]
	s_or_b64 exec, exec, s[2:3]
	scratch_load_dwordx2 v[132:133], off, off offset:496
	v_cmp_gt_u32_e64 s[2:3], 62, v0
	s_waitcnt vmcnt(0)
	ds_write_b64 v1, v[132:133]
	s_waitcnt lgkmcnt(0)
	; wave barrier
	s_and_saveexec_b64 s[4:5], s[2:3]
	s_cbranch_execz .LBB127_1238
; %bb.1229:
	s_and_b64 vcc, exec, s[0:1]
	s_cbranch_vccnz .LBB127_1231
; %bb.1230:
	scratch_load_dwordx2 v[132:133], v19, off
	ds_read_b64 v[134:135], v1
	s_waitcnt vmcnt(0) lgkmcnt(0)
	v_mul_f64 v[132:133], v[132:133], v[134:135]
	s_cbranch_execz .LBB127_1232
	s_branch .LBB127_1233
.LBB127_1231:
                                        ; implicit-def: $vgpr132_vgpr133
.LBB127_1232:
	ds_read_b64 v[132:133], v1
.LBB127_1233:
	v_cmp_ne_u32_e32 vcc, 61, v0
	s_and_saveexec_b64 s[6:7], vcc
	s_cbranch_execz .LBB127_1237
; %bb.1234:
	s_mov_b32 s8, 0
	v_add_u32_e32 v134, 0x208, v18
	v_add3_u32 v135, v18, s8, 8
	s_mov_b64 s[8:9], 0
	v_mov_b32_e32 v136, v0
.LBB127_1235:                           ; =>This Inner Loop Header: Depth=1
	scratch_load_dwordx2 v[138:139], v135, off
	ds_read_b64 v[140:141], v134
	v_add_u32_e32 v136, 1, v136
	v_cmp_lt_u32_e32 vcc, 60, v136
	v_add_u32_e32 v134, 8, v134
	v_add_u32_e32 v135, 8, v135
	s_or_b64 s[8:9], vcc, s[8:9]
	s_waitcnt vmcnt(0) lgkmcnt(0)
	v_fmac_f64_e32 v[132:133], v[138:139], v[140:141]
	s_andn2_b64 exec, exec, s[8:9]
	s_cbranch_execnz .LBB127_1235
; %bb.1236:
	s_or_b64 exec, exec, s[8:9]
.LBB127_1237:
	s_or_b64 exec, exec, s[6:7]
	v_mov_b32_e32 v134, 0
	ds_read_b64 v[134:135], v134 offset:496
	s_waitcnt lgkmcnt(0)
	v_mul_f64 v[132:133], v[132:133], v[134:135]
	scratch_store_dwordx2 off, v[132:133], off offset:496
.LBB127_1238:
	s_or_b64 exec, exec, s[4:5]
	scratch_load_dwordx2 v[132:133], off, off offset:504
	v_cmp_ne_u32_e32 vcc, 63, v0
	s_waitcnt vmcnt(0)
	ds_write_b64 v1, v[132:133]
	s_waitcnt lgkmcnt(0)
	; wave barrier
	s_and_saveexec_b64 s[4:5], vcc
	s_cbranch_execz .LBB127_1248
; %bb.1239:
	s_and_b64 vcc, exec, s[0:1]
	s_cbranch_vccnz .LBB127_1241
; %bb.1240:
	scratch_load_dwordx2 v[132:133], v19, off
	ds_read_b64 v[134:135], v1
	s_waitcnt vmcnt(0) lgkmcnt(0)
	v_mul_f64 v[132:133], v[132:133], v[134:135]
	s_cbranch_execz .LBB127_1242
	s_branch .LBB127_1243
.LBB127_1241:
                                        ; implicit-def: $vgpr132_vgpr133
.LBB127_1242:
	ds_read_b64 v[132:133], v1
.LBB127_1243:
	s_and_saveexec_b64 s[0:1], s[2:3]
	s_cbranch_execz .LBB127_1247
; %bb.1244:
	s_mov_b32 s2, 0
	v_add_u32_e32 v1, 0x208, v18
	v_add3_u32 v18, v18, s2, 8
	s_mov_b64 s[2:3], 0
.LBB127_1245:                           ; =>This Inner Loop Header: Depth=1
	scratch_load_dwordx2 v[134:135], v18, off
	ds_read_b64 v[136:137], v1
	v_add_u32_e32 v0, 1, v0
	v_cmp_lt_u32_e32 vcc, 61, v0
	v_add_u32_e32 v1, 8, v1
	v_add_u32_e32 v18, 8, v18
	s_or_b64 s[2:3], vcc, s[2:3]
	s_waitcnt vmcnt(0) lgkmcnt(0)
	v_fmac_f64_e32 v[132:133], v[134:135], v[136:137]
	s_andn2_b64 exec, exec, s[2:3]
	s_cbranch_execnz .LBB127_1245
; %bb.1246:
	s_or_b64 exec, exec, s[2:3]
.LBB127_1247:
	s_or_b64 exec, exec, s[0:1]
	v_mov_b32_e32 v0, 0
	ds_read_b64 v[0:1], v0 offset:504
	s_waitcnt lgkmcnt(0)
	v_mul_f64 v[0:1], v[132:133], v[0:1]
	scratch_store_dwordx2 off, v[0:1], off offset:504
.LBB127_1248:
	s_or_b64 exec, exec, s[4:5]
.LBB127_1249:
	scratch_load_dwordx2 v[0:1], off, off
	s_waitcnt vmcnt(0)
	flat_store_dwordx2 v[2:3], v[0:1]
	scratch_load_dwordx2 v[0:1], off, off offset:8
	s_waitcnt vmcnt(0)
	flat_store_dwordx2 v[4:5], v[0:1]
	scratch_load_dwordx2 v[0:1], off, off offset:16
	;; [unrolled: 3-line block ×63, first 2 shown]
	s_waitcnt vmcnt(0)
	flat_store_dwordx2 v[130:131], v[0:1]
.LBB127_1250:
	s_endpgm
	.section	.rodata,"a",@progbits
	.p2align	6, 0x0
	.amdhsa_kernel _ZN9rocsolver6v33100L18trti2_kernel_smallILi64EdPKPdEEv13rocblas_fill_17rocblas_diagonal_T1_iil
		.amdhsa_group_segment_fixed_size 1024
		.amdhsa_private_segment_fixed_size 528
		.amdhsa_kernarg_size 32
		.amdhsa_user_sgpr_count 2
		.amdhsa_user_sgpr_dispatch_ptr 0
		.amdhsa_user_sgpr_queue_ptr 0
		.amdhsa_user_sgpr_kernarg_segment_ptr 1
		.amdhsa_user_sgpr_dispatch_id 0
		.amdhsa_user_sgpr_kernarg_preload_length 0
		.amdhsa_user_sgpr_kernarg_preload_offset 0
		.amdhsa_user_sgpr_private_segment_size 0
		.amdhsa_uses_dynamic_stack 0
		.amdhsa_enable_private_segment 1
		.amdhsa_system_sgpr_workgroup_id_x 1
		.amdhsa_system_sgpr_workgroup_id_y 0
		.amdhsa_system_sgpr_workgroup_id_z 0
		.amdhsa_system_sgpr_workgroup_info 0
		.amdhsa_system_vgpr_workitem_id 0
		.amdhsa_next_free_vgpr 142
		.amdhsa_next_free_sgpr 73
		.amdhsa_accum_offset 144
		.amdhsa_reserve_vcc 1
		.amdhsa_float_round_mode_32 0
		.amdhsa_float_round_mode_16_64 0
		.amdhsa_float_denorm_mode_32 3
		.amdhsa_float_denorm_mode_16_64 3
		.amdhsa_dx10_clamp 1
		.amdhsa_ieee_mode 1
		.amdhsa_fp16_overflow 0
		.amdhsa_tg_split 0
		.amdhsa_exception_fp_ieee_invalid_op 0
		.amdhsa_exception_fp_denorm_src 0
		.amdhsa_exception_fp_ieee_div_zero 0
		.amdhsa_exception_fp_ieee_overflow 0
		.amdhsa_exception_fp_ieee_underflow 0
		.amdhsa_exception_fp_ieee_inexact 0
		.amdhsa_exception_int_div_zero 0
	.end_amdhsa_kernel
	.section	.text._ZN9rocsolver6v33100L18trti2_kernel_smallILi64EdPKPdEEv13rocblas_fill_17rocblas_diagonal_T1_iil,"axG",@progbits,_ZN9rocsolver6v33100L18trti2_kernel_smallILi64EdPKPdEEv13rocblas_fill_17rocblas_diagonal_T1_iil,comdat
.Lfunc_end127:
	.size	_ZN9rocsolver6v33100L18trti2_kernel_smallILi64EdPKPdEEv13rocblas_fill_17rocblas_diagonal_T1_iil, .Lfunc_end127-_ZN9rocsolver6v33100L18trti2_kernel_smallILi64EdPKPdEEv13rocblas_fill_17rocblas_diagonal_T1_iil
                                        ; -- End function
	.set _ZN9rocsolver6v33100L18trti2_kernel_smallILi64EdPKPdEEv13rocblas_fill_17rocblas_diagonal_T1_iil.num_vgpr, 142
	.set _ZN9rocsolver6v33100L18trti2_kernel_smallILi64EdPKPdEEv13rocblas_fill_17rocblas_diagonal_T1_iil.num_agpr, 0
	.set _ZN9rocsolver6v33100L18trti2_kernel_smallILi64EdPKPdEEv13rocblas_fill_17rocblas_diagonal_T1_iil.numbered_sgpr, 73
	.set _ZN9rocsolver6v33100L18trti2_kernel_smallILi64EdPKPdEEv13rocblas_fill_17rocblas_diagonal_T1_iil.num_named_barrier, 0
	.set _ZN9rocsolver6v33100L18trti2_kernel_smallILi64EdPKPdEEv13rocblas_fill_17rocblas_diagonal_T1_iil.private_seg_size, 528
	.set _ZN9rocsolver6v33100L18trti2_kernel_smallILi64EdPKPdEEv13rocblas_fill_17rocblas_diagonal_T1_iil.uses_vcc, 1
	.set _ZN9rocsolver6v33100L18trti2_kernel_smallILi64EdPKPdEEv13rocblas_fill_17rocblas_diagonal_T1_iil.uses_flat_scratch, 0
	.set _ZN9rocsolver6v33100L18trti2_kernel_smallILi64EdPKPdEEv13rocblas_fill_17rocblas_diagonal_T1_iil.has_dyn_sized_stack, 0
	.set _ZN9rocsolver6v33100L18trti2_kernel_smallILi64EdPKPdEEv13rocblas_fill_17rocblas_diagonal_T1_iil.has_recursion, 0
	.set _ZN9rocsolver6v33100L18trti2_kernel_smallILi64EdPKPdEEv13rocblas_fill_17rocblas_diagonal_T1_iil.has_indirect_call, 0
	.section	.AMDGPU.csdata,"",@progbits
; Kernel info:
; codeLenInByte = 31256
; TotalNumSgprs: 79
; NumVgprs: 142
; NumAgprs: 0
; TotalNumVgprs: 142
; ScratchSize: 528
; MemoryBound: 0
; FloatMode: 240
; IeeeMode: 1
; LDSByteSize: 1024 bytes/workgroup (compile time only)
; SGPRBlocks: 9
; VGPRBlocks: 17
; NumSGPRsForWavesPerEU: 79
; NumVGPRsForWavesPerEU: 142
; AccumOffset: 144
; Occupancy: 3
; WaveLimiterHint : 1
; COMPUTE_PGM_RSRC2:SCRATCH_EN: 1
; COMPUTE_PGM_RSRC2:USER_SGPR: 2
; COMPUTE_PGM_RSRC2:TRAP_HANDLER: 0
; COMPUTE_PGM_RSRC2:TGID_X_EN: 1
; COMPUTE_PGM_RSRC2:TGID_Y_EN: 0
; COMPUTE_PGM_RSRC2:TGID_Z_EN: 0
; COMPUTE_PGM_RSRC2:TIDIG_COMP_CNT: 0
; COMPUTE_PGM_RSRC3_GFX90A:ACCUM_OFFSET: 35
; COMPUTE_PGM_RSRC3_GFX90A:TG_SPLIT: 0
	.section	.AMDGPU.gpr_maximums,"",@progbits
	.set amdgpu.max_num_vgpr, 0
	.set amdgpu.max_num_agpr, 0
	.set amdgpu.max_num_sgpr, 0
	.section	.AMDGPU.csdata,"",@progbits
	.type	__hip_cuid_2885fafe1910b9d0,@object ; @__hip_cuid_2885fafe1910b9d0
	.section	.bss,"aw",@nobits
	.globl	__hip_cuid_2885fafe1910b9d0
__hip_cuid_2885fafe1910b9d0:
	.byte	0                               ; 0x0
	.size	__hip_cuid_2885fafe1910b9d0, 1

	.ident	"AMD clang version 22.0.0git (https://github.com/RadeonOpenCompute/llvm-project roc-7.2.4 26084 f58b06dce1f9c15707c5f808fd002e18c2accf7e)"
	.section	".note.GNU-stack","",@progbits
	.addrsig
	.addrsig_sym __hip_cuid_2885fafe1910b9d0
	.amdgpu_metadata
---
amdhsa.kernels:
  - .agpr_count:     0
    .args:
      - .offset:         0
        .size:           4
        .value_kind:     by_value
      - .offset:         4
        .size:           4
        .value_kind:     by_value
      - .address_space:  global
        .offset:         8
        .size:           8
        .value_kind:     global_buffer
      - .offset:         16
        .size:           4
        .value_kind:     by_value
      - .offset:         20
        .size:           4
        .value_kind:     by_value
      - .offset:         24
        .size:           8
        .value_kind:     by_value
    .group_segment_fixed_size: 0
    .kernarg_segment_align: 8
    .kernarg_segment_size: 32
    .language:       OpenCL C
    .language_version:
      - 2
      - 0
    .max_flat_workgroup_size: 64
    .name:           _ZN9rocsolver6v33100L18trti2_kernel_smallILi1EdPdEEv13rocblas_fill_17rocblas_diagonal_T1_iil
    .private_segment_fixed_size: 0
    .sgpr_count:     17
    .sgpr_spill_count: 0
    .symbol:         _ZN9rocsolver6v33100L18trti2_kernel_smallILi1EdPdEEv13rocblas_fill_17rocblas_diagonal_T1_iil.kd
    .uniform_work_group_size: 1
    .uses_dynamic_stack: false
    .vgpr_count:     9
    .vgpr_spill_count: 0
    .wavefront_size: 64
  - .agpr_count:     0
    .args:
      - .offset:         0
        .size:           4
        .value_kind:     by_value
      - .offset:         4
        .size:           4
        .value_kind:     by_value
      - .address_space:  global
        .offset:         8
        .size:           8
        .value_kind:     global_buffer
      - .offset:         16
        .size:           4
        .value_kind:     by_value
      - .offset:         20
        .size:           4
        .value_kind:     by_value
      - .offset:         24
        .size:           8
        .value_kind:     by_value
    .group_segment_fixed_size: 32
    .kernarg_segment_align: 8
    .kernarg_segment_size: 32
    .language:       OpenCL C
    .language_version:
      - 2
      - 0
    .max_flat_workgroup_size: 64
    .name:           _ZN9rocsolver6v33100L18trti2_kernel_smallILi2EdPdEEv13rocblas_fill_17rocblas_diagonal_T1_iil
    .private_segment_fixed_size: 0
    .sgpr_count:     18
    .sgpr_spill_count: 0
    .symbol:         _ZN9rocsolver6v33100L18trti2_kernel_smallILi2EdPdEEv13rocblas_fill_17rocblas_diagonal_T1_iil.kd
    .uniform_work_group_size: 1
    .uses_dynamic_stack: false
    .vgpr_count:     22
    .vgpr_spill_count: 0
    .wavefront_size: 64
  - .agpr_count:     0
    .args:
      - .offset:         0
        .size:           4
        .value_kind:     by_value
      - .offset:         4
        .size:           4
        .value_kind:     by_value
      - .address_space:  global
        .offset:         8
        .size:           8
        .value_kind:     global_buffer
      - .offset:         16
        .size:           4
        .value_kind:     by_value
      - .offset:         20
        .size:           4
        .value_kind:     by_value
      - .offset:         24
        .size:           8
        .value_kind:     by_value
    .group_segment_fixed_size: 56
    .kernarg_segment_align: 8
    .kernarg_segment_size: 32
    .language:       OpenCL C
    .language_version:
      - 2
      - 0
    .max_flat_workgroup_size: 64
    .name:           _ZN9rocsolver6v33100L18trti2_kernel_smallILi3EdPdEEv13rocblas_fill_17rocblas_diagonal_T1_iil
    .private_segment_fixed_size: 0
    .sgpr_count:     18
    .sgpr_spill_count: 0
    .symbol:         _ZN9rocsolver6v33100L18trti2_kernel_smallILi3EdPdEEv13rocblas_fill_17rocblas_diagonal_T1_iil.kd
    .uniform_work_group_size: 1
    .uses_dynamic_stack: false
    .vgpr_count:     28
    .vgpr_spill_count: 0
    .wavefront_size: 64
  - .agpr_count:     0
    .args:
      - .offset:         0
        .size:           4
        .value_kind:     by_value
      - .offset:         4
        .size:           4
        .value_kind:     by_value
      - .address_space:  global
        .offset:         8
        .size:           8
        .value_kind:     global_buffer
      - .offset:         16
        .size:           4
        .value_kind:     by_value
      - .offset:         20
        .size:           4
        .value_kind:     by_value
      - .offset:         24
        .size:           8
        .value_kind:     by_value
    .group_segment_fixed_size: 64
    .kernarg_segment_align: 8
    .kernarg_segment_size: 32
    .language:       OpenCL C
    .language_version:
      - 2
      - 0
    .max_flat_workgroup_size: 64
    .name:           _ZN9rocsolver6v33100L18trti2_kernel_smallILi4EdPdEEv13rocblas_fill_17rocblas_diagonal_T1_iil
    .private_segment_fixed_size: 0
    .sgpr_count:     22
    .sgpr_spill_count: 0
    .symbol:         _ZN9rocsolver6v33100L18trti2_kernel_smallILi4EdPdEEv13rocblas_fill_17rocblas_diagonal_T1_iil.kd
    .uniform_work_group_size: 1
    .uses_dynamic_stack: false
    .vgpr_count:     49
    .vgpr_spill_count: 0
    .wavefront_size: 64
  - .agpr_count:     0
    .args:
      - .offset:         0
        .size:           4
        .value_kind:     by_value
      - .offset:         4
        .size:           4
        .value_kind:     by_value
      - .address_space:  global
        .offset:         8
        .size:           8
        .value_kind:     global_buffer
      - .offset:         16
        .size:           4
        .value_kind:     by_value
      - .offset:         20
        .size:           4
        .value_kind:     by_value
      - .offset:         24
        .size:           8
        .value_kind:     by_value
    .group_segment_fixed_size: 88
    .kernarg_segment_align: 8
    .kernarg_segment_size: 32
    .language:       OpenCL C
    .language_version:
      - 2
      - 0
    .max_flat_workgroup_size: 64
    .name:           _ZN9rocsolver6v33100L18trti2_kernel_smallILi5EdPdEEv13rocblas_fill_17rocblas_diagonal_T1_iil
    .private_segment_fixed_size: 0
    .sgpr_count:     24
    .sgpr_spill_count: 0
    .symbol:         _ZN9rocsolver6v33100L18trti2_kernel_smallILi5EdPdEEv13rocblas_fill_17rocblas_diagonal_T1_iil.kd
    .uniform_work_group_size: 1
    .uses_dynamic_stack: false
    .vgpr_count:     62
    .vgpr_spill_count: 0
    .wavefront_size: 64
  - .agpr_count:     0
    .args:
      - .offset:         0
        .size:           4
        .value_kind:     by_value
      - .offset:         4
        .size:           4
        .value_kind:     by_value
      - .address_space:  global
        .offset:         8
        .size:           8
        .value_kind:     global_buffer
      - .offset:         16
        .size:           4
        .value_kind:     by_value
      - .offset:         20
        .size:           4
        .value_kind:     by_value
      - .offset:         24
        .size:           8
        .value_kind:     by_value
    .group_segment_fixed_size: 96
    .kernarg_segment_align: 8
    .kernarg_segment_size: 32
    .language:       OpenCL C
    .language_version:
      - 2
      - 0
    .max_flat_workgroup_size: 64
    .name:           _ZN9rocsolver6v33100L18trti2_kernel_smallILi6EdPdEEv13rocblas_fill_17rocblas_diagonal_T1_iil
    .private_segment_fixed_size: 0
    .sgpr_count:     34
    .sgpr_spill_count: 0
    .symbol:         _ZN9rocsolver6v33100L18trti2_kernel_smallILi6EdPdEEv13rocblas_fill_17rocblas_diagonal_T1_iil.kd
    .uniform_work_group_size: 1
    .uses_dynamic_stack: false
    .vgpr_count:     66
    .vgpr_spill_count: 0
    .wavefront_size: 64
  - .agpr_count:     0
    .args:
      - .offset:         0
        .size:           4
        .value_kind:     by_value
      - .offset:         4
        .size:           4
        .value_kind:     by_value
      - .address_space:  global
        .offset:         8
        .size:           8
        .value_kind:     global_buffer
      - .offset:         16
        .size:           4
        .value_kind:     by_value
      - .offset:         20
        .size:           4
        .value_kind:     by_value
      - .offset:         24
        .size:           8
        .value_kind:     by_value
    .group_segment_fixed_size: 120
    .kernarg_segment_align: 8
    .kernarg_segment_size: 32
    .language:       OpenCL C
    .language_version:
      - 2
      - 0
    .max_flat_workgroup_size: 64
    .name:           _ZN9rocsolver6v33100L18trti2_kernel_smallILi7EdPdEEv13rocblas_fill_17rocblas_diagonal_T1_iil
    .private_segment_fixed_size: 0
    .sgpr_count:     36
    .sgpr_spill_count: 0
    .symbol:         _ZN9rocsolver6v33100L18trti2_kernel_smallILi7EdPdEEv13rocblas_fill_17rocblas_diagonal_T1_iil.kd
    .uniform_work_group_size: 1
    .uses_dynamic_stack: false
    .vgpr_count:     70
    .vgpr_spill_count: 0
    .wavefront_size: 64
  - .agpr_count:     0
    .args:
      - .offset:         0
        .size:           4
        .value_kind:     by_value
      - .offset:         4
        .size:           4
        .value_kind:     by_value
      - .address_space:  global
        .offset:         8
        .size:           8
        .value_kind:     global_buffer
      - .offset:         16
        .size:           4
        .value_kind:     by_value
      - .offset:         20
        .size:           4
        .value_kind:     by_value
      - .offset:         24
        .size:           8
        .value_kind:     by_value
    .group_segment_fixed_size: 128
    .kernarg_segment_align: 8
    .kernarg_segment_size: 32
    .language:       OpenCL C
    .language_version:
      - 2
      - 0
    .max_flat_workgroup_size: 64
    .name:           _ZN9rocsolver6v33100L18trti2_kernel_smallILi8EdPdEEv13rocblas_fill_17rocblas_diagonal_T1_iil
    .private_segment_fixed_size: 0
    .sgpr_count:     36
    .sgpr_spill_count: 0
    .symbol:         _ZN9rocsolver6v33100L18trti2_kernel_smallILi8EdPdEEv13rocblas_fill_17rocblas_diagonal_T1_iil.kd
    .uniform_work_group_size: 1
    .uses_dynamic_stack: false
    .vgpr_count:     78
    .vgpr_spill_count: 0
    .wavefront_size: 64
  - .agpr_count:     0
    .args:
      - .offset:         0
        .size:           4
        .value_kind:     by_value
      - .offset:         4
        .size:           4
        .value_kind:     by_value
      - .address_space:  global
        .offset:         8
        .size:           8
        .value_kind:     global_buffer
      - .offset:         16
        .size:           4
        .value_kind:     by_value
      - .offset:         20
        .size:           4
        .value_kind:     by_value
      - .offset:         24
        .size:           8
        .value_kind:     by_value
    .group_segment_fixed_size: 152
    .kernarg_segment_align: 8
    .kernarg_segment_size: 32
    .language:       OpenCL C
    .language_version:
      - 2
      - 0
    .max_flat_workgroup_size: 64
    .name:           _ZN9rocsolver6v33100L18trti2_kernel_smallILi9EdPdEEv13rocblas_fill_17rocblas_diagonal_T1_iil
    .private_segment_fixed_size: 0
    .sgpr_count:     36
    .sgpr_spill_count: 0
    .symbol:         _ZN9rocsolver6v33100L18trti2_kernel_smallILi9EdPdEEv13rocblas_fill_17rocblas_diagonal_T1_iil.kd
    .uniform_work_group_size: 1
    .uses_dynamic_stack: false
    .vgpr_count:     114
    .vgpr_spill_count: 0
    .wavefront_size: 64
  - .agpr_count:     0
    .args:
      - .offset:         0
        .size:           4
        .value_kind:     by_value
      - .offset:         4
        .size:           4
        .value_kind:     by_value
      - .address_space:  global
        .offset:         8
        .size:           8
        .value_kind:     global_buffer
      - .offset:         16
        .size:           4
        .value_kind:     by_value
      - .offset:         20
        .size:           4
        .value_kind:     by_value
      - .offset:         24
        .size:           8
        .value_kind:     by_value
    .group_segment_fixed_size: 160
    .kernarg_segment_align: 8
    .kernarg_segment_size: 32
    .language:       OpenCL C
    .language_version:
      - 2
      - 0
    .max_flat_workgroup_size: 64
    .name:           _ZN9rocsolver6v33100L18trti2_kernel_smallILi10EdPdEEv13rocblas_fill_17rocblas_diagonal_T1_iil
    .private_segment_fixed_size: 0
    .sgpr_count:     42
    .sgpr_spill_count: 0
    .symbol:         _ZN9rocsolver6v33100L18trti2_kernel_smallILi10EdPdEEv13rocblas_fill_17rocblas_diagonal_T1_iil.kd
    .uniform_work_group_size: 1
    .uses_dynamic_stack: false
    .vgpr_count:     102
    .vgpr_spill_count: 0
    .wavefront_size: 64
  - .agpr_count:     0
    .args:
      - .offset:         0
        .size:           4
        .value_kind:     by_value
      - .offset:         4
        .size:           4
        .value_kind:     by_value
      - .address_space:  global
        .offset:         8
        .size:           8
        .value_kind:     global_buffer
      - .offset:         16
        .size:           4
        .value_kind:     by_value
      - .offset:         20
        .size:           4
        .value_kind:     by_value
      - .offset:         24
        .size:           8
        .value_kind:     by_value
    .group_segment_fixed_size: 184
    .kernarg_segment_align: 8
    .kernarg_segment_size: 32
    .language:       OpenCL C
    .language_version:
      - 2
      - 0
    .max_flat_workgroup_size: 64
    .name:           _ZN9rocsolver6v33100L18trti2_kernel_smallILi11EdPdEEv13rocblas_fill_17rocblas_diagonal_T1_iil
    .private_segment_fixed_size: 0
    .sgpr_count:     48
    .sgpr_spill_count: 0
    .symbol:         _ZN9rocsolver6v33100L18trti2_kernel_smallILi11EdPdEEv13rocblas_fill_17rocblas_diagonal_T1_iil.kd
    .uniform_work_group_size: 1
    .uses_dynamic_stack: false
    .vgpr_count:     106
    .vgpr_spill_count: 0
    .wavefront_size: 64
  - .agpr_count:     0
    .args:
      - .offset:         0
        .size:           4
        .value_kind:     by_value
      - .offset:         4
        .size:           4
        .value_kind:     by_value
      - .address_space:  global
        .offset:         8
        .size:           8
        .value_kind:     global_buffer
      - .offset:         16
        .size:           4
        .value_kind:     by_value
      - .offset:         20
        .size:           4
        .value_kind:     by_value
      - .offset:         24
        .size:           8
        .value_kind:     by_value
    .group_segment_fixed_size: 192
    .kernarg_segment_align: 8
    .kernarg_segment_size: 32
    .language:       OpenCL C
    .language_version:
      - 2
      - 0
    .max_flat_workgroup_size: 64
    .name:           _ZN9rocsolver6v33100L18trti2_kernel_smallILi12EdPdEEv13rocblas_fill_17rocblas_diagonal_T1_iil
    .private_segment_fixed_size: 0
    .sgpr_count:     48
    .sgpr_spill_count: 0
    .symbol:         _ZN9rocsolver6v33100L18trti2_kernel_smallILi12EdPdEEv13rocblas_fill_17rocblas_diagonal_T1_iil.kd
    .uniform_work_group_size: 1
    .uses_dynamic_stack: false
    .vgpr_count:     110
    .vgpr_spill_count: 0
    .wavefront_size: 64
  - .agpr_count:     0
    .args:
      - .offset:         0
        .size:           4
        .value_kind:     by_value
      - .offset:         4
        .size:           4
        .value_kind:     by_value
      - .address_space:  global
        .offset:         8
        .size:           8
        .value_kind:     global_buffer
      - .offset:         16
        .size:           4
        .value_kind:     by_value
      - .offset:         20
        .size:           4
        .value_kind:     by_value
      - .offset:         24
        .size:           8
        .value_kind:     by_value
    .group_segment_fixed_size: 216
    .kernarg_segment_align: 8
    .kernarg_segment_size: 32
    .language:       OpenCL C
    .language_version:
      - 2
      - 0
    .max_flat_workgroup_size: 64
    .name:           _ZN9rocsolver6v33100L18trti2_kernel_smallILi13EdPdEEv13rocblas_fill_17rocblas_diagonal_T1_iil
    .private_segment_fixed_size: 0
    .sgpr_count:     50
    .sgpr_spill_count: 0
    .symbol:         _ZN9rocsolver6v33100L18trti2_kernel_smallILi13EdPdEEv13rocblas_fill_17rocblas_diagonal_T1_iil.kd
    .uniform_work_group_size: 1
    .uses_dynamic_stack: false
    .vgpr_count:     120
    .vgpr_spill_count: 0
    .wavefront_size: 64
  - .agpr_count:     0
    .args:
      - .offset:         0
        .size:           4
        .value_kind:     by_value
      - .offset:         4
        .size:           4
        .value_kind:     by_value
      - .address_space:  global
        .offset:         8
        .size:           8
        .value_kind:     global_buffer
      - .offset:         16
        .size:           4
        .value_kind:     by_value
      - .offset:         20
        .size:           4
        .value_kind:     by_value
      - .offset:         24
        .size:           8
        .value_kind:     by_value
    .group_segment_fixed_size: 224
    .kernarg_segment_align: 8
    .kernarg_segment_size: 32
    .language:       OpenCL C
    .language_version:
      - 2
      - 0
    .max_flat_workgroup_size: 64
    .name:           _ZN9rocsolver6v33100L18trti2_kernel_smallILi14EdPdEEv13rocblas_fill_17rocblas_diagonal_T1_iil
    .private_segment_fixed_size: 0
    .sgpr_count:     52
    .sgpr_spill_count: 0
    .symbol:         _ZN9rocsolver6v33100L18trti2_kernel_smallILi14EdPdEEv13rocblas_fill_17rocblas_diagonal_T1_iil.kd
    .uniform_work_group_size: 1
    .uses_dynamic_stack: false
    .vgpr_count:     118
    .vgpr_spill_count: 0
    .wavefront_size: 64
  - .agpr_count:     0
    .args:
      - .offset:         0
        .size:           4
        .value_kind:     by_value
      - .offset:         4
        .size:           4
        .value_kind:     by_value
      - .address_space:  global
        .offset:         8
        .size:           8
        .value_kind:     global_buffer
      - .offset:         16
        .size:           4
        .value_kind:     by_value
      - .offset:         20
        .size:           4
        .value_kind:     by_value
      - .offset:         24
        .size:           8
        .value_kind:     by_value
    .group_segment_fixed_size: 248
    .kernarg_segment_align: 8
    .kernarg_segment_size: 32
    .language:       OpenCL C
    .language_version:
      - 2
      - 0
    .max_flat_workgroup_size: 64
    .name:           _ZN9rocsolver6v33100L18trti2_kernel_smallILi15EdPdEEv13rocblas_fill_17rocblas_diagonal_T1_iil
    .private_segment_fixed_size: 0
    .sgpr_count:     54
    .sgpr_spill_count: 0
    .symbol:         _ZN9rocsolver6v33100L18trti2_kernel_smallILi15EdPdEEv13rocblas_fill_17rocblas_diagonal_T1_iil.kd
    .uniform_work_group_size: 1
    .uses_dynamic_stack: false
    .vgpr_count:     122
    .vgpr_spill_count: 0
    .wavefront_size: 64
  - .agpr_count:     0
    .args:
      - .offset:         0
        .size:           4
        .value_kind:     by_value
      - .offset:         4
        .size:           4
        .value_kind:     by_value
      - .address_space:  global
        .offset:         8
        .size:           8
        .value_kind:     global_buffer
      - .offset:         16
        .size:           4
        .value_kind:     by_value
      - .offset:         20
        .size:           4
        .value_kind:     by_value
      - .offset:         24
        .size:           8
        .value_kind:     by_value
    .group_segment_fixed_size: 256
    .kernarg_segment_align: 8
    .kernarg_segment_size: 32
    .language:       OpenCL C
    .language_version:
      - 2
      - 0
    .max_flat_workgroup_size: 64
    .name:           _ZN9rocsolver6v33100L18trti2_kernel_smallILi16EdPdEEv13rocblas_fill_17rocblas_diagonal_T1_iil
    .private_segment_fixed_size: 0
    .sgpr_count:     56
    .sgpr_spill_count: 0
    .symbol:         _ZN9rocsolver6v33100L18trti2_kernel_smallILi16EdPdEEv13rocblas_fill_17rocblas_diagonal_T1_iil.kd
    .uniform_work_group_size: 1
    .uses_dynamic_stack: false
    .vgpr_count:     126
    .vgpr_spill_count: 0
    .wavefront_size: 64
  - .agpr_count:     0
    .args:
      - .offset:         0
        .size:           4
        .value_kind:     by_value
      - .offset:         4
        .size:           4
        .value_kind:     by_value
      - .address_space:  global
        .offset:         8
        .size:           8
        .value_kind:     global_buffer
      - .offset:         16
        .size:           4
        .value_kind:     by_value
      - .offset:         20
        .size:           4
        .value_kind:     by_value
      - .offset:         24
        .size:           8
        .value_kind:     by_value
    .group_segment_fixed_size: 280
    .kernarg_segment_align: 8
    .kernarg_segment_size: 32
    .language:       OpenCL C
    .language_version:
      - 2
      - 0
    .max_flat_workgroup_size: 64
    .name:           _ZN9rocsolver6v33100L18trti2_kernel_smallILi17EdPdEEv13rocblas_fill_17rocblas_diagonal_T1_iil
    .private_segment_fixed_size: 144
    .sgpr_count:     24
    .sgpr_spill_count: 0
    .symbol:         _ZN9rocsolver6v33100L18trti2_kernel_smallILi17EdPdEEv13rocblas_fill_17rocblas_diagonal_T1_iil.kd
    .uniform_work_group_size: 1
    .uses_dynamic_stack: false
    .vgpr_count:     48
    .vgpr_spill_count: 0
    .wavefront_size: 64
  - .agpr_count:     0
    .args:
      - .offset:         0
        .size:           4
        .value_kind:     by_value
      - .offset:         4
        .size:           4
        .value_kind:     by_value
      - .address_space:  global
        .offset:         8
        .size:           8
        .value_kind:     global_buffer
      - .offset:         16
        .size:           4
        .value_kind:     by_value
      - .offset:         20
        .size:           4
        .value_kind:     by_value
      - .offset:         24
        .size:           8
        .value_kind:     by_value
    .group_segment_fixed_size: 288
    .kernarg_segment_align: 8
    .kernarg_segment_size: 32
    .language:       OpenCL C
    .language_version:
      - 2
      - 0
    .max_flat_workgroup_size: 64
    .name:           _ZN9rocsolver6v33100L18trti2_kernel_smallILi18EdPdEEv13rocblas_fill_17rocblas_diagonal_T1_iil
    .private_segment_fixed_size: 160
    .sgpr_count:     25
    .sgpr_spill_count: 0
    .symbol:         _ZN9rocsolver6v33100L18trti2_kernel_smallILi18EdPdEEv13rocblas_fill_17rocblas_diagonal_T1_iil.kd
    .uniform_work_group_size: 1
    .uses_dynamic_stack: false
    .vgpr_count:     50
    .vgpr_spill_count: 0
    .wavefront_size: 64
  - .agpr_count:     0
    .args:
      - .offset:         0
        .size:           4
        .value_kind:     by_value
      - .offset:         4
        .size:           4
        .value_kind:     by_value
      - .address_space:  global
        .offset:         8
        .size:           8
        .value_kind:     global_buffer
      - .offset:         16
        .size:           4
        .value_kind:     by_value
      - .offset:         20
        .size:           4
        .value_kind:     by_value
      - .offset:         24
        .size:           8
        .value_kind:     by_value
    .group_segment_fixed_size: 312
    .kernarg_segment_align: 8
    .kernarg_segment_size: 32
    .language:       OpenCL C
    .language_version:
      - 2
      - 0
    .max_flat_workgroup_size: 64
    .name:           _ZN9rocsolver6v33100L18trti2_kernel_smallILi19EdPdEEv13rocblas_fill_17rocblas_diagonal_T1_iil
    .private_segment_fixed_size: 160
    .sgpr_count:     25
    .sgpr_spill_count: 0
    .symbol:         _ZN9rocsolver6v33100L18trti2_kernel_smallILi19EdPdEEv13rocblas_fill_17rocblas_diagonal_T1_iil.kd
    .uniform_work_group_size: 1
    .uses_dynamic_stack: false
    .vgpr_count:     52
    .vgpr_spill_count: 0
    .wavefront_size: 64
  - .agpr_count:     0
    .args:
      - .offset:         0
        .size:           4
        .value_kind:     by_value
      - .offset:         4
        .size:           4
        .value_kind:     by_value
      - .address_space:  global
        .offset:         8
        .size:           8
        .value_kind:     global_buffer
      - .offset:         16
        .size:           4
        .value_kind:     by_value
      - .offset:         20
        .size:           4
        .value_kind:     by_value
      - .offset:         24
        .size:           8
        .value_kind:     by_value
    .group_segment_fixed_size: 320
    .kernarg_segment_align: 8
    .kernarg_segment_size: 32
    .language:       OpenCL C
    .language_version:
      - 2
      - 0
    .max_flat_workgroup_size: 64
    .name:           _ZN9rocsolver6v33100L18trti2_kernel_smallILi20EdPdEEv13rocblas_fill_17rocblas_diagonal_T1_iil
    .private_segment_fixed_size: 176
    .sgpr_count:     26
    .sgpr_spill_count: 0
    .symbol:         _ZN9rocsolver6v33100L18trti2_kernel_smallILi20EdPdEEv13rocblas_fill_17rocblas_diagonal_T1_iil.kd
    .uniform_work_group_size: 1
    .uses_dynamic_stack: false
    .vgpr_count:     54
    .vgpr_spill_count: 0
    .wavefront_size: 64
  - .agpr_count:     0
    .args:
      - .offset:         0
        .size:           4
        .value_kind:     by_value
      - .offset:         4
        .size:           4
        .value_kind:     by_value
      - .address_space:  global
        .offset:         8
        .size:           8
        .value_kind:     global_buffer
      - .offset:         16
        .size:           4
        .value_kind:     by_value
      - .offset:         20
        .size:           4
        .value_kind:     by_value
      - .offset:         24
        .size:           8
        .value_kind:     by_value
    .group_segment_fixed_size: 344
    .kernarg_segment_align: 8
    .kernarg_segment_size: 32
    .language:       OpenCL C
    .language_version:
      - 2
      - 0
    .max_flat_workgroup_size: 64
    .name:           _ZN9rocsolver6v33100L18trti2_kernel_smallILi21EdPdEEv13rocblas_fill_17rocblas_diagonal_T1_iil
    .private_segment_fixed_size: 176
    .sgpr_count:     26
    .sgpr_spill_count: 0
    .symbol:         _ZN9rocsolver6v33100L18trti2_kernel_smallILi21EdPdEEv13rocblas_fill_17rocblas_diagonal_T1_iil.kd
    .uniform_work_group_size: 1
    .uses_dynamic_stack: false
    .vgpr_count:     56
    .vgpr_spill_count: 0
    .wavefront_size: 64
  - .agpr_count:     0
    .args:
      - .offset:         0
        .size:           4
        .value_kind:     by_value
      - .offset:         4
        .size:           4
        .value_kind:     by_value
      - .address_space:  global
        .offset:         8
        .size:           8
        .value_kind:     global_buffer
      - .offset:         16
        .size:           4
        .value_kind:     by_value
      - .offset:         20
        .size:           4
        .value_kind:     by_value
      - .offset:         24
        .size:           8
        .value_kind:     by_value
    .group_segment_fixed_size: 352
    .kernarg_segment_align: 8
    .kernarg_segment_size: 32
    .language:       OpenCL C
    .language_version:
      - 2
      - 0
    .max_flat_workgroup_size: 64
    .name:           _ZN9rocsolver6v33100L18trti2_kernel_smallILi22EdPdEEv13rocblas_fill_17rocblas_diagonal_T1_iil
    .private_segment_fixed_size: 192
    .sgpr_count:     27
    .sgpr_spill_count: 0
    .symbol:         _ZN9rocsolver6v33100L18trti2_kernel_smallILi22EdPdEEv13rocblas_fill_17rocblas_diagonal_T1_iil.kd
    .uniform_work_group_size: 1
    .uses_dynamic_stack: false
    .vgpr_count:     58
    .vgpr_spill_count: 0
    .wavefront_size: 64
  - .agpr_count:     0
    .args:
      - .offset:         0
        .size:           4
        .value_kind:     by_value
      - .offset:         4
        .size:           4
        .value_kind:     by_value
      - .address_space:  global
        .offset:         8
        .size:           8
        .value_kind:     global_buffer
      - .offset:         16
        .size:           4
        .value_kind:     by_value
      - .offset:         20
        .size:           4
        .value_kind:     by_value
      - .offset:         24
        .size:           8
        .value_kind:     by_value
    .group_segment_fixed_size: 376
    .kernarg_segment_align: 8
    .kernarg_segment_size: 32
    .language:       OpenCL C
    .language_version:
      - 2
      - 0
    .max_flat_workgroup_size: 64
    .name:           _ZN9rocsolver6v33100L18trti2_kernel_smallILi23EdPdEEv13rocblas_fill_17rocblas_diagonal_T1_iil
    .private_segment_fixed_size: 192
    .sgpr_count:     27
    .sgpr_spill_count: 0
    .symbol:         _ZN9rocsolver6v33100L18trti2_kernel_smallILi23EdPdEEv13rocblas_fill_17rocblas_diagonal_T1_iil.kd
    .uniform_work_group_size: 1
    .uses_dynamic_stack: false
    .vgpr_count:     60
    .vgpr_spill_count: 0
    .wavefront_size: 64
  - .agpr_count:     0
    .args:
      - .offset:         0
        .size:           4
        .value_kind:     by_value
      - .offset:         4
        .size:           4
        .value_kind:     by_value
      - .address_space:  global
        .offset:         8
        .size:           8
        .value_kind:     global_buffer
      - .offset:         16
        .size:           4
        .value_kind:     by_value
      - .offset:         20
        .size:           4
        .value_kind:     by_value
      - .offset:         24
        .size:           8
        .value_kind:     by_value
    .group_segment_fixed_size: 384
    .kernarg_segment_align: 8
    .kernarg_segment_size: 32
    .language:       OpenCL C
    .language_version:
      - 2
      - 0
    .max_flat_workgroup_size: 64
    .name:           _ZN9rocsolver6v33100L18trti2_kernel_smallILi24EdPdEEv13rocblas_fill_17rocblas_diagonal_T1_iil
    .private_segment_fixed_size: 208
    .sgpr_count:     28
    .sgpr_spill_count: 0
    .symbol:         _ZN9rocsolver6v33100L18trti2_kernel_smallILi24EdPdEEv13rocblas_fill_17rocblas_diagonal_T1_iil.kd
    .uniform_work_group_size: 1
    .uses_dynamic_stack: false
    .vgpr_count:     62
    .vgpr_spill_count: 0
    .wavefront_size: 64
  - .agpr_count:     0
    .args:
      - .offset:         0
        .size:           4
        .value_kind:     by_value
      - .offset:         4
        .size:           4
        .value_kind:     by_value
      - .address_space:  global
        .offset:         8
        .size:           8
        .value_kind:     global_buffer
      - .offset:         16
        .size:           4
        .value_kind:     by_value
      - .offset:         20
        .size:           4
        .value_kind:     by_value
      - .offset:         24
        .size:           8
        .value_kind:     by_value
    .group_segment_fixed_size: 408
    .kernarg_segment_align: 8
    .kernarg_segment_size: 32
    .language:       OpenCL C
    .language_version:
      - 2
      - 0
    .max_flat_workgroup_size: 64
    .name:           _ZN9rocsolver6v33100L18trti2_kernel_smallILi25EdPdEEv13rocblas_fill_17rocblas_diagonal_T1_iil
    .private_segment_fixed_size: 208
    .sgpr_count:     28
    .sgpr_spill_count: 0
    .symbol:         _ZN9rocsolver6v33100L18trti2_kernel_smallILi25EdPdEEv13rocblas_fill_17rocblas_diagonal_T1_iil.kd
    .uniform_work_group_size: 1
    .uses_dynamic_stack: false
    .vgpr_count:     64
    .vgpr_spill_count: 0
    .wavefront_size: 64
  - .agpr_count:     0
    .args:
      - .offset:         0
        .size:           4
        .value_kind:     by_value
      - .offset:         4
        .size:           4
        .value_kind:     by_value
      - .address_space:  global
        .offset:         8
        .size:           8
        .value_kind:     global_buffer
      - .offset:         16
        .size:           4
        .value_kind:     by_value
      - .offset:         20
        .size:           4
        .value_kind:     by_value
      - .offset:         24
        .size:           8
        .value_kind:     by_value
    .group_segment_fixed_size: 416
    .kernarg_segment_align: 8
    .kernarg_segment_size: 32
    .language:       OpenCL C
    .language_version:
      - 2
      - 0
    .max_flat_workgroup_size: 64
    .name:           _ZN9rocsolver6v33100L18trti2_kernel_smallILi26EdPdEEv13rocblas_fill_17rocblas_diagonal_T1_iil
    .private_segment_fixed_size: 224
    .sgpr_count:     29
    .sgpr_spill_count: 0
    .symbol:         _ZN9rocsolver6v33100L18trti2_kernel_smallILi26EdPdEEv13rocblas_fill_17rocblas_diagonal_T1_iil.kd
    .uniform_work_group_size: 1
    .uses_dynamic_stack: false
    .vgpr_count:     66
    .vgpr_spill_count: 0
    .wavefront_size: 64
  - .agpr_count:     0
    .args:
      - .offset:         0
        .size:           4
        .value_kind:     by_value
      - .offset:         4
        .size:           4
        .value_kind:     by_value
      - .address_space:  global
        .offset:         8
        .size:           8
        .value_kind:     global_buffer
      - .offset:         16
        .size:           4
        .value_kind:     by_value
      - .offset:         20
        .size:           4
        .value_kind:     by_value
      - .offset:         24
        .size:           8
        .value_kind:     by_value
    .group_segment_fixed_size: 440
    .kernarg_segment_align: 8
    .kernarg_segment_size: 32
    .language:       OpenCL C
    .language_version:
      - 2
      - 0
    .max_flat_workgroup_size: 64
    .name:           _ZN9rocsolver6v33100L18trti2_kernel_smallILi27EdPdEEv13rocblas_fill_17rocblas_diagonal_T1_iil
    .private_segment_fixed_size: 224
    .sgpr_count:     29
    .sgpr_spill_count: 0
    .symbol:         _ZN9rocsolver6v33100L18trti2_kernel_smallILi27EdPdEEv13rocblas_fill_17rocblas_diagonal_T1_iil.kd
    .uniform_work_group_size: 1
    .uses_dynamic_stack: false
    .vgpr_count:     68
    .vgpr_spill_count: 0
    .wavefront_size: 64
  - .agpr_count:     0
    .args:
      - .offset:         0
        .size:           4
        .value_kind:     by_value
      - .offset:         4
        .size:           4
        .value_kind:     by_value
      - .address_space:  global
        .offset:         8
        .size:           8
        .value_kind:     global_buffer
      - .offset:         16
        .size:           4
        .value_kind:     by_value
      - .offset:         20
        .size:           4
        .value_kind:     by_value
      - .offset:         24
        .size:           8
        .value_kind:     by_value
    .group_segment_fixed_size: 448
    .kernarg_segment_align: 8
    .kernarg_segment_size: 32
    .language:       OpenCL C
    .language_version:
      - 2
      - 0
    .max_flat_workgroup_size: 64
    .name:           _ZN9rocsolver6v33100L18trti2_kernel_smallILi28EdPdEEv13rocblas_fill_17rocblas_diagonal_T1_iil
    .private_segment_fixed_size: 240
    .sgpr_count:     30
    .sgpr_spill_count: 0
    .symbol:         _ZN9rocsolver6v33100L18trti2_kernel_smallILi28EdPdEEv13rocblas_fill_17rocblas_diagonal_T1_iil.kd
    .uniform_work_group_size: 1
    .uses_dynamic_stack: false
    .vgpr_count:     70
    .vgpr_spill_count: 0
    .wavefront_size: 64
  - .agpr_count:     0
    .args:
      - .offset:         0
        .size:           4
        .value_kind:     by_value
      - .offset:         4
        .size:           4
        .value_kind:     by_value
      - .address_space:  global
        .offset:         8
        .size:           8
        .value_kind:     global_buffer
      - .offset:         16
        .size:           4
        .value_kind:     by_value
      - .offset:         20
        .size:           4
        .value_kind:     by_value
      - .offset:         24
        .size:           8
        .value_kind:     by_value
    .group_segment_fixed_size: 472
    .kernarg_segment_align: 8
    .kernarg_segment_size: 32
    .language:       OpenCL C
    .language_version:
      - 2
      - 0
    .max_flat_workgroup_size: 64
    .name:           _ZN9rocsolver6v33100L18trti2_kernel_smallILi29EdPdEEv13rocblas_fill_17rocblas_diagonal_T1_iil
    .private_segment_fixed_size: 240
    .sgpr_count:     30
    .sgpr_spill_count: 0
    .symbol:         _ZN9rocsolver6v33100L18trti2_kernel_smallILi29EdPdEEv13rocblas_fill_17rocblas_diagonal_T1_iil.kd
    .uniform_work_group_size: 1
    .uses_dynamic_stack: false
    .vgpr_count:     72
    .vgpr_spill_count: 0
    .wavefront_size: 64
  - .agpr_count:     0
    .args:
      - .offset:         0
        .size:           4
        .value_kind:     by_value
      - .offset:         4
        .size:           4
        .value_kind:     by_value
      - .address_space:  global
        .offset:         8
        .size:           8
        .value_kind:     global_buffer
      - .offset:         16
        .size:           4
        .value_kind:     by_value
      - .offset:         20
        .size:           4
        .value_kind:     by_value
      - .offset:         24
        .size:           8
        .value_kind:     by_value
    .group_segment_fixed_size: 480
    .kernarg_segment_align: 8
    .kernarg_segment_size: 32
    .language:       OpenCL C
    .language_version:
      - 2
      - 0
    .max_flat_workgroup_size: 64
    .name:           _ZN9rocsolver6v33100L18trti2_kernel_smallILi30EdPdEEv13rocblas_fill_17rocblas_diagonal_T1_iil
    .private_segment_fixed_size: 256
    .sgpr_count:     31
    .sgpr_spill_count: 0
    .symbol:         _ZN9rocsolver6v33100L18trti2_kernel_smallILi30EdPdEEv13rocblas_fill_17rocblas_diagonal_T1_iil.kd
    .uniform_work_group_size: 1
    .uses_dynamic_stack: false
    .vgpr_count:     74
    .vgpr_spill_count: 0
    .wavefront_size: 64
  - .agpr_count:     0
    .args:
      - .offset:         0
        .size:           4
        .value_kind:     by_value
      - .offset:         4
        .size:           4
        .value_kind:     by_value
      - .address_space:  global
        .offset:         8
        .size:           8
        .value_kind:     global_buffer
      - .offset:         16
        .size:           4
        .value_kind:     by_value
      - .offset:         20
        .size:           4
        .value_kind:     by_value
      - .offset:         24
        .size:           8
        .value_kind:     by_value
    .group_segment_fixed_size: 504
    .kernarg_segment_align: 8
    .kernarg_segment_size: 32
    .language:       OpenCL C
    .language_version:
      - 2
      - 0
    .max_flat_workgroup_size: 64
    .name:           _ZN9rocsolver6v33100L18trti2_kernel_smallILi31EdPdEEv13rocblas_fill_17rocblas_diagonal_T1_iil
    .private_segment_fixed_size: 256
    .sgpr_count:     31
    .sgpr_spill_count: 0
    .symbol:         _ZN9rocsolver6v33100L18trti2_kernel_smallILi31EdPdEEv13rocblas_fill_17rocblas_diagonal_T1_iil.kd
    .uniform_work_group_size: 1
    .uses_dynamic_stack: false
    .vgpr_count:     76
    .vgpr_spill_count: 0
    .wavefront_size: 64
  - .agpr_count:     0
    .args:
      - .offset:         0
        .size:           4
        .value_kind:     by_value
      - .offset:         4
        .size:           4
        .value_kind:     by_value
      - .address_space:  global
        .offset:         8
        .size:           8
        .value_kind:     global_buffer
      - .offset:         16
        .size:           4
        .value_kind:     by_value
      - .offset:         20
        .size:           4
        .value_kind:     by_value
      - .offset:         24
        .size:           8
        .value_kind:     by_value
    .group_segment_fixed_size: 512
    .kernarg_segment_align: 8
    .kernarg_segment_size: 32
    .language:       OpenCL C
    .language_version:
      - 2
      - 0
    .max_flat_workgroup_size: 64
    .name:           _ZN9rocsolver6v33100L18trti2_kernel_smallILi32EdPdEEv13rocblas_fill_17rocblas_diagonal_T1_iil
    .private_segment_fixed_size: 272
    .sgpr_count:     32
    .sgpr_spill_count: 0
    .symbol:         _ZN9rocsolver6v33100L18trti2_kernel_smallILi32EdPdEEv13rocblas_fill_17rocblas_diagonal_T1_iil.kd
    .uniform_work_group_size: 1
    .uses_dynamic_stack: false
    .vgpr_count:     78
    .vgpr_spill_count: 0
    .wavefront_size: 64
  - .agpr_count:     0
    .args:
      - .offset:         0
        .size:           4
        .value_kind:     by_value
      - .offset:         4
        .size:           4
        .value_kind:     by_value
      - .address_space:  global
        .offset:         8
        .size:           8
        .value_kind:     global_buffer
      - .offset:         16
        .size:           4
        .value_kind:     by_value
      - .offset:         20
        .size:           4
        .value_kind:     by_value
      - .offset:         24
        .size:           8
        .value_kind:     by_value
    .group_segment_fixed_size: 536
    .kernarg_segment_align: 8
    .kernarg_segment_size: 32
    .language:       OpenCL C
    .language_version:
      - 2
      - 0
    .max_flat_workgroup_size: 64
    .name:           _ZN9rocsolver6v33100L18trti2_kernel_smallILi33EdPdEEv13rocblas_fill_17rocblas_diagonal_T1_iil
    .private_segment_fixed_size: 272
    .sgpr_count:     32
    .sgpr_spill_count: 0
    .symbol:         _ZN9rocsolver6v33100L18trti2_kernel_smallILi33EdPdEEv13rocblas_fill_17rocblas_diagonal_T1_iil.kd
    .uniform_work_group_size: 1
    .uses_dynamic_stack: false
    .vgpr_count:     80
    .vgpr_spill_count: 0
    .wavefront_size: 64
  - .agpr_count:     0
    .args:
      - .offset:         0
        .size:           4
        .value_kind:     by_value
      - .offset:         4
        .size:           4
        .value_kind:     by_value
      - .address_space:  global
        .offset:         8
        .size:           8
        .value_kind:     global_buffer
      - .offset:         16
        .size:           4
        .value_kind:     by_value
      - .offset:         20
        .size:           4
        .value_kind:     by_value
      - .offset:         24
        .size:           8
        .value_kind:     by_value
    .group_segment_fixed_size: 544
    .kernarg_segment_align: 8
    .kernarg_segment_size: 32
    .language:       OpenCL C
    .language_version:
      - 2
      - 0
    .max_flat_workgroup_size: 64
    .name:           _ZN9rocsolver6v33100L18trti2_kernel_smallILi34EdPdEEv13rocblas_fill_17rocblas_diagonal_T1_iil
    .private_segment_fixed_size: 288
    .sgpr_count:     33
    .sgpr_spill_count: 0
    .symbol:         _ZN9rocsolver6v33100L18trti2_kernel_smallILi34EdPdEEv13rocblas_fill_17rocblas_diagonal_T1_iil.kd
    .uniform_work_group_size: 1
    .uses_dynamic_stack: false
    .vgpr_count:     82
    .vgpr_spill_count: 0
    .wavefront_size: 64
  - .agpr_count:     0
    .args:
      - .offset:         0
        .size:           4
        .value_kind:     by_value
      - .offset:         4
        .size:           4
        .value_kind:     by_value
      - .address_space:  global
        .offset:         8
        .size:           8
        .value_kind:     global_buffer
      - .offset:         16
        .size:           4
        .value_kind:     by_value
      - .offset:         20
        .size:           4
        .value_kind:     by_value
      - .offset:         24
        .size:           8
        .value_kind:     by_value
    .group_segment_fixed_size: 568
    .kernarg_segment_align: 8
    .kernarg_segment_size: 32
    .language:       OpenCL C
    .language_version:
      - 2
      - 0
    .max_flat_workgroup_size: 64
    .name:           _ZN9rocsolver6v33100L18trti2_kernel_smallILi35EdPdEEv13rocblas_fill_17rocblas_diagonal_T1_iil
    .private_segment_fixed_size: 288
    .sgpr_count:     33
    .sgpr_spill_count: 0
    .symbol:         _ZN9rocsolver6v33100L18trti2_kernel_smallILi35EdPdEEv13rocblas_fill_17rocblas_diagonal_T1_iil.kd
    .uniform_work_group_size: 1
    .uses_dynamic_stack: false
    .vgpr_count:     84
    .vgpr_spill_count: 0
    .wavefront_size: 64
  - .agpr_count:     0
    .args:
      - .offset:         0
        .size:           4
        .value_kind:     by_value
      - .offset:         4
        .size:           4
        .value_kind:     by_value
      - .address_space:  global
        .offset:         8
        .size:           8
        .value_kind:     global_buffer
      - .offset:         16
        .size:           4
        .value_kind:     by_value
      - .offset:         20
        .size:           4
        .value_kind:     by_value
      - .offset:         24
        .size:           8
        .value_kind:     by_value
    .group_segment_fixed_size: 576
    .kernarg_segment_align: 8
    .kernarg_segment_size: 32
    .language:       OpenCL C
    .language_version:
      - 2
      - 0
    .max_flat_workgroup_size: 64
    .name:           _ZN9rocsolver6v33100L18trti2_kernel_smallILi36EdPdEEv13rocblas_fill_17rocblas_diagonal_T1_iil
    .private_segment_fixed_size: 304
    .sgpr_count:     34
    .sgpr_spill_count: 0
    .symbol:         _ZN9rocsolver6v33100L18trti2_kernel_smallILi36EdPdEEv13rocblas_fill_17rocblas_diagonal_T1_iil.kd
    .uniform_work_group_size: 1
    .uses_dynamic_stack: false
    .vgpr_count:     86
    .vgpr_spill_count: 0
    .wavefront_size: 64
  - .agpr_count:     0
    .args:
      - .offset:         0
        .size:           4
        .value_kind:     by_value
      - .offset:         4
        .size:           4
        .value_kind:     by_value
      - .address_space:  global
        .offset:         8
        .size:           8
        .value_kind:     global_buffer
      - .offset:         16
        .size:           4
        .value_kind:     by_value
      - .offset:         20
        .size:           4
        .value_kind:     by_value
      - .offset:         24
        .size:           8
        .value_kind:     by_value
    .group_segment_fixed_size: 600
    .kernarg_segment_align: 8
    .kernarg_segment_size: 32
    .language:       OpenCL C
    .language_version:
      - 2
      - 0
    .max_flat_workgroup_size: 64
    .name:           _ZN9rocsolver6v33100L18trti2_kernel_smallILi37EdPdEEv13rocblas_fill_17rocblas_diagonal_T1_iil
    .private_segment_fixed_size: 304
    .sgpr_count:     34
    .sgpr_spill_count: 0
    .symbol:         _ZN9rocsolver6v33100L18trti2_kernel_smallILi37EdPdEEv13rocblas_fill_17rocblas_diagonal_T1_iil.kd
    .uniform_work_group_size: 1
    .uses_dynamic_stack: false
    .vgpr_count:     88
    .vgpr_spill_count: 0
    .wavefront_size: 64
  - .agpr_count:     0
    .args:
      - .offset:         0
        .size:           4
        .value_kind:     by_value
      - .offset:         4
        .size:           4
        .value_kind:     by_value
      - .address_space:  global
        .offset:         8
        .size:           8
        .value_kind:     global_buffer
      - .offset:         16
        .size:           4
        .value_kind:     by_value
      - .offset:         20
        .size:           4
        .value_kind:     by_value
      - .offset:         24
        .size:           8
        .value_kind:     by_value
    .group_segment_fixed_size: 608
    .kernarg_segment_align: 8
    .kernarg_segment_size: 32
    .language:       OpenCL C
    .language_version:
      - 2
      - 0
    .max_flat_workgroup_size: 64
    .name:           _ZN9rocsolver6v33100L18trti2_kernel_smallILi38EdPdEEv13rocblas_fill_17rocblas_diagonal_T1_iil
    .private_segment_fixed_size: 320
    .sgpr_count:     35
    .sgpr_spill_count: 0
    .symbol:         _ZN9rocsolver6v33100L18trti2_kernel_smallILi38EdPdEEv13rocblas_fill_17rocblas_diagonal_T1_iil.kd
    .uniform_work_group_size: 1
    .uses_dynamic_stack: false
    .vgpr_count:     90
    .vgpr_spill_count: 0
    .wavefront_size: 64
  - .agpr_count:     0
    .args:
      - .offset:         0
        .size:           4
        .value_kind:     by_value
      - .offset:         4
        .size:           4
        .value_kind:     by_value
      - .address_space:  global
        .offset:         8
        .size:           8
        .value_kind:     global_buffer
      - .offset:         16
        .size:           4
        .value_kind:     by_value
      - .offset:         20
        .size:           4
        .value_kind:     by_value
      - .offset:         24
        .size:           8
        .value_kind:     by_value
    .group_segment_fixed_size: 632
    .kernarg_segment_align: 8
    .kernarg_segment_size: 32
    .language:       OpenCL C
    .language_version:
      - 2
      - 0
    .max_flat_workgroup_size: 64
    .name:           _ZN9rocsolver6v33100L18trti2_kernel_smallILi39EdPdEEv13rocblas_fill_17rocblas_diagonal_T1_iil
    .private_segment_fixed_size: 320
    .sgpr_count:     35
    .sgpr_spill_count: 0
    .symbol:         _ZN9rocsolver6v33100L18trti2_kernel_smallILi39EdPdEEv13rocblas_fill_17rocblas_diagonal_T1_iil.kd
    .uniform_work_group_size: 1
    .uses_dynamic_stack: false
    .vgpr_count:     92
    .vgpr_spill_count: 0
    .wavefront_size: 64
  - .agpr_count:     0
    .args:
      - .offset:         0
        .size:           4
        .value_kind:     by_value
      - .offset:         4
        .size:           4
        .value_kind:     by_value
      - .address_space:  global
        .offset:         8
        .size:           8
        .value_kind:     global_buffer
      - .offset:         16
        .size:           4
        .value_kind:     by_value
      - .offset:         20
        .size:           4
        .value_kind:     by_value
      - .offset:         24
        .size:           8
        .value_kind:     by_value
    .group_segment_fixed_size: 640
    .kernarg_segment_align: 8
    .kernarg_segment_size: 32
    .language:       OpenCL C
    .language_version:
      - 2
      - 0
    .max_flat_workgroup_size: 64
    .name:           _ZN9rocsolver6v33100L18trti2_kernel_smallILi40EdPdEEv13rocblas_fill_17rocblas_diagonal_T1_iil
    .private_segment_fixed_size: 336
    .sgpr_count:     36
    .sgpr_spill_count: 0
    .symbol:         _ZN9rocsolver6v33100L18trti2_kernel_smallILi40EdPdEEv13rocblas_fill_17rocblas_diagonal_T1_iil.kd
    .uniform_work_group_size: 1
    .uses_dynamic_stack: false
    .vgpr_count:     94
    .vgpr_spill_count: 0
    .wavefront_size: 64
  - .agpr_count:     0
    .args:
      - .offset:         0
        .size:           4
        .value_kind:     by_value
      - .offset:         4
        .size:           4
        .value_kind:     by_value
      - .address_space:  global
        .offset:         8
        .size:           8
        .value_kind:     global_buffer
      - .offset:         16
        .size:           4
        .value_kind:     by_value
      - .offset:         20
        .size:           4
        .value_kind:     by_value
      - .offset:         24
        .size:           8
        .value_kind:     by_value
    .group_segment_fixed_size: 664
    .kernarg_segment_align: 8
    .kernarg_segment_size: 32
    .language:       OpenCL C
    .language_version:
      - 2
      - 0
    .max_flat_workgroup_size: 64
    .name:           _ZN9rocsolver6v33100L18trti2_kernel_smallILi41EdPdEEv13rocblas_fill_17rocblas_diagonal_T1_iil
    .private_segment_fixed_size: 336
    .sgpr_count:     36
    .sgpr_spill_count: 0
    .symbol:         _ZN9rocsolver6v33100L18trti2_kernel_smallILi41EdPdEEv13rocblas_fill_17rocblas_diagonal_T1_iil.kd
    .uniform_work_group_size: 1
    .uses_dynamic_stack: false
    .vgpr_count:     96
    .vgpr_spill_count: 0
    .wavefront_size: 64
  - .agpr_count:     0
    .args:
      - .offset:         0
        .size:           4
        .value_kind:     by_value
      - .offset:         4
        .size:           4
        .value_kind:     by_value
      - .address_space:  global
        .offset:         8
        .size:           8
        .value_kind:     global_buffer
      - .offset:         16
        .size:           4
        .value_kind:     by_value
      - .offset:         20
        .size:           4
        .value_kind:     by_value
      - .offset:         24
        .size:           8
        .value_kind:     by_value
    .group_segment_fixed_size: 672
    .kernarg_segment_align: 8
    .kernarg_segment_size: 32
    .language:       OpenCL C
    .language_version:
      - 2
      - 0
    .max_flat_workgroup_size: 64
    .name:           _ZN9rocsolver6v33100L18trti2_kernel_smallILi42EdPdEEv13rocblas_fill_17rocblas_diagonal_T1_iil
    .private_segment_fixed_size: 352
    .sgpr_count:     37
    .sgpr_spill_count: 0
    .symbol:         _ZN9rocsolver6v33100L18trti2_kernel_smallILi42EdPdEEv13rocblas_fill_17rocblas_diagonal_T1_iil.kd
    .uniform_work_group_size: 1
    .uses_dynamic_stack: false
    .vgpr_count:     98
    .vgpr_spill_count: 0
    .wavefront_size: 64
  - .agpr_count:     0
    .args:
      - .offset:         0
        .size:           4
        .value_kind:     by_value
      - .offset:         4
        .size:           4
        .value_kind:     by_value
      - .address_space:  global
        .offset:         8
        .size:           8
        .value_kind:     global_buffer
      - .offset:         16
        .size:           4
        .value_kind:     by_value
      - .offset:         20
        .size:           4
        .value_kind:     by_value
      - .offset:         24
        .size:           8
        .value_kind:     by_value
    .group_segment_fixed_size: 696
    .kernarg_segment_align: 8
    .kernarg_segment_size: 32
    .language:       OpenCL C
    .language_version:
      - 2
      - 0
    .max_flat_workgroup_size: 64
    .name:           _ZN9rocsolver6v33100L18trti2_kernel_smallILi43EdPdEEv13rocblas_fill_17rocblas_diagonal_T1_iil
    .private_segment_fixed_size: 352
    .sgpr_count:     37
    .sgpr_spill_count: 0
    .symbol:         _ZN9rocsolver6v33100L18trti2_kernel_smallILi43EdPdEEv13rocblas_fill_17rocblas_diagonal_T1_iil.kd
    .uniform_work_group_size: 1
    .uses_dynamic_stack: false
    .vgpr_count:     100
    .vgpr_spill_count: 0
    .wavefront_size: 64
  - .agpr_count:     0
    .args:
      - .offset:         0
        .size:           4
        .value_kind:     by_value
      - .offset:         4
        .size:           4
        .value_kind:     by_value
      - .address_space:  global
        .offset:         8
        .size:           8
        .value_kind:     global_buffer
      - .offset:         16
        .size:           4
        .value_kind:     by_value
      - .offset:         20
        .size:           4
        .value_kind:     by_value
      - .offset:         24
        .size:           8
        .value_kind:     by_value
    .group_segment_fixed_size: 704
    .kernarg_segment_align: 8
    .kernarg_segment_size: 32
    .language:       OpenCL C
    .language_version:
      - 2
      - 0
    .max_flat_workgroup_size: 64
    .name:           _ZN9rocsolver6v33100L18trti2_kernel_smallILi44EdPdEEv13rocblas_fill_17rocblas_diagonal_T1_iil
    .private_segment_fixed_size: 368
    .sgpr_count:     38
    .sgpr_spill_count: 0
    .symbol:         _ZN9rocsolver6v33100L18trti2_kernel_smallILi44EdPdEEv13rocblas_fill_17rocblas_diagonal_T1_iil.kd
    .uniform_work_group_size: 1
    .uses_dynamic_stack: false
    .vgpr_count:     102
    .vgpr_spill_count: 0
    .wavefront_size: 64
  - .agpr_count:     0
    .args:
      - .offset:         0
        .size:           4
        .value_kind:     by_value
      - .offset:         4
        .size:           4
        .value_kind:     by_value
      - .address_space:  global
        .offset:         8
        .size:           8
        .value_kind:     global_buffer
      - .offset:         16
        .size:           4
        .value_kind:     by_value
      - .offset:         20
        .size:           4
        .value_kind:     by_value
      - .offset:         24
        .size:           8
        .value_kind:     by_value
    .group_segment_fixed_size: 728
    .kernarg_segment_align: 8
    .kernarg_segment_size: 32
    .language:       OpenCL C
    .language_version:
      - 2
      - 0
    .max_flat_workgroup_size: 64
    .name:           _ZN9rocsolver6v33100L18trti2_kernel_smallILi45EdPdEEv13rocblas_fill_17rocblas_diagonal_T1_iil
    .private_segment_fixed_size: 368
    .sgpr_count:     38
    .sgpr_spill_count: 0
    .symbol:         _ZN9rocsolver6v33100L18trti2_kernel_smallILi45EdPdEEv13rocblas_fill_17rocblas_diagonal_T1_iil.kd
    .uniform_work_group_size: 1
    .uses_dynamic_stack: false
    .vgpr_count:     104
    .vgpr_spill_count: 0
    .wavefront_size: 64
  - .agpr_count:     0
    .args:
      - .offset:         0
        .size:           4
        .value_kind:     by_value
      - .offset:         4
        .size:           4
        .value_kind:     by_value
      - .address_space:  global
        .offset:         8
        .size:           8
        .value_kind:     global_buffer
      - .offset:         16
        .size:           4
        .value_kind:     by_value
      - .offset:         20
        .size:           4
        .value_kind:     by_value
      - .offset:         24
        .size:           8
        .value_kind:     by_value
    .group_segment_fixed_size: 736
    .kernarg_segment_align: 8
    .kernarg_segment_size: 32
    .language:       OpenCL C
    .language_version:
      - 2
      - 0
    .max_flat_workgroup_size: 64
    .name:           _ZN9rocsolver6v33100L18trti2_kernel_smallILi46EdPdEEv13rocblas_fill_17rocblas_diagonal_T1_iil
    .private_segment_fixed_size: 384
    .sgpr_count:     40
    .sgpr_spill_count: 0
    .symbol:         _ZN9rocsolver6v33100L18trti2_kernel_smallILi46EdPdEEv13rocblas_fill_17rocblas_diagonal_T1_iil.kd
    .uniform_work_group_size: 1
    .uses_dynamic_stack: false
    .vgpr_count:     106
    .vgpr_spill_count: 0
    .wavefront_size: 64
  - .agpr_count:     0
    .args:
      - .offset:         0
        .size:           4
        .value_kind:     by_value
      - .offset:         4
        .size:           4
        .value_kind:     by_value
      - .address_space:  global
        .offset:         8
        .size:           8
        .value_kind:     global_buffer
      - .offset:         16
        .size:           4
        .value_kind:     by_value
      - .offset:         20
        .size:           4
        .value_kind:     by_value
      - .offset:         24
        .size:           8
        .value_kind:     by_value
    .group_segment_fixed_size: 760
    .kernarg_segment_align: 8
    .kernarg_segment_size: 32
    .language:       OpenCL C
    .language_version:
      - 2
      - 0
    .max_flat_workgroup_size: 64
    .name:           _ZN9rocsolver6v33100L18trti2_kernel_smallILi47EdPdEEv13rocblas_fill_17rocblas_diagonal_T1_iil
    .private_segment_fixed_size: 384
    .sgpr_count:     40
    .sgpr_spill_count: 0
    .symbol:         _ZN9rocsolver6v33100L18trti2_kernel_smallILi47EdPdEEv13rocblas_fill_17rocblas_diagonal_T1_iil.kd
    .uniform_work_group_size: 1
    .uses_dynamic_stack: false
    .vgpr_count:     108
    .vgpr_spill_count: 0
    .wavefront_size: 64
  - .agpr_count:     0
    .args:
      - .offset:         0
        .size:           4
        .value_kind:     by_value
      - .offset:         4
        .size:           4
        .value_kind:     by_value
      - .address_space:  global
        .offset:         8
        .size:           8
        .value_kind:     global_buffer
      - .offset:         16
        .size:           4
        .value_kind:     by_value
      - .offset:         20
        .size:           4
        .value_kind:     by_value
      - .offset:         24
        .size:           8
        .value_kind:     by_value
    .group_segment_fixed_size: 768
    .kernarg_segment_align: 8
    .kernarg_segment_size: 32
    .language:       OpenCL C
    .language_version:
      - 2
      - 0
    .max_flat_workgroup_size: 64
    .name:           _ZN9rocsolver6v33100L18trti2_kernel_smallILi48EdPdEEv13rocblas_fill_17rocblas_diagonal_T1_iil
    .private_segment_fixed_size: 400
    .sgpr_count:     41
    .sgpr_spill_count: 0
    .symbol:         _ZN9rocsolver6v33100L18trti2_kernel_smallILi48EdPdEEv13rocblas_fill_17rocblas_diagonal_T1_iil.kd
    .uniform_work_group_size: 1
    .uses_dynamic_stack: false
    .vgpr_count:     110
    .vgpr_spill_count: 0
    .wavefront_size: 64
  - .agpr_count:     0
    .args:
      - .offset:         0
        .size:           4
        .value_kind:     by_value
      - .offset:         4
        .size:           4
        .value_kind:     by_value
      - .address_space:  global
        .offset:         8
        .size:           8
        .value_kind:     global_buffer
      - .offset:         16
        .size:           4
        .value_kind:     by_value
      - .offset:         20
        .size:           4
        .value_kind:     by_value
      - .offset:         24
        .size:           8
        .value_kind:     by_value
    .group_segment_fixed_size: 792
    .kernarg_segment_align: 8
    .kernarg_segment_size: 32
    .language:       OpenCL C
    .language_version:
      - 2
      - 0
    .max_flat_workgroup_size: 64
    .name:           _ZN9rocsolver6v33100L18trti2_kernel_smallILi49EdPdEEv13rocblas_fill_17rocblas_diagonal_T1_iil
    .private_segment_fixed_size: 400
    .sgpr_count:     41
    .sgpr_spill_count: 0
    .symbol:         _ZN9rocsolver6v33100L18trti2_kernel_smallILi49EdPdEEv13rocblas_fill_17rocblas_diagonal_T1_iil.kd
    .uniform_work_group_size: 1
    .uses_dynamic_stack: false
    .vgpr_count:     112
    .vgpr_spill_count: 0
    .wavefront_size: 64
  - .agpr_count:     0
    .args:
      - .offset:         0
        .size:           4
        .value_kind:     by_value
      - .offset:         4
        .size:           4
        .value_kind:     by_value
      - .address_space:  global
        .offset:         8
        .size:           8
        .value_kind:     global_buffer
      - .offset:         16
        .size:           4
        .value_kind:     by_value
      - .offset:         20
        .size:           4
        .value_kind:     by_value
      - .offset:         24
        .size:           8
        .value_kind:     by_value
    .group_segment_fixed_size: 800
    .kernarg_segment_align: 8
    .kernarg_segment_size: 32
    .language:       OpenCL C
    .language_version:
      - 2
      - 0
    .max_flat_workgroup_size: 64
    .name:           _ZN9rocsolver6v33100L18trti2_kernel_smallILi50EdPdEEv13rocblas_fill_17rocblas_diagonal_T1_iil
    .private_segment_fixed_size: 416
    .sgpr_count:     42
    .sgpr_spill_count: 0
    .symbol:         _ZN9rocsolver6v33100L18trti2_kernel_smallILi50EdPdEEv13rocblas_fill_17rocblas_diagonal_T1_iil.kd
    .uniform_work_group_size: 1
    .uses_dynamic_stack: false
    .vgpr_count:     114
    .vgpr_spill_count: 0
    .wavefront_size: 64
  - .agpr_count:     0
    .args:
      - .offset:         0
        .size:           4
        .value_kind:     by_value
      - .offset:         4
        .size:           4
        .value_kind:     by_value
      - .address_space:  global
        .offset:         8
        .size:           8
        .value_kind:     global_buffer
      - .offset:         16
        .size:           4
        .value_kind:     by_value
      - .offset:         20
        .size:           4
        .value_kind:     by_value
      - .offset:         24
        .size:           8
        .value_kind:     by_value
    .group_segment_fixed_size: 824
    .kernarg_segment_align: 8
    .kernarg_segment_size: 32
    .language:       OpenCL C
    .language_version:
      - 2
      - 0
    .max_flat_workgroup_size: 64
    .name:           _ZN9rocsolver6v33100L18trti2_kernel_smallILi51EdPdEEv13rocblas_fill_17rocblas_diagonal_T1_iil
    .private_segment_fixed_size: 416
    .sgpr_count:     42
    .sgpr_spill_count: 0
    .symbol:         _ZN9rocsolver6v33100L18trti2_kernel_smallILi51EdPdEEv13rocblas_fill_17rocblas_diagonal_T1_iil.kd
    .uniform_work_group_size: 1
    .uses_dynamic_stack: false
    .vgpr_count:     116
    .vgpr_spill_count: 0
    .wavefront_size: 64
  - .agpr_count:     0
    .args:
      - .offset:         0
        .size:           4
        .value_kind:     by_value
      - .offset:         4
        .size:           4
        .value_kind:     by_value
      - .address_space:  global
        .offset:         8
        .size:           8
        .value_kind:     global_buffer
      - .offset:         16
        .size:           4
        .value_kind:     by_value
      - .offset:         20
        .size:           4
        .value_kind:     by_value
      - .offset:         24
        .size:           8
        .value_kind:     by_value
    .group_segment_fixed_size: 832
    .kernarg_segment_align: 8
    .kernarg_segment_size: 32
    .language:       OpenCL C
    .language_version:
      - 2
      - 0
    .max_flat_workgroup_size: 64
    .name:           _ZN9rocsolver6v33100L18trti2_kernel_smallILi52EdPdEEv13rocblas_fill_17rocblas_diagonal_T1_iil
    .private_segment_fixed_size: 432
    .sgpr_count:     43
    .sgpr_spill_count: 0
    .symbol:         _ZN9rocsolver6v33100L18trti2_kernel_smallILi52EdPdEEv13rocblas_fill_17rocblas_diagonal_T1_iil.kd
    .uniform_work_group_size: 1
    .uses_dynamic_stack: false
    .vgpr_count:     118
    .vgpr_spill_count: 0
    .wavefront_size: 64
  - .agpr_count:     0
    .args:
      - .offset:         0
        .size:           4
        .value_kind:     by_value
      - .offset:         4
        .size:           4
        .value_kind:     by_value
      - .address_space:  global
        .offset:         8
        .size:           8
        .value_kind:     global_buffer
      - .offset:         16
        .size:           4
        .value_kind:     by_value
      - .offset:         20
        .size:           4
        .value_kind:     by_value
      - .offset:         24
        .size:           8
        .value_kind:     by_value
    .group_segment_fixed_size: 856
    .kernarg_segment_align: 8
    .kernarg_segment_size: 32
    .language:       OpenCL C
    .language_version:
      - 2
      - 0
    .max_flat_workgroup_size: 64
    .name:           _ZN9rocsolver6v33100L18trti2_kernel_smallILi53EdPdEEv13rocblas_fill_17rocblas_diagonal_T1_iil
    .private_segment_fixed_size: 432
    .sgpr_count:     43
    .sgpr_spill_count: 0
    .symbol:         _ZN9rocsolver6v33100L18trti2_kernel_smallILi53EdPdEEv13rocblas_fill_17rocblas_diagonal_T1_iil.kd
    .uniform_work_group_size: 1
    .uses_dynamic_stack: false
    .vgpr_count:     120
    .vgpr_spill_count: 0
    .wavefront_size: 64
  - .agpr_count:     0
    .args:
      - .offset:         0
        .size:           4
        .value_kind:     by_value
      - .offset:         4
        .size:           4
        .value_kind:     by_value
      - .address_space:  global
        .offset:         8
        .size:           8
        .value_kind:     global_buffer
      - .offset:         16
        .size:           4
        .value_kind:     by_value
      - .offset:         20
        .size:           4
        .value_kind:     by_value
      - .offset:         24
        .size:           8
        .value_kind:     by_value
    .group_segment_fixed_size: 864
    .kernarg_segment_align: 8
    .kernarg_segment_size: 32
    .language:       OpenCL C
    .language_version:
      - 2
      - 0
    .max_flat_workgroup_size: 64
    .name:           _ZN9rocsolver6v33100L18trti2_kernel_smallILi54EdPdEEv13rocblas_fill_17rocblas_diagonal_T1_iil
    .private_segment_fixed_size: 448
    .sgpr_count:     44
    .sgpr_spill_count: 0
    .symbol:         _ZN9rocsolver6v33100L18trti2_kernel_smallILi54EdPdEEv13rocblas_fill_17rocblas_diagonal_T1_iil.kd
    .uniform_work_group_size: 1
    .uses_dynamic_stack: false
    .vgpr_count:     122
    .vgpr_spill_count: 0
    .wavefront_size: 64
  - .agpr_count:     0
    .args:
      - .offset:         0
        .size:           4
        .value_kind:     by_value
      - .offset:         4
        .size:           4
        .value_kind:     by_value
      - .address_space:  global
        .offset:         8
        .size:           8
        .value_kind:     global_buffer
      - .offset:         16
        .size:           4
        .value_kind:     by_value
      - .offset:         20
        .size:           4
        .value_kind:     by_value
      - .offset:         24
        .size:           8
        .value_kind:     by_value
    .group_segment_fixed_size: 888
    .kernarg_segment_align: 8
    .kernarg_segment_size: 32
    .language:       OpenCL C
    .language_version:
      - 2
      - 0
    .max_flat_workgroup_size: 64
    .name:           _ZN9rocsolver6v33100L18trti2_kernel_smallILi55EdPdEEv13rocblas_fill_17rocblas_diagonal_T1_iil
    .private_segment_fixed_size: 448
    .sgpr_count:     44
    .sgpr_spill_count: 0
    .symbol:         _ZN9rocsolver6v33100L18trti2_kernel_smallILi55EdPdEEv13rocblas_fill_17rocblas_diagonal_T1_iil.kd
    .uniform_work_group_size: 1
    .uses_dynamic_stack: false
    .vgpr_count:     124
    .vgpr_spill_count: 0
    .wavefront_size: 64
  - .agpr_count:     0
    .args:
      - .offset:         0
        .size:           4
        .value_kind:     by_value
      - .offset:         4
        .size:           4
        .value_kind:     by_value
      - .address_space:  global
        .offset:         8
        .size:           8
        .value_kind:     global_buffer
      - .offset:         16
        .size:           4
        .value_kind:     by_value
      - .offset:         20
        .size:           4
        .value_kind:     by_value
      - .offset:         24
        .size:           8
        .value_kind:     by_value
    .group_segment_fixed_size: 896
    .kernarg_segment_align: 8
    .kernarg_segment_size: 32
    .language:       OpenCL C
    .language_version:
      - 2
      - 0
    .max_flat_workgroup_size: 64
    .name:           _ZN9rocsolver6v33100L18trti2_kernel_smallILi56EdPdEEv13rocblas_fill_17rocblas_diagonal_T1_iil
    .private_segment_fixed_size: 464
    .sgpr_count:     45
    .sgpr_spill_count: 0
    .symbol:         _ZN9rocsolver6v33100L18trti2_kernel_smallILi56EdPdEEv13rocblas_fill_17rocblas_diagonal_T1_iil.kd
    .uniform_work_group_size: 1
    .uses_dynamic_stack: false
    .vgpr_count:     126
    .vgpr_spill_count: 0
    .wavefront_size: 64
  - .agpr_count:     0
    .args:
      - .offset:         0
        .size:           4
        .value_kind:     by_value
      - .offset:         4
        .size:           4
        .value_kind:     by_value
      - .address_space:  global
        .offset:         8
        .size:           8
        .value_kind:     global_buffer
      - .offset:         16
        .size:           4
        .value_kind:     by_value
      - .offset:         20
        .size:           4
        .value_kind:     by_value
      - .offset:         24
        .size:           8
        .value_kind:     by_value
    .group_segment_fixed_size: 920
    .kernarg_segment_align: 8
    .kernarg_segment_size: 32
    .language:       OpenCL C
    .language_version:
      - 2
      - 0
    .max_flat_workgroup_size: 64
    .name:           _ZN9rocsolver6v33100L18trti2_kernel_smallILi57EdPdEEv13rocblas_fill_17rocblas_diagonal_T1_iil
    .private_segment_fixed_size: 464
    .sgpr_count:     45
    .sgpr_spill_count: 0
    .symbol:         _ZN9rocsolver6v33100L18trti2_kernel_smallILi57EdPdEEv13rocblas_fill_17rocblas_diagonal_T1_iil.kd
    .uniform_work_group_size: 1
    .uses_dynamic_stack: false
    .vgpr_count:     128
    .vgpr_spill_count: 0
    .wavefront_size: 64
  - .agpr_count:     0
    .args:
      - .offset:         0
        .size:           4
        .value_kind:     by_value
      - .offset:         4
        .size:           4
        .value_kind:     by_value
      - .address_space:  global
        .offset:         8
        .size:           8
        .value_kind:     global_buffer
      - .offset:         16
        .size:           4
        .value_kind:     by_value
      - .offset:         20
        .size:           4
        .value_kind:     by_value
      - .offset:         24
        .size:           8
        .value_kind:     by_value
    .group_segment_fixed_size: 928
    .kernarg_segment_align: 8
    .kernarg_segment_size: 32
    .language:       OpenCL C
    .language_version:
      - 2
      - 0
    .max_flat_workgroup_size: 64
    .name:           _ZN9rocsolver6v33100L18trti2_kernel_smallILi58EdPdEEv13rocblas_fill_17rocblas_diagonal_T1_iil
    .private_segment_fixed_size: 480
    .sgpr_count:     46
    .sgpr_spill_count: 0
    .symbol:         _ZN9rocsolver6v33100L18trti2_kernel_smallILi58EdPdEEv13rocblas_fill_17rocblas_diagonal_T1_iil.kd
    .uniform_work_group_size: 1
    .uses_dynamic_stack: false
    .vgpr_count:     130
    .vgpr_spill_count: 0
    .wavefront_size: 64
  - .agpr_count:     0
    .args:
      - .offset:         0
        .size:           4
        .value_kind:     by_value
      - .offset:         4
        .size:           4
        .value_kind:     by_value
      - .address_space:  global
        .offset:         8
        .size:           8
        .value_kind:     global_buffer
      - .offset:         16
        .size:           4
        .value_kind:     by_value
      - .offset:         20
        .size:           4
        .value_kind:     by_value
      - .offset:         24
        .size:           8
        .value_kind:     by_value
    .group_segment_fixed_size: 952
    .kernarg_segment_align: 8
    .kernarg_segment_size: 32
    .language:       OpenCL C
    .language_version:
      - 2
      - 0
    .max_flat_workgroup_size: 64
    .name:           _ZN9rocsolver6v33100L18trti2_kernel_smallILi59EdPdEEv13rocblas_fill_17rocblas_diagonal_T1_iil
    .private_segment_fixed_size: 480
    .sgpr_count:     46
    .sgpr_spill_count: 0
    .symbol:         _ZN9rocsolver6v33100L18trti2_kernel_smallILi59EdPdEEv13rocblas_fill_17rocblas_diagonal_T1_iil.kd
    .uniform_work_group_size: 1
    .uses_dynamic_stack: false
    .vgpr_count:     132
    .vgpr_spill_count: 0
    .wavefront_size: 64
  - .agpr_count:     0
    .args:
      - .offset:         0
        .size:           4
        .value_kind:     by_value
      - .offset:         4
        .size:           4
        .value_kind:     by_value
      - .address_space:  global
        .offset:         8
        .size:           8
        .value_kind:     global_buffer
      - .offset:         16
        .size:           4
        .value_kind:     by_value
      - .offset:         20
        .size:           4
        .value_kind:     by_value
      - .offset:         24
        .size:           8
        .value_kind:     by_value
    .group_segment_fixed_size: 960
    .kernarg_segment_align: 8
    .kernarg_segment_size: 32
    .language:       OpenCL C
    .language_version:
      - 2
      - 0
    .max_flat_workgroup_size: 64
    .name:           _ZN9rocsolver6v33100L18trti2_kernel_smallILi60EdPdEEv13rocblas_fill_17rocblas_diagonal_T1_iil
    .private_segment_fixed_size: 496
    .sgpr_count:     47
    .sgpr_spill_count: 0
    .symbol:         _ZN9rocsolver6v33100L18trti2_kernel_smallILi60EdPdEEv13rocblas_fill_17rocblas_diagonal_T1_iil.kd
    .uniform_work_group_size: 1
    .uses_dynamic_stack: false
    .vgpr_count:     134
    .vgpr_spill_count: 0
    .wavefront_size: 64
  - .agpr_count:     0
    .args:
      - .offset:         0
        .size:           4
        .value_kind:     by_value
      - .offset:         4
        .size:           4
        .value_kind:     by_value
      - .address_space:  global
        .offset:         8
        .size:           8
        .value_kind:     global_buffer
      - .offset:         16
        .size:           4
        .value_kind:     by_value
      - .offset:         20
        .size:           4
        .value_kind:     by_value
      - .offset:         24
        .size:           8
        .value_kind:     by_value
    .group_segment_fixed_size: 984
    .kernarg_segment_align: 8
    .kernarg_segment_size: 32
    .language:       OpenCL C
    .language_version:
      - 2
      - 0
    .max_flat_workgroup_size: 64
    .name:           _ZN9rocsolver6v33100L18trti2_kernel_smallILi61EdPdEEv13rocblas_fill_17rocblas_diagonal_T1_iil
    .private_segment_fixed_size: 496
    .sgpr_count:     47
    .sgpr_spill_count: 0
    .symbol:         _ZN9rocsolver6v33100L18trti2_kernel_smallILi61EdPdEEv13rocblas_fill_17rocblas_diagonal_T1_iil.kd
    .uniform_work_group_size: 1
    .uses_dynamic_stack: false
    .vgpr_count:     136
    .vgpr_spill_count: 0
    .wavefront_size: 64
  - .agpr_count:     0
    .args:
      - .offset:         0
        .size:           4
        .value_kind:     by_value
      - .offset:         4
        .size:           4
        .value_kind:     by_value
      - .address_space:  global
        .offset:         8
        .size:           8
        .value_kind:     global_buffer
      - .offset:         16
        .size:           4
        .value_kind:     by_value
      - .offset:         20
        .size:           4
        .value_kind:     by_value
      - .offset:         24
        .size:           8
        .value_kind:     by_value
    .group_segment_fixed_size: 992
    .kernarg_segment_align: 8
    .kernarg_segment_size: 32
    .language:       OpenCL C
    .language_version:
      - 2
      - 0
    .max_flat_workgroup_size: 64
    .name:           _ZN9rocsolver6v33100L18trti2_kernel_smallILi62EdPdEEv13rocblas_fill_17rocblas_diagonal_T1_iil
    .private_segment_fixed_size: 512
    .sgpr_count:     48
    .sgpr_spill_count: 0
    .symbol:         _ZN9rocsolver6v33100L18trti2_kernel_smallILi62EdPdEEv13rocblas_fill_17rocblas_diagonal_T1_iil.kd
    .uniform_work_group_size: 1
    .uses_dynamic_stack: false
    .vgpr_count:     138
    .vgpr_spill_count: 0
    .wavefront_size: 64
  - .agpr_count:     0
    .args:
      - .offset:         0
        .size:           4
        .value_kind:     by_value
      - .offset:         4
        .size:           4
        .value_kind:     by_value
      - .address_space:  global
        .offset:         8
        .size:           8
        .value_kind:     global_buffer
      - .offset:         16
        .size:           4
        .value_kind:     by_value
      - .offset:         20
        .size:           4
        .value_kind:     by_value
      - .offset:         24
        .size:           8
        .value_kind:     by_value
    .group_segment_fixed_size: 1016
    .kernarg_segment_align: 8
    .kernarg_segment_size: 32
    .language:       OpenCL C
    .language_version:
      - 2
      - 0
    .max_flat_workgroup_size: 64
    .name:           _ZN9rocsolver6v33100L18trti2_kernel_smallILi63EdPdEEv13rocblas_fill_17rocblas_diagonal_T1_iil
    .private_segment_fixed_size: 512
    .sgpr_count:     48
    .sgpr_spill_count: 0
    .symbol:         _ZN9rocsolver6v33100L18trti2_kernel_smallILi63EdPdEEv13rocblas_fill_17rocblas_diagonal_T1_iil.kd
    .uniform_work_group_size: 1
    .uses_dynamic_stack: false
    .vgpr_count:     140
    .vgpr_spill_count: 0
    .wavefront_size: 64
  - .agpr_count:     0
    .args:
      - .offset:         0
        .size:           4
        .value_kind:     by_value
      - .offset:         4
        .size:           4
        .value_kind:     by_value
      - .address_space:  global
        .offset:         8
        .size:           8
        .value_kind:     global_buffer
      - .offset:         16
        .size:           4
        .value_kind:     by_value
      - .offset:         20
        .size:           4
        .value_kind:     by_value
      - .offset:         24
        .size:           8
        .value_kind:     by_value
    .group_segment_fixed_size: 1024
    .kernarg_segment_align: 8
    .kernarg_segment_size: 32
    .language:       OpenCL C
    .language_version:
      - 2
      - 0
    .max_flat_workgroup_size: 64
    .name:           _ZN9rocsolver6v33100L18trti2_kernel_smallILi64EdPdEEv13rocblas_fill_17rocblas_diagonal_T1_iil
    .private_segment_fixed_size: 528
    .sgpr_count:     49
    .sgpr_spill_count: 0
    .symbol:         _ZN9rocsolver6v33100L18trti2_kernel_smallILi64EdPdEEv13rocblas_fill_17rocblas_diagonal_T1_iil.kd
    .uniform_work_group_size: 1
    .uses_dynamic_stack: false
    .vgpr_count:     142
    .vgpr_spill_count: 0
    .wavefront_size: 64
  - .agpr_count:     0
    .args:
      - .offset:         0
        .size:           4
        .value_kind:     by_value
      - .offset:         4
        .size:           4
        .value_kind:     by_value
      - .address_space:  global
        .offset:         8
        .size:           8
        .value_kind:     global_buffer
      - .offset:         16
        .size:           4
        .value_kind:     by_value
      - .offset:         20
        .size:           4
        .value_kind:     by_value
      - .offset:         24
        .size:           8
        .value_kind:     by_value
    .group_segment_fixed_size: 0
    .kernarg_segment_align: 8
    .kernarg_segment_size: 32
    .language:       OpenCL C
    .language_version:
      - 2
      - 0
    .max_flat_workgroup_size: 64
    .name:           _ZN9rocsolver6v33100L18trti2_kernel_smallILi1EdPKPdEEv13rocblas_fill_17rocblas_diagonal_T1_iil
    .private_segment_fixed_size: 0
    .sgpr_count:     14
    .sgpr_spill_count: 0
    .symbol:         _ZN9rocsolver6v33100L18trti2_kernel_smallILi1EdPKPdEEv13rocblas_fill_17rocblas_diagonal_T1_iil.kd
    .uniform_work_group_size: 1
    .uses_dynamic_stack: false
    .vgpr_count:     12
    .vgpr_spill_count: 0
    .wavefront_size: 64
  - .agpr_count:     0
    .args:
      - .offset:         0
        .size:           4
        .value_kind:     by_value
      - .offset:         4
        .size:           4
        .value_kind:     by_value
      - .address_space:  global
        .offset:         8
        .size:           8
        .value_kind:     global_buffer
      - .offset:         16
        .size:           4
        .value_kind:     by_value
      - .offset:         20
        .size:           4
        .value_kind:     by_value
      - .offset:         24
        .size:           8
        .value_kind:     by_value
    .group_segment_fixed_size: 32
    .kernarg_segment_align: 8
    .kernarg_segment_size: 32
    .language:       OpenCL C
    .language_version:
      - 2
      - 0
    .max_flat_workgroup_size: 64
    .name:           _ZN9rocsolver6v33100L18trti2_kernel_smallILi2EdPKPdEEv13rocblas_fill_17rocblas_diagonal_T1_iil
    .private_segment_fixed_size: 0
    .sgpr_count:     16
    .sgpr_spill_count: 0
    .symbol:         _ZN9rocsolver6v33100L18trti2_kernel_smallILi2EdPKPdEEv13rocblas_fill_17rocblas_diagonal_T1_iil.kd
    .uniform_work_group_size: 1
    .uses_dynamic_stack: false
    .vgpr_count:     22
    .vgpr_spill_count: 0
    .wavefront_size: 64
  - .agpr_count:     0
    .args:
      - .offset:         0
        .size:           4
        .value_kind:     by_value
      - .offset:         4
        .size:           4
        .value_kind:     by_value
      - .address_space:  global
        .offset:         8
        .size:           8
        .value_kind:     global_buffer
      - .offset:         16
        .size:           4
        .value_kind:     by_value
      - .offset:         20
        .size:           4
        .value_kind:     by_value
      - .offset:         24
        .size:           8
        .value_kind:     by_value
    .group_segment_fixed_size: 56
    .kernarg_segment_align: 8
    .kernarg_segment_size: 32
    .language:       OpenCL C
    .language_version:
      - 2
      - 0
    .max_flat_workgroup_size: 64
    .name:           _ZN9rocsolver6v33100L18trti2_kernel_smallILi3EdPKPdEEv13rocblas_fill_17rocblas_diagonal_T1_iil
    .private_segment_fixed_size: 0
    .sgpr_count:     16
    .sgpr_spill_count: 0
    .symbol:         _ZN9rocsolver6v33100L18trti2_kernel_smallILi3EdPKPdEEv13rocblas_fill_17rocblas_diagonal_T1_iil.kd
    .uniform_work_group_size: 1
    .uses_dynamic_stack: false
    .vgpr_count:     28
    .vgpr_spill_count: 0
    .wavefront_size: 64
  - .agpr_count:     0
    .args:
      - .offset:         0
        .size:           4
        .value_kind:     by_value
      - .offset:         4
        .size:           4
        .value_kind:     by_value
      - .address_space:  global
        .offset:         8
        .size:           8
        .value_kind:     global_buffer
      - .offset:         16
        .size:           4
        .value_kind:     by_value
      - .offset:         20
        .size:           4
        .value_kind:     by_value
      - .offset:         24
        .size:           8
        .value_kind:     by_value
    .group_segment_fixed_size: 64
    .kernarg_segment_align: 8
    .kernarg_segment_size: 32
    .language:       OpenCL C
    .language_version:
      - 2
      - 0
    .max_flat_workgroup_size: 64
    .name:           _ZN9rocsolver6v33100L18trti2_kernel_smallILi4EdPKPdEEv13rocblas_fill_17rocblas_diagonal_T1_iil
    .private_segment_fixed_size: 0
    .sgpr_count:     22
    .sgpr_spill_count: 0
    .symbol:         _ZN9rocsolver6v33100L18trti2_kernel_smallILi4EdPKPdEEv13rocblas_fill_17rocblas_diagonal_T1_iil.kd
    .uniform_work_group_size: 1
    .uses_dynamic_stack: false
    .vgpr_count:     49
    .vgpr_spill_count: 0
    .wavefront_size: 64
  - .agpr_count:     0
    .args:
      - .offset:         0
        .size:           4
        .value_kind:     by_value
      - .offset:         4
        .size:           4
        .value_kind:     by_value
      - .address_space:  global
        .offset:         8
        .size:           8
        .value_kind:     global_buffer
      - .offset:         16
        .size:           4
        .value_kind:     by_value
      - .offset:         20
        .size:           4
        .value_kind:     by_value
      - .offset:         24
        .size:           8
        .value_kind:     by_value
    .group_segment_fixed_size: 88
    .kernarg_segment_align: 8
    .kernarg_segment_size: 32
    .language:       OpenCL C
    .language_version:
      - 2
      - 0
    .max_flat_workgroup_size: 64
    .name:           _ZN9rocsolver6v33100L18trti2_kernel_smallILi5EdPKPdEEv13rocblas_fill_17rocblas_diagonal_T1_iil
    .private_segment_fixed_size: 0
    .sgpr_count:     24
    .sgpr_spill_count: 0
    .symbol:         _ZN9rocsolver6v33100L18trti2_kernel_smallILi5EdPKPdEEv13rocblas_fill_17rocblas_diagonal_T1_iil.kd
    .uniform_work_group_size: 1
    .uses_dynamic_stack: false
    .vgpr_count:     62
    .vgpr_spill_count: 0
    .wavefront_size: 64
  - .agpr_count:     0
    .args:
      - .offset:         0
        .size:           4
        .value_kind:     by_value
      - .offset:         4
        .size:           4
        .value_kind:     by_value
      - .address_space:  global
        .offset:         8
        .size:           8
        .value_kind:     global_buffer
      - .offset:         16
        .size:           4
        .value_kind:     by_value
      - .offset:         20
        .size:           4
        .value_kind:     by_value
      - .offset:         24
        .size:           8
        .value_kind:     by_value
    .group_segment_fixed_size: 96
    .kernarg_segment_align: 8
    .kernarg_segment_size: 32
    .language:       OpenCL C
    .language_version:
      - 2
      - 0
    .max_flat_workgroup_size: 64
    .name:           _ZN9rocsolver6v33100L18trti2_kernel_smallILi6EdPKPdEEv13rocblas_fill_17rocblas_diagonal_T1_iil
    .private_segment_fixed_size: 0
    .sgpr_count:     36
    .sgpr_spill_count: 0
    .symbol:         _ZN9rocsolver6v33100L18trti2_kernel_smallILi6EdPKPdEEv13rocblas_fill_17rocblas_diagonal_T1_iil.kd
    .uniform_work_group_size: 1
    .uses_dynamic_stack: false
    .vgpr_count:     74
    .vgpr_spill_count: 0
    .wavefront_size: 64
  - .agpr_count:     0
    .args:
      - .offset:         0
        .size:           4
        .value_kind:     by_value
      - .offset:         4
        .size:           4
        .value_kind:     by_value
      - .address_space:  global
        .offset:         8
        .size:           8
        .value_kind:     global_buffer
      - .offset:         16
        .size:           4
        .value_kind:     by_value
      - .offset:         20
        .size:           4
        .value_kind:     by_value
      - .offset:         24
        .size:           8
        .value_kind:     by_value
    .group_segment_fixed_size: 120
    .kernarg_segment_align: 8
    .kernarg_segment_size: 32
    .language:       OpenCL C
    .language_version:
      - 2
      - 0
    .max_flat_workgroup_size: 64
    .name:           _ZN9rocsolver6v33100L18trti2_kernel_smallILi7EdPKPdEEv13rocblas_fill_17rocblas_diagonal_T1_iil
    .private_segment_fixed_size: 0
    .sgpr_count:     36
    .sgpr_spill_count: 0
    .symbol:         _ZN9rocsolver6v33100L18trti2_kernel_smallILi7EdPKPdEEv13rocblas_fill_17rocblas_diagonal_T1_iil.kd
    .uniform_work_group_size: 1
    .uses_dynamic_stack: false
    .vgpr_count:     76
    .vgpr_spill_count: 0
    .wavefront_size: 64
  - .agpr_count:     0
    .args:
      - .offset:         0
        .size:           4
        .value_kind:     by_value
      - .offset:         4
        .size:           4
        .value_kind:     by_value
      - .address_space:  global
        .offset:         8
        .size:           8
        .value_kind:     global_buffer
      - .offset:         16
        .size:           4
        .value_kind:     by_value
      - .offset:         20
        .size:           4
        .value_kind:     by_value
      - .offset:         24
        .size:           8
        .value_kind:     by_value
    .group_segment_fixed_size: 128
    .kernarg_segment_align: 8
    .kernarg_segment_size: 32
    .language:       OpenCL C
    .language_version:
      - 2
      - 0
    .max_flat_workgroup_size: 64
    .name:           _ZN9rocsolver6v33100L18trti2_kernel_smallILi8EdPKPdEEv13rocblas_fill_17rocblas_diagonal_T1_iil
    .private_segment_fixed_size: 0
    .sgpr_count:     36
    .sgpr_spill_count: 0
    .symbol:         _ZN9rocsolver6v33100L18trti2_kernel_smallILi8EdPKPdEEv13rocblas_fill_17rocblas_diagonal_T1_iil.kd
    .uniform_work_group_size: 1
    .uses_dynamic_stack: false
    .vgpr_count:     78
    .vgpr_spill_count: 0
    .wavefront_size: 64
  - .agpr_count:     0
    .args:
      - .offset:         0
        .size:           4
        .value_kind:     by_value
      - .offset:         4
        .size:           4
        .value_kind:     by_value
      - .address_space:  global
        .offset:         8
        .size:           8
        .value_kind:     global_buffer
      - .offset:         16
        .size:           4
        .value_kind:     by_value
      - .offset:         20
        .size:           4
        .value_kind:     by_value
      - .offset:         24
        .size:           8
        .value_kind:     by_value
    .group_segment_fixed_size: 152
    .kernarg_segment_align: 8
    .kernarg_segment_size: 32
    .language:       OpenCL C
    .language_version:
      - 2
      - 0
    .max_flat_workgroup_size: 64
    .name:           _ZN9rocsolver6v33100L18trti2_kernel_smallILi9EdPKPdEEv13rocblas_fill_17rocblas_diagonal_T1_iil
    .private_segment_fixed_size: 0
    .sgpr_count:     36
    .sgpr_spill_count: 0
    .symbol:         _ZN9rocsolver6v33100L18trti2_kernel_smallILi9EdPKPdEEv13rocblas_fill_17rocblas_diagonal_T1_iil.kd
    .uniform_work_group_size: 1
    .uses_dynamic_stack: false
    .vgpr_count:     114
    .vgpr_spill_count: 0
    .wavefront_size: 64
  - .agpr_count:     0
    .args:
      - .offset:         0
        .size:           4
        .value_kind:     by_value
      - .offset:         4
        .size:           4
        .value_kind:     by_value
      - .address_space:  global
        .offset:         8
        .size:           8
        .value_kind:     global_buffer
      - .offset:         16
        .size:           4
        .value_kind:     by_value
      - .offset:         20
        .size:           4
        .value_kind:     by_value
      - .offset:         24
        .size:           8
        .value_kind:     by_value
    .group_segment_fixed_size: 160
    .kernarg_segment_align: 8
    .kernarg_segment_size: 32
    .language:       OpenCL C
    .language_version:
      - 2
      - 0
    .max_flat_workgroup_size: 64
    .name:           _ZN9rocsolver6v33100L18trti2_kernel_smallILi10EdPKPdEEv13rocblas_fill_17rocblas_diagonal_T1_iil
    .private_segment_fixed_size: 0
    .sgpr_count:     42
    .sgpr_spill_count: 0
    .symbol:         _ZN9rocsolver6v33100L18trti2_kernel_smallILi10EdPKPdEEv13rocblas_fill_17rocblas_diagonal_T1_iil.kd
    .uniform_work_group_size: 1
    .uses_dynamic_stack: false
    .vgpr_count:     114
    .vgpr_spill_count: 0
    .wavefront_size: 64
  - .agpr_count:     0
    .args:
      - .offset:         0
        .size:           4
        .value_kind:     by_value
      - .offset:         4
        .size:           4
        .value_kind:     by_value
      - .address_space:  global
        .offset:         8
        .size:           8
        .value_kind:     global_buffer
      - .offset:         16
        .size:           4
        .value_kind:     by_value
      - .offset:         20
        .size:           4
        .value_kind:     by_value
      - .offset:         24
        .size:           8
        .value_kind:     by_value
    .group_segment_fixed_size: 184
    .kernarg_segment_align: 8
    .kernarg_segment_size: 32
    .language:       OpenCL C
    .language_version:
      - 2
      - 0
    .max_flat_workgroup_size: 64
    .name:           _ZN9rocsolver6v33100L18trti2_kernel_smallILi11EdPKPdEEv13rocblas_fill_17rocblas_diagonal_T1_iil
    .private_segment_fixed_size: 0
    .sgpr_count:     48
    .sgpr_spill_count: 0
    .symbol:         _ZN9rocsolver6v33100L18trti2_kernel_smallILi11EdPKPdEEv13rocblas_fill_17rocblas_diagonal_T1_iil.kd
    .uniform_work_group_size: 1
    .uses_dynamic_stack: false
    .vgpr_count:     116
    .vgpr_spill_count: 0
    .wavefront_size: 64
  - .agpr_count:     0
    .args:
      - .offset:         0
        .size:           4
        .value_kind:     by_value
      - .offset:         4
        .size:           4
        .value_kind:     by_value
      - .address_space:  global
        .offset:         8
        .size:           8
        .value_kind:     global_buffer
      - .offset:         16
        .size:           4
        .value_kind:     by_value
      - .offset:         20
        .size:           4
        .value_kind:     by_value
      - .offset:         24
        .size:           8
        .value_kind:     by_value
    .group_segment_fixed_size: 192
    .kernarg_segment_align: 8
    .kernarg_segment_size: 32
    .language:       OpenCL C
    .language_version:
      - 2
      - 0
    .max_flat_workgroup_size: 64
    .name:           _ZN9rocsolver6v33100L18trti2_kernel_smallILi12EdPKPdEEv13rocblas_fill_17rocblas_diagonal_T1_iil
    .private_segment_fixed_size: 0
    .sgpr_count:     48
    .sgpr_spill_count: 0
    .symbol:         _ZN9rocsolver6v33100L18trti2_kernel_smallILi12EdPKPdEEv13rocblas_fill_17rocblas_diagonal_T1_iil.kd
    .uniform_work_group_size: 1
    .uses_dynamic_stack: false
    .vgpr_count:     118
    .vgpr_spill_count: 0
    .wavefront_size: 64
  - .agpr_count:     0
    .args:
      - .offset:         0
        .size:           4
        .value_kind:     by_value
      - .offset:         4
        .size:           4
        .value_kind:     by_value
      - .address_space:  global
        .offset:         8
        .size:           8
        .value_kind:     global_buffer
      - .offset:         16
        .size:           4
        .value_kind:     by_value
      - .offset:         20
        .size:           4
        .value_kind:     by_value
      - .offset:         24
        .size:           8
        .value_kind:     by_value
    .group_segment_fixed_size: 216
    .kernarg_segment_align: 8
    .kernarg_segment_size: 32
    .language:       OpenCL C
    .language_version:
      - 2
      - 0
    .max_flat_workgroup_size: 64
    .name:           _ZN9rocsolver6v33100L18trti2_kernel_smallILi13EdPKPdEEv13rocblas_fill_17rocblas_diagonal_T1_iil
    .private_segment_fixed_size: 0
    .sgpr_count:     50
    .sgpr_spill_count: 0
    .symbol:         _ZN9rocsolver6v33100L18trti2_kernel_smallILi13EdPKPdEEv13rocblas_fill_17rocblas_diagonal_T1_iil.kd
    .uniform_work_group_size: 1
    .uses_dynamic_stack: false
    .vgpr_count:     120
    .vgpr_spill_count: 0
    .wavefront_size: 64
  - .agpr_count:     0
    .args:
      - .offset:         0
        .size:           4
        .value_kind:     by_value
      - .offset:         4
        .size:           4
        .value_kind:     by_value
      - .address_space:  global
        .offset:         8
        .size:           8
        .value_kind:     global_buffer
      - .offset:         16
        .size:           4
        .value_kind:     by_value
      - .offset:         20
        .size:           4
        .value_kind:     by_value
      - .offset:         24
        .size:           8
        .value_kind:     by_value
    .group_segment_fixed_size: 224
    .kernarg_segment_align: 8
    .kernarg_segment_size: 32
    .language:       OpenCL C
    .language_version:
      - 2
      - 0
    .max_flat_workgroup_size: 64
    .name:           _ZN9rocsolver6v33100L18trti2_kernel_smallILi14EdPKPdEEv13rocblas_fill_17rocblas_diagonal_T1_iil
    .private_segment_fixed_size: 0
    .sgpr_count:     52
    .sgpr_spill_count: 0
    .symbol:         _ZN9rocsolver6v33100L18trti2_kernel_smallILi14EdPKPdEEv13rocblas_fill_17rocblas_diagonal_T1_iil.kd
    .uniform_work_group_size: 1
    .uses_dynamic_stack: false
    .vgpr_count:     122
    .vgpr_spill_count: 0
    .wavefront_size: 64
  - .agpr_count:     0
    .args:
      - .offset:         0
        .size:           4
        .value_kind:     by_value
      - .offset:         4
        .size:           4
        .value_kind:     by_value
      - .address_space:  global
        .offset:         8
        .size:           8
        .value_kind:     global_buffer
      - .offset:         16
        .size:           4
        .value_kind:     by_value
      - .offset:         20
        .size:           4
        .value_kind:     by_value
      - .offset:         24
        .size:           8
        .value_kind:     by_value
    .group_segment_fixed_size: 248
    .kernarg_segment_align: 8
    .kernarg_segment_size: 32
    .language:       OpenCL C
    .language_version:
      - 2
      - 0
    .max_flat_workgroup_size: 64
    .name:           _ZN9rocsolver6v33100L18trti2_kernel_smallILi15EdPKPdEEv13rocblas_fill_17rocblas_diagonal_T1_iil
    .private_segment_fixed_size: 0
    .sgpr_count:     54
    .sgpr_spill_count: 0
    .symbol:         _ZN9rocsolver6v33100L18trti2_kernel_smallILi15EdPKPdEEv13rocblas_fill_17rocblas_diagonal_T1_iil.kd
    .uniform_work_group_size: 1
    .uses_dynamic_stack: false
    .vgpr_count:     124
    .vgpr_spill_count: 0
    .wavefront_size: 64
  - .agpr_count:     0
    .args:
      - .offset:         0
        .size:           4
        .value_kind:     by_value
      - .offset:         4
        .size:           4
        .value_kind:     by_value
      - .address_space:  global
        .offset:         8
        .size:           8
        .value_kind:     global_buffer
      - .offset:         16
        .size:           4
        .value_kind:     by_value
      - .offset:         20
        .size:           4
        .value_kind:     by_value
      - .offset:         24
        .size:           8
        .value_kind:     by_value
    .group_segment_fixed_size: 256
    .kernarg_segment_align: 8
    .kernarg_segment_size: 32
    .language:       OpenCL C
    .language_version:
      - 2
      - 0
    .max_flat_workgroup_size: 64
    .name:           _ZN9rocsolver6v33100L18trti2_kernel_smallILi16EdPKPdEEv13rocblas_fill_17rocblas_diagonal_T1_iil
    .private_segment_fixed_size: 0
    .sgpr_count:     56
    .sgpr_spill_count: 0
    .symbol:         _ZN9rocsolver6v33100L18trti2_kernel_smallILi16EdPKPdEEv13rocblas_fill_17rocblas_diagonal_T1_iil.kd
    .uniform_work_group_size: 1
    .uses_dynamic_stack: false
    .vgpr_count:     126
    .vgpr_spill_count: 0
    .wavefront_size: 64
  - .agpr_count:     0
    .args:
      - .offset:         0
        .size:           4
        .value_kind:     by_value
      - .offset:         4
        .size:           4
        .value_kind:     by_value
      - .address_space:  global
        .offset:         8
        .size:           8
        .value_kind:     global_buffer
      - .offset:         16
        .size:           4
        .value_kind:     by_value
      - .offset:         20
        .size:           4
        .value_kind:     by_value
      - .offset:         24
        .size:           8
        .value_kind:     by_value
    .group_segment_fixed_size: 280
    .kernarg_segment_align: 8
    .kernarg_segment_size: 32
    .language:       OpenCL C
    .language_version:
      - 2
      - 0
    .max_flat_workgroup_size: 64
    .name:           _ZN9rocsolver6v33100L18trti2_kernel_smallILi17EdPKPdEEv13rocblas_fill_17rocblas_diagonal_T1_iil
    .private_segment_fixed_size: 144
    .sgpr_count:     31
    .sgpr_spill_count: 0
    .symbol:         _ZN9rocsolver6v33100L18trti2_kernel_smallILi17EdPKPdEEv13rocblas_fill_17rocblas_diagonal_T1_iil.kd
    .uniform_work_group_size: 1
    .uses_dynamic_stack: false
    .vgpr_count:     48
    .vgpr_spill_count: 0
    .wavefront_size: 64
  - .agpr_count:     0
    .args:
      - .offset:         0
        .size:           4
        .value_kind:     by_value
      - .offset:         4
        .size:           4
        .value_kind:     by_value
      - .address_space:  global
        .offset:         8
        .size:           8
        .value_kind:     global_buffer
      - .offset:         16
        .size:           4
        .value_kind:     by_value
      - .offset:         20
        .size:           4
        .value_kind:     by_value
      - .offset:         24
        .size:           8
        .value_kind:     by_value
    .group_segment_fixed_size: 288
    .kernarg_segment_align: 8
    .kernarg_segment_size: 32
    .language:       OpenCL C
    .language_version:
      - 2
      - 0
    .max_flat_workgroup_size: 64
    .name:           _ZN9rocsolver6v33100L18trti2_kernel_smallILi18EdPKPdEEv13rocblas_fill_17rocblas_diagonal_T1_iil
    .private_segment_fixed_size: 160
    .sgpr_count:     32
    .sgpr_spill_count: 0
    .symbol:         _ZN9rocsolver6v33100L18trti2_kernel_smallILi18EdPKPdEEv13rocblas_fill_17rocblas_diagonal_T1_iil.kd
    .uniform_work_group_size: 1
    .uses_dynamic_stack: false
    .vgpr_count:     50
    .vgpr_spill_count: 0
    .wavefront_size: 64
  - .agpr_count:     0
    .args:
      - .offset:         0
        .size:           4
        .value_kind:     by_value
      - .offset:         4
        .size:           4
        .value_kind:     by_value
      - .address_space:  global
        .offset:         8
        .size:           8
        .value_kind:     global_buffer
      - .offset:         16
        .size:           4
        .value_kind:     by_value
      - .offset:         20
        .size:           4
        .value_kind:     by_value
      - .offset:         24
        .size:           8
        .value_kind:     by_value
    .group_segment_fixed_size: 312
    .kernarg_segment_align: 8
    .kernarg_segment_size: 32
    .language:       OpenCL C
    .language_version:
      - 2
      - 0
    .max_flat_workgroup_size: 64
    .name:           _ZN9rocsolver6v33100L18trti2_kernel_smallILi19EdPKPdEEv13rocblas_fill_17rocblas_diagonal_T1_iil
    .private_segment_fixed_size: 160
    .sgpr_count:     33
    .sgpr_spill_count: 0
    .symbol:         _ZN9rocsolver6v33100L18trti2_kernel_smallILi19EdPKPdEEv13rocblas_fill_17rocblas_diagonal_T1_iil.kd
    .uniform_work_group_size: 1
    .uses_dynamic_stack: false
    .vgpr_count:     52
    .vgpr_spill_count: 0
    .wavefront_size: 64
  - .agpr_count:     0
    .args:
      - .offset:         0
        .size:           4
        .value_kind:     by_value
      - .offset:         4
        .size:           4
        .value_kind:     by_value
      - .address_space:  global
        .offset:         8
        .size:           8
        .value_kind:     global_buffer
      - .offset:         16
        .size:           4
        .value_kind:     by_value
      - .offset:         20
        .size:           4
        .value_kind:     by_value
      - .offset:         24
        .size:           8
        .value_kind:     by_value
    .group_segment_fixed_size: 320
    .kernarg_segment_align: 8
    .kernarg_segment_size: 32
    .language:       OpenCL C
    .language_version:
      - 2
      - 0
    .max_flat_workgroup_size: 64
    .name:           _ZN9rocsolver6v33100L18trti2_kernel_smallILi20EdPKPdEEv13rocblas_fill_17rocblas_diagonal_T1_iil
    .private_segment_fixed_size: 176
    .sgpr_count:     34
    .sgpr_spill_count: 0
    .symbol:         _ZN9rocsolver6v33100L18trti2_kernel_smallILi20EdPKPdEEv13rocblas_fill_17rocblas_diagonal_T1_iil.kd
    .uniform_work_group_size: 1
    .uses_dynamic_stack: false
    .vgpr_count:     54
    .vgpr_spill_count: 0
    .wavefront_size: 64
  - .agpr_count:     0
    .args:
      - .offset:         0
        .size:           4
        .value_kind:     by_value
      - .offset:         4
        .size:           4
        .value_kind:     by_value
      - .address_space:  global
        .offset:         8
        .size:           8
        .value_kind:     global_buffer
      - .offset:         16
        .size:           4
        .value_kind:     by_value
      - .offset:         20
        .size:           4
        .value_kind:     by_value
      - .offset:         24
        .size:           8
        .value_kind:     by_value
    .group_segment_fixed_size: 344
    .kernarg_segment_align: 8
    .kernarg_segment_size: 32
    .language:       OpenCL C
    .language_version:
      - 2
      - 0
    .max_flat_workgroup_size: 64
    .name:           _ZN9rocsolver6v33100L18trti2_kernel_smallILi21EdPKPdEEv13rocblas_fill_17rocblas_diagonal_T1_iil
    .private_segment_fixed_size: 176
    .sgpr_count:     35
    .sgpr_spill_count: 0
    .symbol:         _ZN9rocsolver6v33100L18trti2_kernel_smallILi21EdPKPdEEv13rocblas_fill_17rocblas_diagonal_T1_iil.kd
    .uniform_work_group_size: 1
    .uses_dynamic_stack: false
    .vgpr_count:     56
    .vgpr_spill_count: 0
    .wavefront_size: 64
  - .agpr_count:     0
    .args:
      - .offset:         0
        .size:           4
        .value_kind:     by_value
      - .offset:         4
        .size:           4
        .value_kind:     by_value
      - .address_space:  global
        .offset:         8
        .size:           8
        .value_kind:     global_buffer
      - .offset:         16
        .size:           4
        .value_kind:     by_value
      - .offset:         20
        .size:           4
        .value_kind:     by_value
      - .offset:         24
        .size:           8
        .value_kind:     by_value
    .group_segment_fixed_size: 352
    .kernarg_segment_align: 8
    .kernarg_segment_size: 32
    .language:       OpenCL C
    .language_version:
      - 2
      - 0
    .max_flat_workgroup_size: 64
    .name:           _ZN9rocsolver6v33100L18trti2_kernel_smallILi22EdPKPdEEv13rocblas_fill_17rocblas_diagonal_T1_iil
    .private_segment_fixed_size: 192
    .sgpr_count:     36
    .sgpr_spill_count: 0
    .symbol:         _ZN9rocsolver6v33100L18trti2_kernel_smallILi22EdPKPdEEv13rocblas_fill_17rocblas_diagonal_T1_iil.kd
    .uniform_work_group_size: 1
    .uses_dynamic_stack: false
    .vgpr_count:     58
    .vgpr_spill_count: 0
    .wavefront_size: 64
  - .agpr_count:     0
    .args:
      - .offset:         0
        .size:           4
        .value_kind:     by_value
      - .offset:         4
        .size:           4
        .value_kind:     by_value
      - .address_space:  global
        .offset:         8
        .size:           8
        .value_kind:     global_buffer
      - .offset:         16
        .size:           4
        .value_kind:     by_value
      - .offset:         20
        .size:           4
        .value_kind:     by_value
      - .offset:         24
        .size:           8
        .value_kind:     by_value
    .group_segment_fixed_size: 376
    .kernarg_segment_align: 8
    .kernarg_segment_size: 32
    .language:       OpenCL C
    .language_version:
      - 2
      - 0
    .max_flat_workgroup_size: 64
    .name:           _ZN9rocsolver6v33100L18trti2_kernel_smallILi23EdPKPdEEv13rocblas_fill_17rocblas_diagonal_T1_iil
    .private_segment_fixed_size: 192
    .sgpr_count:     37
    .sgpr_spill_count: 0
    .symbol:         _ZN9rocsolver6v33100L18trti2_kernel_smallILi23EdPKPdEEv13rocblas_fill_17rocblas_diagonal_T1_iil.kd
    .uniform_work_group_size: 1
    .uses_dynamic_stack: false
    .vgpr_count:     60
    .vgpr_spill_count: 0
    .wavefront_size: 64
  - .agpr_count:     0
    .args:
      - .offset:         0
        .size:           4
        .value_kind:     by_value
      - .offset:         4
        .size:           4
        .value_kind:     by_value
      - .address_space:  global
        .offset:         8
        .size:           8
        .value_kind:     global_buffer
      - .offset:         16
        .size:           4
        .value_kind:     by_value
      - .offset:         20
        .size:           4
        .value_kind:     by_value
      - .offset:         24
        .size:           8
        .value_kind:     by_value
    .group_segment_fixed_size: 384
    .kernarg_segment_align: 8
    .kernarg_segment_size: 32
    .language:       OpenCL C
    .language_version:
      - 2
      - 0
    .max_flat_workgroup_size: 64
    .name:           _ZN9rocsolver6v33100L18trti2_kernel_smallILi24EdPKPdEEv13rocblas_fill_17rocblas_diagonal_T1_iil
    .private_segment_fixed_size: 208
    .sgpr_count:     38
    .sgpr_spill_count: 0
    .symbol:         _ZN9rocsolver6v33100L18trti2_kernel_smallILi24EdPKPdEEv13rocblas_fill_17rocblas_diagonal_T1_iil.kd
    .uniform_work_group_size: 1
    .uses_dynamic_stack: false
    .vgpr_count:     62
    .vgpr_spill_count: 0
    .wavefront_size: 64
  - .agpr_count:     0
    .args:
      - .offset:         0
        .size:           4
        .value_kind:     by_value
      - .offset:         4
        .size:           4
        .value_kind:     by_value
      - .address_space:  global
        .offset:         8
        .size:           8
        .value_kind:     global_buffer
      - .offset:         16
        .size:           4
        .value_kind:     by_value
      - .offset:         20
        .size:           4
        .value_kind:     by_value
      - .offset:         24
        .size:           8
        .value_kind:     by_value
    .group_segment_fixed_size: 408
    .kernarg_segment_align: 8
    .kernarg_segment_size: 32
    .language:       OpenCL C
    .language_version:
      - 2
      - 0
    .max_flat_workgroup_size: 64
    .name:           _ZN9rocsolver6v33100L18trti2_kernel_smallILi25EdPKPdEEv13rocblas_fill_17rocblas_diagonal_T1_iil
    .private_segment_fixed_size: 208
    .sgpr_count:     40
    .sgpr_spill_count: 0
    .symbol:         _ZN9rocsolver6v33100L18trti2_kernel_smallILi25EdPKPdEEv13rocblas_fill_17rocblas_diagonal_T1_iil.kd
    .uniform_work_group_size: 1
    .uses_dynamic_stack: false
    .vgpr_count:     64
    .vgpr_spill_count: 0
    .wavefront_size: 64
  - .agpr_count:     0
    .args:
      - .offset:         0
        .size:           4
        .value_kind:     by_value
      - .offset:         4
        .size:           4
        .value_kind:     by_value
      - .address_space:  global
        .offset:         8
        .size:           8
        .value_kind:     global_buffer
      - .offset:         16
        .size:           4
        .value_kind:     by_value
      - .offset:         20
        .size:           4
        .value_kind:     by_value
      - .offset:         24
        .size:           8
        .value_kind:     by_value
    .group_segment_fixed_size: 416
    .kernarg_segment_align: 8
    .kernarg_segment_size: 32
    .language:       OpenCL C
    .language_version:
      - 2
      - 0
    .max_flat_workgroup_size: 64
    .name:           _ZN9rocsolver6v33100L18trti2_kernel_smallILi26EdPKPdEEv13rocblas_fill_17rocblas_diagonal_T1_iil
    .private_segment_fixed_size: 224
    .sgpr_count:     41
    .sgpr_spill_count: 0
    .symbol:         _ZN9rocsolver6v33100L18trti2_kernel_smallILi26EdPKPdEEv13rocblas_fill_17rocblas_diagonal_T1_iil.kd
    .uniform_work_group_size: 1
    .uses_dynamic_stack: false
    .vgpr_count:     66
    .vgpr_spill_count: 0
    .wavefront_size: 64
  - .agpr_count:     0
    .args:
      - .offset:         0
        .size:           4
        .value_kind:     by_value
      - .offset:         4
        .size:           4
        .value_kind:     by_value
      - .address_space:  global
        .offset:         8
        .size:           8
        .value_kind:     global_buffer
      - .offset:         16
        .size:           4
        .value_kind:     by_value
      - .offset:         20
        .size:           4
        .value_kind:     by_value
      - .offset:         24
        .size:           8
        .value_kind:     by_value
    .group_segment_fixed_size: 440
    .kernarg_segment_align: 8
    .kernarg_segment_size: 32
    .language:       OpenCL C
    .language_version:
      - 2
      - 0
    .max_flat_workgroup_size: 64
    .name:           _ZN9rocsolver6v33100L18trti2_kernel_smallILi27EdPKPdEEv13rocblas_fill_17rocblas_diagonal_T1_iil
    .private_segment_fixed_size: 224
    .sgpr_count:     42
    .sgpr_spill_count: 0
    .symbol:         _ZN9rocsolver6v33100L18trti2_kernel_smallILi27EdPKPdEEv13rocblas_fill_17rocblas_diagonal_T1_iil.kd
    .uniform_work_group_size: 1
    .uses_dynamic_stack: false
    .vgpr_count:     68
    .vgpr_spill_count: 0
    .wavefront_size: 64
  - .agpr_count:     0
    .args:
      - .offset:         0
        .size:           4
        .value_kind:     by_value
      - .offset:         4
        .size:           4
        .value_kind:     by_value
      - .address_space:  global
        .offset:         8
        .size:           8
        .value_kind:     global_buffer
      - .offset:         16
        .size:           4
        .value_kind:     by_value
      - .offset:         20
        .size:           4
        .value_kind:     by_value
      - .offset:         24
        .size:           8
        .value_kind:     by_value
    .group_segment_fixed_size: 448
    .kernarg_segment_align: 8
    .kernarg_segment_size: 32
    .language:       OpenCL C
    .language_version:
      - 2
      - 0
    .max_flat_workgroup_size: 64
    .name:           _ZN9rocsolver6v33100L18trti2_kernel_smallILi28EdPKPdEEv13rocblas_fill_17rocblas_diagonal_T1_iil
    .private_segment_fixed_size: 240
    .sgpr_count:     43
    .sgpr_spill_count: 0
    .symbol:         _ZN9rocsolver6v33100L18trti2_kernel_smallILi28EdPKPdEEv13rocblas_fill_17rocblas_diagonal_T1_iil.kd
    .uniform_work_group_size: 1
    .uses_dynamic_stack: false
    .vgpr_count:     70
    .vgpr_spill_count: 0
    .wavefront_size: 64
  - .agpr_count:     0
    .args:
      - .offset:         0
        .size:           4
        .value_kind:     by_value
      - .offset:         4
        .size:           4
        .value_kind:     by_value
      - .address_space:  global
        .offset:         8
        .size:           8
        .value_kind:     global_buffer
      - .offset:         16
        .size:           4
        .value_kind:     by_value
      - .offset:         20
        .size:           4
        .value_kind:     by_value
      - .offset:         24
        .size:           8
        .value_kind:     by_value
    .group_segment_fixed_size: 472
    .kernarg_segment_align: 8
    .kernarg_segment_size: 32
    .language:       OpenCL C
    .language_version:
      - 2
      - 0
    .max_flat_workgroup_size: 64
    .name:           _ZN9rocsolver6v33100L18trti2_kernel_smallILi29EdPKPdEEv13rocblas_fill_17rocblas_diagonal_T1_iil
    .private_segment_fixed_size: 240
    .sgpr_count:     44
    .sgpr_spill_count: 0
    .symbol:         _ZN9rocsolver6v33100L18trti2_kernel_smallILi29EdPKPdEEv13rocblas_fill_17rocblas_diagonal_T1_iil.kd
    .uniform_work_group_size: 1
    .uses_dynamic_stack: false
    .vgpr_count:     72
    .vgpr_spill_count: 0
    .wavefront_size: 64
  - .agpr_count:     0
    .args:
      - .offset:         0
        .size:           4
        .value_kind:     by_value
      - .offset:         4
        .size:           4
        .value_kind:     by_value
      - .address_space:  global
        .offset:         8
        .size:           8
        .value_kind:     global_buffer
      - .offset:         16
        .size:           4
        .value_kind:     by_value
      - .offset:         20
        .size:           4
        .value_kind:     by_value
      - .offset:         24
        .size:           8
        .value_kind:     by_value
    .group_segment_fixed_size: 480
    .kernarg_segment_align: 8
    .kernarg_segment_size: 32
    .language:       OpenCL C
    .language_version:
      - 2
      - 0
    .max_flat_workgroup_size: 64
    .name:           _ZN9rocsolver6v33100L18trti2_kernel_smallILi30EdPKPdEEv13rocblas_fill_17rocblas_diagonal_T1_iil
    .private_segment_fixed_size: 256
    .sgpr_count:     45
    .sgpr_spill_count: 0
    .symbol:         _ZN9rocsolver6v33100L18trti2_kernel_smallILi30EdPKPdEEv13rocblas_fill_17rocblas_diagonal_T1_iil.kd
    .uniform_work_group_size: 1
    .uses_dynamic_stack: false
    .vgpr_count:     74
    .vgpr_spill_count: 0
    .wavefront_size: 64
  - .agpr_count:     0
    .args:
      - .offset:         0
        .size:           4
        .value_kind:     by_value
      - .offset:         4
        .size:           4
        .value_kind:     by_value
      - .address_space:  global
        .offset:         8
        .size:           8
        .value_kind:     global_buffer
      - .offset:         16
        .size:           4
        .value_kind:     by_value
      - .offset:         20
        .size:           4
        .value_kind:     by_value
      - .offset:         24
        .size:           8
        .value_kind:     by_value
    .group_segment_fixed_size: 504
    .kernarg_segment_align: 8
    .kernarg_segment_size: 32
    .language:       OpenCL C
    .language_version:
      - 2
      - 0
    .max_flat_workgroup_size: 64
    .name:           _ZN9rocsolver6v33100L18trti2_kernel_smallILi31EdPKPdEEv13rocblas_fill_17rocblas_diagonal_T1_iil
    .private_segment_fixed_size: 256
    .sgpr_count:     46
    .sgpr_spill_count: 0
    .symbol:         _ZN9rocsolver6v33100L18trti2_kernel_smallILi31EdPKPdEEv13rocblas_fill_17rocblas_diagonal_T1_iil.kd
    .uniform_work_group_size: 1
    .uses_dynamic_stack: false
    .vgpr_count:     76
    .vgpr_spill_count: 0
    .wavefront_size: 64
  - .agpr_count:     0
    .args:
      - .offset:         0
        .size:           4
        .value_kind:     by_value
      - .offset:         4
        .size:           4
        .value_kind:     by_value
      - .address_space:  global
        .offset:         8
        .size:           8
        .value_kind:     global_buffer
      - .offset:         16
        .size:           4
        .value_kind:     by_value
      - .offset:         20
        .size:           4
        .value_kind:     by_value
      - .offset:         24
        .size:           8
        .value_kind:     by_value
    .group_segment_fixed_size: 512
    .kernarg_segment_align: 8
    .kernarg_segment_size: 32
    .language:       OpenCL C
    .language_version:
      - 2
      - 0
    .max_flat_workgroup_size: 64
    .name:           _ZN9rocsolver6v33100L18trti2_kernel_smallILi32EdPKPdEEv13rocblas_fill_17rocblas_diagonal_T1_iil
    .private_segment_fixed_size: 272
    .sgpr_count:     47
    .sgpr_spill_count: 0
    .symbol:         _ZN9rocsolver6v33100L18trti2_kernel_smallILi32EdPKPdEEv13rocblas_fill_17rocblas_diagonal_T1_iil.kd
    .uniform_work_group_size: 1
    .uses_dynamic_stack: false
    .vgpr_count:     78
    .vgpr_spill_count: 0
    .wavefront_size: 64
  - .agpr_count:     0
    .args:
      - .offset:         0
        .size:           4
        .value_kind:     by_value
      - .offset:         4
        .size:           4
        .value_kind:     by_value
      - .address_space:  global
        .offset:         8
        .size:           8
        .value_kind:     global_buffer
      - .offset:         16
        .size:           4
        .value_kind:     by_value
      - .offset:         20
        .size:           4
        .value_kind:     by_value
      - .offset:         24
        .size:           8
        .value_kind:     by_value
    .group_segment_fixed_size: 536
    .kernarg_segment_align: 8
    .kernarg_segment_size: 32
    .language:       OpenCL C
    .language_version:
      - 2
      - 0
    .max_flat_workgroup_size: 64
    .name:           _ZN9rocsolver6v33100L18trti2_kernel_smallILi33EdPKPdEEv13rocblas_fill_17rocblas_diagonal_T1_iil
    .private_segment_fixed_size: 272
    .sgpr_count:     48
    .sgpr_spill_count: 0
    .symbol:         _ZN9rocsolver6v33100L18trti2_kernel_smallILi33EdPKPdEEv13rocblas_fill_17rocblas_diagonal_T1_iil.kd
    .uniform_work_group_size: 1
    .uses_dynamic_stack: false
    .vgpr_count:     80
    .vgpr_spill_count: 0
    .wavefront_size: 64
  - .agpr_count:     0
    .args:
      - .offset:         0
        .size:           4
        .value_kind:     by_value
      - .offset:         4
        .size:           4
        .value_kind:     by_value
      - .address_space:  global
        .offset:         8
        .size:           8
        .value_kind:     global_buffer
      - .offset:         16
        .size:           4
        .value_kind:     by_value
      - .offset:         20
        .size:           4
        .value_kind:     by_value
      - .offset:         24
        .size:           8
        .value_kind:     by_value
    .group_segment_fixed_size: 544
    .kernarg_segment_align: 8
    .kernarg_segment_size: 32
    .language:       OpenCL C
    .language_version:
      - 2
      - 0
    .max_flat_workgroup_size: 64
    .name:           _ZN9rocsolver6v33100L18trti2_kernel_smallILi34EdPKPdEEv13rocblas_fill_17rocblas_diagonal_T1_iil
    .private_segment_fixed_size: 288
    .sgpr_count:     49
    .sgpr_spill_count: 0
    .symbol:         _ZN9rocsolver6v33100L18trti2_kernel_smallILi34EdPKPdEEv13rocblas_fill_17rocblas_diagonal_T1_iil.kd
    .uniform_work_group_size: 1
    .uses_dynamic_stack: false
    .vgpr_count:     82
    .vgpr_spill_count: 0
    .wavefront_size: 64
  - .agpr_count:     0
    .args:
      - .offset:         0
        .size:           4
        .value_kind:     by_value
      - .offset:         4
        .size:           4
        .value_kind:     by_value
      - .address_space:  global
        .offset:         8
        .size:           8
        .value_kind:     global_buffer
      - .offset:         16
        .size:           4
        .value_kind:     by_value
      - .offset:         20
        .size:           4
        .value_kind:     by_value
      - .offset:         24
        .size:           8
        .value_kind:     by_value
    .group_segment_fixed_size: 568
    .kernarg_segment_align: 8
    .kernarg_segment_size: 32
    .language:       OpenCL C
    .language_version:
      - 2
      - 0
    .max_flat_workgroup_size: 64
    .name:           _ZN9rocsolver6v33100L18trti2_kernel_smallILi35EdPKPdEEv13rocblas_fill_17rocblas_diagonal_T1_iil
    .private_segment_fixed_size: 288
    .sgpr_count:     50
    .sgpr_spill_count: 0
    .symbol:         _ZN9rocsolver6v33100L18trti2_kernel_smallILi35EdPKPdEEv13rocblas_fill_17rocblas_diagonal_T1_iil.kd
    .uniform_work_group_size: 1
    .uses_dynamic_stack: false
    .vgpr_count:     84
    .vgpr_spill_count: 0
    .wavefront_size: 64
  - .agpr_count:     0
    .args:
      - .offset:         0
        .size:           4
        .value_kind:     by_value
      - .offset:         4
        .size:           4
        .value_kind:     by_value
      - .address_space:  global
        .offset:         8
        .size:           8
        .value_kind:     global_buffer
      - .offset:         16
        .size:           4
        .value_kind:     by_value
      - .offset:         20
        .size:           4
        .value_kind:     by_value
      - .offset:         24
        .size:           8
        .value_kind:     by_value
    .group_segment_fixed_size: 576
    .kernarg_segment_align: 8
    .kernarg_segment_size: 32
    .language:       OpenCL C
    .language_version:
      - 2
      - 0
    .max_flat_workgroup_size: 64
    .name:           _ZN9rocsolver6v33100L18trti2_kernel_smallILi36EdPKPdEEv13rocblas_fill_17rocblas_diagonal_T1_iil
    .private_segment_fixed_size: 304
    .sgpr_count:     51
    .sgpr_spill_count: 0
    .symbol:         _ZN9rocsolver6v33100L18trti2_kernel_smallILi36EdPKPdEEv13rocblas_fill_17rocblas_diagonal_T1_iil.kd
    .uniform_work_group_size: 1
    .uses_dynamic_stack: false
    .vgpr_count:     86
    .vgpr_spill_count: 0
    .wavefront_size: 64
  - .agpr_count:     0
    .args:
      - .offset:         0
        .size:           4
        .value_kind:     by_value
      - .offset:         4
        .size:           4
        .value_kind:     by_value
      - .address_space:  global
        .offset:         8
        .size:           8
        .value_kind:     global_buffer
      - .offset:         16
        .size:           4
        .value_kind:     by_value
      - .offset:         20
        .size:           4
        .value_kind:     by_value
      - .offset:         24
        .size:           8
        .value_kind:     by_value
    .group_segment_fixed_size: 600
    .kernarg_segment_align: 8
    .kernarg_segment_size: 32
    .language:       OpenCL C
    .language_version:
      - 2
      - 0
    .max_flat_workgroup_size: 64
    .name:           _ZN9rocsolver6v33100L18trti2_kernel_smallILi37EdPKPdEEv13rocblas_fill_17rocblas_diagonal_T1_iil
    .private_segment_fixed_size: 304
    .sgpr_count:     52
    .sgpr_spill_count: 0
    .symbol:         _ZN9rocsolver6v33100L18trti2_kernel_smallILi37EdPKPdEEv13rocblas_fill_17rocblas_diagonal_T1_iil.kd
    .uniform_work_group_size: 1
    .uses_dynamic_stack: false
    .vgpr_count:     88
    .vgpr_spill_count: 0
    .wavefront_size: 64
  - .agpr_count:     0
    .args:
      - .offset:         0
        .size:           4
        .value_kind:     by_value
      - .offset:         4
        .size:           4
        .value_kind:     by_value
      - .address_space:  global
        .offset:         8
        .size:           8
        .value_kind:     global_buffer
      - .offset:         16
        .size:           4
        .value_kind:     by_value
      - .offset:         20
        .size:           4
        .value_kind:     by_value
      - .offset:         24
        .size:           8
        .value_kind:     by_value
    .group_segment_fixed_size: 608
    .kernarg_segment_align: 8
    .kernarg_segment_size: 32
    .language:       OpenCL C
    .language_version:
      - 2
      - 0
    .max_flat_workgroup_size: 64
    .name:           _ZN9rocsolver6v33100L18trti2_kernel_smallILi38EdPKPdEEv13rocblas_fill_17rocblas_diagonal_T1_iil
    .private_segment_fixed_size: 320
    .sgpr_count:     53
    .sgpr_spill_count: 0
    .symbol:         _ZN9rocsolver6v33100L18trti2_kernel_smallILi38EdPKPdEEv13rocblas_fill_17rocblas_diagonal_T1_iil.kd
    .uniform_work_group_size: 1
    .uses_dynamic_stack: false
    .vgpr_count:     90
    .vgpr_spill_count: 0
    .wavefront_size: 64
  - .agpr_count:     0
    .args:
      - .offset:         0
        .size:           4
        .value_kind:     by_value
      - .offset:         4
        .size:           4
        .value_kind:     by_value
      - .address_space:  global
        .offset:         8
        .size:           8
        .value_kind:     global_buffer
      - .offset:         16
        .size:           4
        .value_kind:     by_value
      - .offset:         20
        .size:           4
        .value_kind:     by_value
      - .offset:         24
        .size:           8
        .value_kind:     by_value
    .group_segment_fixed_size: 632
    .kernarg_segment_align: 8
    .kernarg_segment_size: 32
    .language:       OpenCL C
    .language_version:
      - 2
      - 0
    .max_flat_workgroup_size: 64
    .name:           _ZN9rocsolver6v33100L18trti2_kernel_smallILi39EdPKPdEEv13rocblas_fill_17rocblas_diagonal_T1_iil
    .private_segment_fixed_size: 320
    .sgpr_count:     54
    .sgpr_spill_count: 0
    .symbol:         _ZN9rocsolver6v33100L18trti2_kernel_smallILi39EdPKPdEEv13rocblas_fill_17rocblas_diagonal_T1_iil.kd
    .uniform_work_group_size: 1
    .uses_dynamic_stack: false
    .vgpr_count:     92
    .vgpr_spill_count: 0
    .wavefront_size: 64
  - .agpr_count:     0
    .args:
      - .offset:         0
        .size:           4
        .value_kind:     by_value
      - .offset:         4
        .size:           4
        .value_kind:     by_value
      - .address_space:  global
        .offset:         8
        .size:           8
        .value_kind:     global_buffer
      - .offset:         16
        .size:           4
        .value_kind:     by_value
      - .offset:         20
        .size:           4
        .value_kind:     by_value
      - .offset:         24
        .size:           8
        .value_kind:     by_value
    .group_segment_fixed_size: 640
    .kernarg_segment_align: 8
    .kernarg_segment_size: 32
    .language:       OpenCL C
    .language_version:
      - 2
      - 0
    .max_flat_workgroup_size: 64
    .name:           _ZN9rocsolver6v33100L18trti2_kernel_smallILi40EdPKPdEEv13rocblas_fill_17rocblas_diagonal_T1_iil
    .private_segment_fixed_size: 336
    .sgpr_count:     55
    .sgpr_spill_count: 0
    .symbol:         _ZN9rocsolver6v33100L18trti2_kernel_smallILi40EdPKPdEEv13rocblas_fill_17rocblas_diagonal_T1_iil.kd
    .uniform_work_group_size: 1
    .uses_dynamic_stack: false
    .vgpr_count:     94
    .vgpr_spill_count: 0
    .wavefront_size: 64
  - .agpr_count:     0
    .args:
      - .offset:         0
        .size:           4
        .value_kind:     by_value
      - .offset:         4
        .size:           4
        .value_kind:     by_value
      - .address_space:  global
        .offset:         8
        .size:           8
        .value_kind:     global_buffer
      - .offset:         16
        .size:           4
        .value_kind:     by_value
      - .offset:         20
        .size:           4
        .value_kind:     by_value
      - .offset:         24
        .size:           8
        .value_kind:     by_value
    .group_segment_fixed_size: 664
    .kernarg_segment_align: 8
    .kernarg_segment_size: 32
    .language:       OpenCL C
    .language_version:
      - 2
      - 0
    .max_flat_workgroup_size: 64
    .name:           _ZN9rocsolver6v33100L18trti2_kernel_smallILi41EdPKPdEEv13rocblas_fill_17rocblas_diagonal_T1_iil
    .private_segment_fixed_size: 336
    .sgpr_count:     56
    .sgpr_spill_count: 0
    .symbol:         _ZN9rocsolver6v33100L18trti2_kernel_smallILi41EdPKPdEEv13rocblas_fill_17rocblas_diagonal_T1_iil.kd
    .uniform_work_group_size: 1
    .uses_dynamic_stack: false
    .vgpr_count:     96
    .vgpr_spill_count: 0
    .wavefront_size: 64
  - .agpr_count:     0
    .args:
      - .offset:         0
        .size:           4
        .value_kind:     by_value
      - .offset:         4
        .size:           4
        .value_kind:     by_value
      - .address_space:  global
        .offset:         8
        .size:           8
        .value_kind:     global_buffer
      - .offset:         16
        .size:           4
        .value_kind:     by_value
      - .offset:         20
        .size:           4
        .value_kind:     by_value
      - .offset:         24
        .size:           8
        .value_kind:     by_value
    .group_segment_fixed_size: 672
    .kernarg_segment_align: 8
    .kernarg_segment_size: 32
    .language:       OpenCL C
    .language_version:
      - 2
      - 0
    .max_flat_workgroup_size: 64
    .name:           _ZN9rocsolver6v33100L18trti2_kernel_smallILi42EdPKPdEEv13rocblas_fill_17rocblas_diagonal_T1_iil
    .private_segment_fixed_size: 352
    .sgpr_count:     57
    .sgpr_spill_count: 0
    .symbol:         _ZN9rocsolver6v33100L18trti2_kernel_smallILi42EdPKPdEEv13rocblas_fill_17rocblas_diagonal_T1_iil.kd
    .uniform_work_group_size: 1
    .uses_dynamic_stack: false
    .vgpr_count:     98
    .vgpr_spill_count: 0
    .wavefront_size: 64
  - .agpr_count:     0
    .args:
      - .offset:         0
        .size:           4
        .value_kind:     by_value
      - .offset:         4
        .size:           4
        .value_kind:     by_value
      - .address_space:  global
        .offset:         8
        .size:           8
        .value_kind:     global_buffer
      - .offset:         16
        .size:           4
        .value_kind:     by_value
      - .offset:         20
        .size:           4
        .value_kind:     by_value
      - .offset:         24
        .size:           8
        .value_kind:     by_value
    .group_segment_fixed_size: 696
    .kernarg_segment_align: 8
    .kernarg_segment_size: 32
    .language:       OpenCL C
    .language_version:
      - 2
      - 0
    .max_flat_workgroup_size: 64
    .name:           _ZN9rocsolver6v33100L18trti2_kernel_smallILi43EdPKPdEEv13rocblas_fill_17rocblas_diagonal_T1_iil
    .private_segment_fixed_size: 352
    .sgpr_count:     58
    .sgpr_spill_count: 0
    .symbol:         _ZN9rocsolver6v33100L18trti2_kernel_smallILi43EdPKPdEEv13rocblas_fill_17rocblas_diagonal_T1_iil.kd
    .uniform_work_group_size: 1
    .uses_dynamic_stack: false
    .vgpr_count:     100
    .vgpr_spill_count: 0
    .wavefront_size: 64
  - .agpr_count:     0
    .args:
      - .offset:         0
        .size:           4
        .value_kind:     by_value
      - .offset:         4
        .size:           4
        .value_kind:     by_value
      - .address_space:  global
        .offset:         8
        .size:           8
        .value_kind:     global_buffer
      - .offset:         16
        .size:           4
        .value_kind:     by_value
      - .offset:         20
        .size:           4
        .value_kind:     by_value
      - .offset:         24
        .size:           8
        .value_kind:     by_value
    .group_segment_fixed_size: 704
    .kernarg_segment_align: 8
    .kernarg_segment_size: 32
    .language:       OpenCL C
    .language_version:
      - 2
      - 0
    .max_flat_workgroup_size: 64
    .name:           _ZN9rocsolver6v33100L18trti2_kernel_smallILi44EdPKPdEEv13rocblas_fill_17rocblas_diagonal_T1_iil
    .private_segment_fixed_size: 368
    .sgpr_count:     59
    .sgpr_spill_count: 0
    .symbol:         _ZN9rocsolver6v33100L18trti2_kernel_smallILi44EdPKPdEEv13rocblas_fill_17rocblas_diagonal_T1_iil.kd
    .uniform_work_group_size: 1
    .uses_dynamic_stack: false
    .vgpr_count:     102
    .vgpr_spill_count: 0
    .wavefront_size: 64
  - .agpr_count:     0
    .args:
      - .offset:         0
        .size:           4
        .value_kind:     by_value
      - .offset:         4
        .size:           4
        .value_kind:     by_value
      - .address_space:  global
        .offset:         8
        .size:           8
        .value_kind:     global_buffer
      - .offset:         16
        .size:           4
        .value_kind:     by_value
      - .offset:         20
        .size:           4
        .value_kind:     by_value
      - .offset:         24
        .size:           8
        .value_kind:     by_value
    .group_segment_fixed_size: 728
    .kernarg_segment_align: 8
    .kernarg_segment_size: 32
    .language:       OpenCL C
    .language_version:
      - 2
      - 0
    .max_flat_workgroup_size: 64
    .name:           _ZN9rocsolver6v33100L18trti2_kernel_smallILi45EdPKPdEEv13rocblas_fill_17rocblas_diagonal_T1_iil
    .private_segment_fixed_size: 368
    .sgpr_count:     60
    .sgpr_spill_count: 0
    .symbol:         _ZN9rocsolver6v33100L18trti2_kernel_smallILi45EdPKPdEEv13rocblas_fill_17rocblas_diagonal_T1_iil.kd
    .uniform_work_group_size: 1
    .uses_dynamic_stack: false
    .vgpr_count:     104
    .vgpr_spill_count: 0
    .wavefront_size: 64
  - .agpr_count:     0
    .args:
      - .offset:         0
        .size:           4
        .value_kind:     by_value
      - .offset:         4
        .size:           4
        .value_kind:     by_value
      - .address_space:  global
        .offset:         8
        .size:           8
        .value_kind:     global_buffer
      - .offset:         16
        .size:           4
        .value_kind:     by_value
      - .offset:         20
        .size:           4
        .value_kind:     by_value
      - .offset:         24
        .size:           8
        .value_kind:     by_value
    .group_segment_fixed_size: 736
    .kernarg_segment_align: 8
    .kernarg_segment_size: 32
    .language:       OpenCL C
    .language_version:
      - 2
      - 0
    .max_flat_workgroup_size: 64
    .name:           _ZN9rocsolver6v33100L18trti2_kernel_smallILi46EdPKPdEEv13rocblas_fill_17rocblas_diagonal_T1_iil
    .private_segment_fixed_size: 384
    .sgpr_count:     61
    .sgpr_spill_count: 0
    .symbol:         _ZN9rocsolver6v33100L18trti2_kernel_smallILi46EdPKPdEEv13rocblas_fill_17rocblas_diagonal_T1_iil.kd
    .uniform_work_group_size: 1
    .uses_dynamic_stack: false
    .vgpr_count:     106
    .vgpr_spill_count: 0
    .wavefront_size: 64
  - .agpr_count:     0
    .args:
      - .offset:         0
        .size:           4
        .value_kind:     by_value
      - .offset:         4
        .size:           4
        .value_kind:     by_value
      - .address_space:  global
        .offset:         8
        .size:           8
        .value_kind:     global_buffer
      - .offset:         16
        .size:           4
        .value_kind:     by_value
      - .offset:         20
        .size:           4
        .value_kind:     by_value
      - .offset:         24
        .size:           8
        .value_kind:     by_value
    .group_segment_fixed_size: 760
    .kernarg_segment_align: 8
    .kernarg_segment_size: 32
    .language:       OpenCL C
    .language_version:
      - 2
      - 0
    .max_flat_workgroup_size: 64
    .name:           _ZN9rocsolver6v33100L18trti2_kernel_smallILi47EdPKPdEEv13rocblas_fill_17rocblas_diagonal_T1_iil
    .private_segment_fixed_size: 384
    .sgpr_count:     62
    .sgpr_spill_count: 0
    .symbol:         _ZN9rocsolver6v33100L18trti2_kernel_smallILi47EdPKPdEEv13rocblas_fill_17rocblas_diagonal_T1_iil.kd
    .uniform_work_group_size: 1
    .uses_dynamic_stack: false
    .vgpr_count:     108
    .vgpr_spill_count: 0
    .wavefront_size: 64
  - .agpr_count:     0
    .args:
      - .offset:         0
        .size:           4
        .value_kind:     by_value
      - .offset:         4
        .size:           4
        .value_kind:     by_value
      - .address_space:  global
        .offset:         8
        .size:           8
        .value_kind:     global_buffer
      - .offset:         16
        .size:           4
        .value_kind:     by_value
      - .offset:         20
        .size:           4
        .value_kind:     by_value
      - .offset:         24
        .size:           8
        .value_kind:     by_value
    .group_segment_fixed_size: 768
    .kernarg_segment_align: 8
    .kernarg_segment_size: 32
    .language:       OpenCL C
    .language_version:
      - 2
      - 0
    .max_flat_workgroup_size: 64
    .name:           _ZN9rocsolver6v33100L18trti2_kernel_smallILi48EdPKPdEEv13rocblas_fill_17rocblas_diagonal_T1_iil
    .private_segment_fixed_size: 400
    .sgpr_count:     63
    .sgpr_spill_count: 0
    .symbol:         _ZN9rocsolver6v33100L18trti2_kernel_smallILi48EdPKPdEEv13rocblas_fill_17rocblas_diagonal_T1_iil.kd
    .uniform_work_group_size: 1
    .uses_dynamic_stack: false
    .vgpr_count:     110
    .vgpr_spill_count: 0
    .wavefront_size: 64
  - .agpr_count:     0
    .args:
      - .offset:         0
        .size:           4
        .value_kind:     by_value
      - .offset:         4
        .size:           4
        .value_kind:     by_value
      - .address_space:  global
        .offset:         8
        .size:           8
        .value_kind:     global_buffer
      - .offset:         16
        .size:           4
        .value_kind:     by_value
      - .offset:         20
        .size:           4
        .value_kind:     by_value
      - .offset:         24
        .size:           8
        .value_kind:     by_value
    .group_segment_fixed_size: 792
    .kernarg_segment_align: 8
    .kernarg_segment_size: 32
    .language:       OpenCL C
    .language_version:
      - 2
      - 0
    .max_flat_workgroup_size: 64
    .name:           _ZN9rocsolver6v33100L18trti2_kernel_smallILi49EdPKPdEEv13rocblas_fill_17rocblas_diagonal_T1_iil
    .private_segment_fixed_size: 400
    .sgpr_count:     64
    .sgpr_spill_count: 0
    .symbol:         _ZN9rocsolver6v33100L18trti2_kernel_smallILi49EdPKPdEEv13rocblas_fill_17rocblas_diagonal_T1_iil.kd
    .uniform_work_group_size: 1
    .uses_dynamic_stack: false
    .vgpr_count:     112
    .vgpr_spill_count: 0
    .wavefront_size: 64
  - .agpr_count:     0
    .args:
      - .offset:         0
        .size:           4
        .value_kind:     by_value
      - .offset:         4
        .size:           4
        .value_kind:     by_value
      - .address_space:  global
        .offset:         8
        .size:           8
        .value_kind:     global_buffer
      - .offset:         16
        .size:           4
        .value_kind:     by_value
      - .offset:         20
        .size:           4
        .value_kind:     by_value
      - .offset:         24
        .size:           8
        .value_kind:     by_value
    .group_segment_fixed_size: 800
    .kernarg_segment_align: 8
    .kernarg_segment_size: 32
    .language:       OpenCL C
    .language_version:
      - 2
      - 0
    .max_flat_workgroup_size: 64
    .name:           _ZN9rocsolver6v33100L18trti2_kernel_smallILi50EdPKPdEEv13rocblas_fill_17rocblas_diagonal_T1_iil
    .private_segment_fixed_size: 416
    .sgpr_count:     65
    .sgpr_spill_count: 0
    .symbol:         _ZN9rocsolver6v33100L18trti2_kernel_smallILi50EdPKPdEEv13rocblas_fill_17rocblas_diagonal_T1_iil.kd
    .uniform_work_group_size: 1
    .uses_dynamic_stack: false
    .vgpr_count:     114
    .vgpr_spill_count: 0
    .wavefront_size: 64
  - .agpr_count:     0
    .args:
      - .offset:         0
        .size:           4
        .value_kind:     by_value
      - .offset:         4
        .size:           4
        .value_kind:     by_value
      - .address_space:  global
        .offset:         8
        .size:           8
        .value_kind:     global_buffer
      - .offset:         16
        .size:           4
        .value_kind:     by_value
      - .offset:         20
        .size:           4
        .value_kind:     by_value
      - .offset:         24
        .size:           8
        .value_kind:     by_value
    .group_segment_fixed_size: 824
    .kernarg_segment_align: 8
    .kernarg_segment_size: 32
    .language:       OpenCL C
    .language_version:
      - 2
      - 0
    .max_flat_workgroup_size: 64
    .name:           _ZN9rocsolver6v33100L18trti2_kernel_smallILi51EdPKPdEEv13rocblas_fill_17rocblas_diagonal_T1_iil
    .private_segment_fixed_size: 416
    .sgpr_count:     66
    .sgpr_spill_count: 0
    .symbol:         _ZN9rocsolver6v33100L18trti2_kernel_smallILi51EdPKPdEEv13rocblas_fill_17rocblas_diagonal_T1_iil.kd
    .uniform_work_group_size: 1
    .uses_dynamic_stack: false
    .vgpr_count:     116
    .vgpr_spill_count: 0
    .wavefront_size: 64
  - .agpr_count:     0
    .args:
      - .offset:         0
        .size:           4
        .value_kind:     by_value
      - .offset:         4
        .size:           4
        .value_kind:     by_value
      - .address_space:  global
        .offset:         8
        .size:           8
        .value_kind:     global_buffer
      - .offset:         16
        .size:           4
        .value_kind:     by_value
      - .offset:         20
        .size:           4
        .value_kind:     by_value
      - .offset:         24
        .size:           8
        .value_kind:     by_value
    .group_segment_fixed_size: 832
    .kernarg_segment_align: 8
    .kernarg_segment_size: 32
    .language:       OpenCL C
    .language_version:
      - 2
      - 0
    .max_flat_workgroup_size: 64
    .name:           _ZN9rocsolver6v33100L18trti2_kernel_smallILi52EdPKPdEEv13rocblas_fill_17rocblas_diagonal_T1_iil
    .private_segment_fixed_size: 432
    .sgpr_count:     67
    .sgpr_spill_count: 0
    .symbol:         _ZN9rocsolver6v33100L18trti2_kernel_smallILi52EdPKPdEEv13rocblas_fill_17rocblas_diagonal_T1_iil.kd
    .uniform_work_group_size: 1
    .uses_dynamic_stack: false
    .vgpr_count:     118
    .vgpr_spill_count: 0
    .wavefront_size: 64
  - .agpr_count:     0
    .args:
      - .offset:         0
        .size:           4
        .value_kind:     by_value
      - .offset:         4
        .size:           4
        .value_kind:     by_value
      - .address_space:  global
        .offset:         8
        .size:           8
        .value_kind:     global_buffer
      - .offset:         16
        .size:           4
        .value_kind:     by_value
      - .offset:         20
        .size:           4
        .value_kind:     by_value
      - .offset:         24
        .size:           8
        .value_kind:     by_value
    .group_segment_fixed_size: 856
    .kernarg_segment_align: 8
    .kernarg_segment_size: 32
    .language:       OpenCL C
    .language_version:
      - 2
      - 0
    .max_flat_workgroup_size: 64
    .name:           _ZN9rocsolver6v33100L18trti2_kernel_smallILi53EdPKPdEEv13rocblas_fill_17rocblas_diagonal_T1_iil
    .private_segment_fixed_size: 432
    .sgpr_count:     68
    .sgpr_spill_count: 0
    .symbol:         _ZN9rocsolver6v33100L18trti2_kernel_smallILi53EdPKPdEEv13rocblas_fill_17rocblas_diagonal_T1_iil.kd
    .uniform_work_group_size: 1
    .uses_dynamic_stack: false
    .vgpr_count:     120
    .vgpr_spill_count: 0
    .wavefront_size: 64
  - .agpr_count:     0
    .args:
      - .offset:         0
        .size:           4
        .value_kind:     by_value
      - .offset:         4
        .size:           4
        .value_kind:     by_value
      - .address_space:  global
        .offset:         8
        .size:           8
        .value_kind:     global_buffer
      - .offset:         16
        .size:           4
        .value_kind:     by_value
      - .offset:         20
        .size:           4
        .value_kind:     by_value
      - .offset:         24
        .size:           8
        .value_kind:     by_value
    .group_segment_fixed_size: 864
    .kernarg_segment_align: 8
    .kernarg_segment_size: 32
    .language:       OpenCL C
    .language_version:
      - 2
      - 0
    .max_flat_workgroup_size: 64
    .name:           _ZN9rocsolver6v33100L18trti2_kernel_smallILi54EdPKPdEEv13rocblas_fill_17rocblas_diagonal_T1_iil
    .private_segment_fixed_size: 448
    .sgpr_count:     69
    .sgpr_spill_count: 0
    .symbol:         _ZN9rocsolver6v33100L18trti2_kernel_smallILi54EdPKPdEEv13rocblas_fill_17rocblas_diagonal_T1_iil.kd
    .uniform_work_group_size: 1
    .uses_dynamic_stack: false
    .vgpr_count:     122
    .vgpr_spill_count: 0
    .wavefront_size: 64
  - .agpr_count:     0
    .args:
      - .offset:         0
        .size:           4
        .value_kind:     by_value
      - .offset:         4
        .size:           4
        .value_kind:     by_value
      - .address_space:  global
        .offset:         8
        .size:           8
        .value_kind:     global_buffer
      - .offset:         16
        .size:           4
        .value_kind:     by_value
      - .offset:         20
        .size:           4
        .value_kind:     by_value
      - .offset:         24
        .size:           8
        .value_kind:     by_value
    .group_segment_fixed_size: 888
    .kernarg_segment_align: 8
    .kernarg_segment_size: 32
    .language:       OpenCL C
    .language_version:
      - 2
      - 0
    .max_flat_workgroup_size: 64
    .name:           _ZN9rocsolver6v33100L18trti2_kernel_smallILi55EdPKPdEEv13rocblas_fill_17rocblas_diagonal_T1_iil
    .private_segment_fixed_size: 448
    .sgpr_count:     70
    .sgpr_spill_count: 0
    .symbol:         _ZN9rocsolver6v33100L18trti2_kernel_smallILi55EdPKPdEEv13rocblas_fill_17rocblas_diagonal_T1_iil.kd
    .uniform_work_group_size: 1
    .uses_dynamic_stack: false
    .vgpr_count:     124
    .vgpr_spill_count: 0
    .wavefront_size: 64
  - .agpr_count:     0
    .args:
      - .offset:         0
        .size:           4
        .value_kind:     by_value
      - .offset:         4
        .size:           4
        .value_kind:     by_value
      - .address_space:  global
        .offset:         8
        .size:           8
        .value_kind:     global_buffer
      - .offset:         16
        .size:           4
        .value_kind:     by_value
      - .offset:         20
        .size:           4
        .value_kind:     by_value
      - .offset:         24
        .size:           8
        .value_kind:     by_value
    .group_segment_fixed_size: 896
    .kernarg_segment_align: 8
    .kernarg_segment_size: 32
    .language:       OpenCL C
    .language_version:
      - 2
      - 0
    .max_flat_workgroup_size: 64
    .name:           _ZN9rocsolver6v33100L18trti2_kernel_smallILi56EdPKPdEEv13rocblas_fill_17rocblas_diagonal_T1_iil
    .private_segment_fixed_size: 464
    .sgpr_count:     71
    .sgpr_spill_count: 0
    .symbol:         _ZN9rocsolver6v33100L18trti2_kernel_smallILi56EdPKPdEEv13rocblas_fill_17rocblas_diagonal_T1_iil.kd
    .uniform_work_group_size: 1
    .uses_dynamic_stack: false
    .vgpr_count:     126
    .vgpr_spill_count: 0
    .wavefront_size: 64
  - .agpr_count:     0
    .args:
      - .offset:         0
        .size:           4
        .value_kind:     by_value
      - .offset:         4
        .size:           4
        .value_kind:     by_value
      - .address_space:  global
        .offset:         8
        .size:           8
        .value_kind:     global_buffer
      - .offset:         16
        .size:           4
        .value_kind:     by_value
      - .offset:         20
        .size:           4
        .value_kind:     by_value
      - .offset:         24
        .size:           8
        .value_kind:     by_value
    .group_segment_fixed_size: 920
    .kernarg_segment_align: 8
    .kernarg_segment_size: 32
    .language:       OpenCL C
    .language_version:
      - 2
      - 0
    .max_flat_workgroup_size: 64
    .name:           _ZN9rocsolver6v33100L18trti2_kernel_smallILi57EdPKPdEEv13rocblas_fill_17rocblas_diagonal_T1_iil
    .private_segment_fixed_size: 464
    .sgpr_count:     72
    .sgpr_spill_count: 0
    .symbol:         _ZN9rocsolver6v33100L18trti2_kernel_smallILi57EdPKPdEEv13rocblas_fill_17rocblas_diagonal_T1_iil.kd
    .uniform_work_group_size: 1
    .uses_dynamic_stack: false
    .vgpr_count:     128
    .vgpr_spill_count: 0
    .wavefront_size: 64
  - .agpr_count:     0
    .args:
      - .offset:         0
        .size:           4
        .value_kind:     by_value
      - .offset:         4
        .size:           4
        .value_kind:     by_value
      - .address_space:  global
        .offset:         8
        .size:           8
        .value_kind:     global_buffer
      - .offset:         16
        .size:           4
        .value_kind:     by_value
      - .offset:         20
        .size:           4
        .value_kind:     by_value
      - .offset:         24
        .size:           8
        .value_kind:     by_value
    .group_segment_fixed_size: 928
    .kernarg_segment_align: 8
    .kernarg_segment_size: 32
    .language:       OpenCL C
    .language_version:
      - 2
      - 0
    .max_flat_workgroup_size: 64
    .name:           _ZN9rocsolver6v33100L18trti2_kernel_smallILi58EdPKPdEEv13rocblas_fill_17rocblas_diagonal_T1_iil
    .private_segment_fixed_size: 480
    .sgpr_count:     73
    .sgpr_spill_count: 0
    .symbol:         _ZN9rocsolver6v33100L18trti2_kernel_smallILi58EdPKPdEEv13rocblas_fill_17rocblas_diagonal_T1_iil.kd
    .uniform_work_group_size: 1
    .uses_dynamic_stack: false
    .vgpr_count:     130
    .vgpr_spill_count: 0
    .wavefront_size: 64
  - .agpr_count:     0
    .args:
      - .offset:         0
        .size:           4
        .value_kind:     by_value
      - .offset:         4
        .size:           4
        .value_kind:     by_value
      - .address_space:  global
        .offset:         8
        .size:           8
        .value_kind:     global_buffer
      - .offset:         16
        .size:           4
        .value_kind:     by_value
      - .offset:         20
        .size:           4
        .value_kind:     by_value
      - .offset:         24
        .size:           8
        .value_kind:     by_value
    .group_segment_fixed_size: 952
    .kernarg_segment_align: 8
    .kernarg_segment_size: 32
    .language:       OpenCL C
    .language_version:
      - 2
      - 0
    .max_flat_workgroup_size: 64
    .name:           _ZN9rocsolver6v33100L18trti2_kernel_smallILi59EdPKPdEEv13rocblas_fill_17rocblas_diagonal_T1_iil
    .private_segment_fixed_size: 480
    .sgpr_count:     74
    .sgpr_spill_count: 0
    .symbol:         _ZN9rocsolver6v33100L18trti2_kernel_smallILi59EdPKPdEEv13rocblas_fill_17rocblas_diagonal_T1_iil.kd
    .uniform_work_group_size: 1
    .uses_dynamic_stack: false
    .vgpr_count:     132
    .vgpr_spill_count: 0
    .wavefront_size: 64
  - .agpr_count:     0
    .args:
      - .offset:         0
        .size:           4
        .value_kind:     by_value
      - .offset:         4
        .size:           4
        .value_kind:     by_value
      - .address_space:  global
        .offset:         8
        .size:           8
        .value_kind:     global_buffer
      - .offset:         16
        .size:           4
        .value_kind:     by_value
      - .offset:         20
        .size:           4
        .value_kind:     by_value
      - .offset:         24
        .size:           8
        .value_kind:     by_value
    .group_segment_fixed_size: 960
    .kernarg_segment_align: 8
    .kernarg_segment_size: 32
    .language:       OpenCL C
    .language_version:
      - 2
      - 0
    .max_flat_workgroup_size: 64
    .name:           _ZN9rocsolver6v33100L18trti2_kernel_smallILi60EdPKPdEEv13rocblas_fill_17rocblas_diagonal_T1_iil
    .private_segment_fixed_size: 496
    .sgpr_count:     75
    .sgpr_spill_count: 0
    .symbol:         _ZN9rocsolver6v33100L18trti2_kernel_smallILi60EdPKPdEEv13rocblas_fill_17rocblas_diagonal_T1_iil.kd
    .uniform_work_group_size: 1
    .uses_dynamic_stack: false
    .vgpr_count:     134
    .vgpr_spill_count: 0
    .wavefront_size: 64
  - .agpr_count:     0
    .args:
      - .offset:         0
        .size:           4
        .value_kind:     by_value
      - .offset:         4
        .size:           4
        .value_kind:     by_value
      - .address_space:  global
        .offset:         8
        .size:           8
        .value_kind:     global_buffer
      - .offset:         16
        .size:           4
        .value_kind:     by_value
      - .offset:         20
        .size:           4
        .value_kind:     by_value
      - .offset:         24
        .size:           8
        .value_kind:     by_value
    .group_segment_fixed_size: 984
    .kernarg_segment_align: 8
    .kernarg_segment_size: 32
    .language:       OpenCL C
    .language_version:
      - 2
      - 0
    .max_flat_workgroup_size: 64
    .name:           _ZN9rocsolver6v33100L18trti2_kernel_smallILi61EdPKPdEEv13rocblas_fill_17rocblas_diagonal_T1_iil
    .private_segment_fixed_size: 496
    .sgpr_count:     76
    .sgpr_spill_count: 0
    .symbol:         _ZN9rocsolver6v33100L18trti2_kernel_smallILi61EdPKPdEEv13rocblas_fill_17rocblas_diagonal_T1_iil.kd
    .uniform_work_group_size: 1
    .uses_dynamic_stack: false
    .vgpr_count:     136
    .vgpr_spill_count: 0
    .wavefront_size: 64
  - .agpr_count:     0
    .args:
      - .offset:         0
        .size:           4
        .value_kind:     by_value
      - .offset:         4
        .size:           4
        .value_kind:     by_value
      - .address_space:  global
        .offset:         8
        .size:           8
        .value_kind:     global_buffer
      - .offset:         16
        .size:           4
        .value_kind:     by_value
      - .offset:         20
        .size:           4
        .value_kind:     by_value
      - .offset:         24
        .size:           8
        .value_kind:     by_value
    .group_segment_fixed_size: 992
    .kernarg_segment_align: 8
    .kernarg_segment_size: 32
    .language:       OpenCL C
    .language_version:
      - 2
      - 0
    .max_flat_workgroup_size: 64
    .name:           _ZN9rocsolver6v33100L18trti2_kernel_smallILi62EdPKPdEEv13rocblas_fill_17rocblas_diagonal_T1_iil
    .private_segment_fixed_size: 512
    .sgpr_count:     77
    .sgpr_spill_count: 0
    .symbol:         _ZN9rocsolver6v33100L18trti2_kernel_smallILi62EdPKPdEEv13rocblas_fill_17rocblas_diagonal_T1_iil.kd
    .uniform_work_group_size: 1
    .uses_dynamic_stack: false
    .vgpr_count:     138
    .vgpr_spill_count: 0
    .wavefront_size: 64
  - .agpr_count:     0
    .args:
      - .offset:         0
        .size:           4
        .value_kind:     by_value
      - .offset:         4
        .size:           4
        .value_kind:     by_value
      - .address_space:  global
        .offset:         8
        .size:           8
        .value_kind:     global_buffer
      - .offset:         16
        .size:           4
        .value_kind:     by_value
      - .offset:         20
        .size:           4
        .value_kind:     by_value
      - .offset:         24
        .size:           8
        .value_kind:     by_value
    .group_segment_fixed_size: 1016
    .kernarg_segment_align: 8
    .kernarg_segment_size: 32
    .language:       OpenCL C
    .language_version:
      - 2
      - 0
    .max_flat_workgroup_size: 64
    .name:           _ZN9rocsolver6v33100L18trti2_kernel_smallILi63EdPKPdEEv13rocblas_fill_17rocblas_diagonal_T1_iil
    .private_segment_fixed_size: 512
    .sgpr_count:     78
    .sgpr_spill_count: 0
    .symbol:         _ZN9rocsolver6v33100L18trti2_kernel_smallILi63EdPKPdEEv13rocblas_fill_17rocblas_diagonal_T1_iil.kd
    .uniform_work_group_size: 1
    .uses_dynamic_stack: false
    .vgpr_count:     140
    .vgpr_spill_count: 0
    .wavefront_size: 64
  - .agpr_count:     0
    .args:
      - .offset:         0
        .size:           4
        .value_kind:     by_value
      - .offset:         4
        .size:           4
        .value_kind:     by_value
      - .address_space:  global
        .offset:         8
        .size:           8
        .value_kind:     global_buffer
      - .offset:         16
        .size:           4
        .value_kind:     by_value
      - .offset:         20
        .size:           4
        .value_kind:     by_value
      - .offset:         24
        .size:           8
        .value_kind:     by_value
    .group_segment_fixed_size: 1024
    .kernarg_segment_align: 8
    .kernarg_segment_size: 32
    .language:       OpenCL C
    .language_version:
      - 2
      - 0
    .max_flat_workgroup_size: 64
    .name:           _ZN9rocsolver6v33100L18trti2_kernel_smallILi64EdPKPdEEv13rocblas_fill_17rocblas_diagonal_T1_iil
    .private_segment_fixed_size: 528
    .sgpr_count:     79
    .sgpr_spill_count: 0
    .symbol:         _ZN9rocsolver6v33100L18trti2_kernel_smallILi64EdPKPdEEv13rocblas_fill_17rocblas_diagonal_T1_iil.kd
    .uniform_work_group_size: 1
    .uses_dynamic_stack: false
    .vgpr_count:     142
    .vgpr_spill_count: 0
    .wavefront_size: 64
amdhsa.target:   amdgcn-amd-amdhsa--gfx950
amdhsa.version:
  - 1
  - 2
...

	.end_amdgpu_metadata
